;; amdgpu-corpus repo=pytorch/pytorch kind=compiled arch=gfx90a opt=O3
	.text
	.amdgcn_target "amdgcn-amd-amdhsa--gfx90a"
	.amdhsa_code_object_version 6
	.section	.text._ZN2at6native29vectorized_elementwise_kernelILi16ENS0_13AUnaryFunctorIN3c104HalfES4_S4_ZNS0_20copysign_kernel_cudaERNS_18TensorIteratorBaseEEUlS4_S4_E_EESt5arrayIPcLm2EEEEviT0_T1_,"axG",@progbits,_ZN2at6native29vectorized_elementwise_kernelILi16ENS0_13AUnaryFunctorIN3c104HalfES4_S4_ZNS0_20copysign_kernel_cudaERNS_18TensorIteratorBaseEEUlS4_S4_E_EESt5arrayIPcLm2EEEEviT0_T1_,comdat
	.globl	_ZN2at6native29vectorized_elementwise_kernelILi16ENS0_13AUnaryFunctorIN3c104HalfES4_S4_ZNS0_20copysign_kernel_cudaERNS_18TensorIteratorBaseEEUlS4_S4_E_EESt5arrayIPcLm2EEEEviT0_T1_ ; -- Begin function _ZN2at6native29vectorized_elementwise_kernelILi16ENS0_13AUnaryFunctorIN3c104HalfES4_S4_ZNS0_20copysign_kernel_cudaERNS_18TensorIteratorBaseEEUlS4_S4_E_EESt5arrayIPcLm2EEEEviT0_T1_
	.p2align	8
	.type	_ZN2at6native29vectorized_elementwise_kernelILi16ENS0_13AUnaryFunctorIN3c104HalfES4_S4_ZNS0_20copysign_kernel_cudaERNS_18TensorIteratorBaseEEUlS4_S4_E_EESt5arrayIPcLm2EEEEviT0_T1_,@function
_ZN2at6native29vectorized_elementwise_kernelILi16ENS0_13AUnaryFunctorIN3c104HalfES4_S4_ZNS0_20copysign_kernel_cudaERNS_18TensorIteratorBaseEEUlS4_S4_E_EESt5arrayIPcLm2EEEEviT0_T1_: ; @_ZN2at6native29vectorized_elementwise_kernelILi16ENS0_13AUnaryFunctorIN3c104HalfES4_S4_ZNS0_20copysign_kernel_cudaERNS_18TensorIteratorBaseEEUlS4_S4_E_EESt5arrayIPcLm2EEEEviT0_T1_
; %bb.0:
	s_load_dwordx2 s[0:1], s[4:5], 0x0
	s_load_dwordx4 s[8:11], s[4:5], 0x8
	s_lshl_b32 s2, s6, 11
	s_waitcnt lgkmcnt(0)
	s_sub_i32 s6, s0, s2
	s_lshr_b32 s7, s1, 16
	s_cmpk_gt_i32 s6, 0x7ff
	s_mov_b64 s[0:1], -1
	s_cbranch_scc0 .LBB0_2
; %bb.1:
	s_ashr_i32 s3, s2, 31
	s_lshl_b64 s[0:1], s[2:3], 1
	s_add_u32 s4, s10, s0
	s_addc_u32 s5, s11, s1
	v_lshlrev_b32_e32 v1, 4, v0
	global_load_dwordx4 v[2:5], v1, s[4:5]
	v_mov_b32_e32 v6, 0x7fff
	s_movk_i32 s3, 0x8000
	v_and_b32_e32 v6, s7, v6
	s_mov_b32 s4, 0x5040100
	s_add_u32 s0, s8, s0
	s_addc_u32 s1, s9, s1
	s_waitcnt vmcnt(0)
	v_and_b32_sdwa v7, v3, s3 dst_sel:DWORD dst_unused:UNUSED_PAD src0_sel:WORD_1 src1_sel:DWORD
	v_and_b32_e32 v3, 0xffff8000, v3
	v_and_b32_sdwa v8, v2, s3 dst_sel:DWORD dst_unused:UNUSED_PAD src0_sel:WORD_1 src1_sel:DWORD
	v_and_b32_e32 v2, 0xffff8000, v2
	;; [unrolled: 2-line block ×4, first 2 shown]
	v_or_b32_e32 v2, v2, v6
	v_or_b32_e32 v8, v8, v6
	;; [unrolled: 1-line block ×8, first 2 shown]
	v_perm_b32 v5, v6, v5, s4
	v_perm_b32 v4, v10, v4, s4
	;; [unrolled: 1-line block ×4, first 2 shown]
	global_store_dwordx4 v1, v[2:5], s[0:1]
	s_mov_b64 s[0:1], 0
.LBB0_2:
	s_andn2_b64 vcc, exec, s[0:1]
	s_cbranch_vccnz .LBB0_28
; %bb.3:
	v_cmp_gt_i32_e32 vcc, s6, v0
	v_mov_b32_e32 v1, 0
	v_or_b32_e32 v2, s2, v0
	v_mov_b32_e32 v3, 0
	v_mov_b32_e32 v9, v0
	s_and_saveexec_b64 s[4:5], vcc
	s_cbranch_execz .LBB0_5
; %bb.4:
	v_mov_b32_e32 v3, 0
	v_lshlrev_b64 v[4:5], 1, v[2:3]
	v_mov_b32_e32 v3, s11
	v_add_co_u32_e64 v4, s[0:1], s10, v4
	v_addc_co_u32_e64 v5, s[0:1], v3, v5, s[0:1]
	global_load_ushort v3, v[4:5], off
	v_or_b32_e32 v9, 0x100, v0
	s_waitcnt vmcnt(0)
	v_and_b32_e32 v3, 0xffff8000, v3
.LBB0_5:
	s_or_b64 exec, exec, s[4:5]
	v_cmp_gt_i32_e64 s[0:1], s6, v9
	s_and_saveexec_b64 s[4:5], s[0:1]
	s_cbranch_execz .LBB0_7
; %bb.6:
	v_add_u32_e32 v4, s2, v9
	v_mov_b32_e32 v5, 0
	v_lshlrev_b64 v[4:5], 1, v[4:5]
	v_mov_b32_e32 v1, s11
	v_add_co_u32_e64 v4, s[0:1], s10, v4
	v_addc_co_u32_e64 v5, s[0:1], v1, v5, s[0:1]
	global_load_ushort v1, v[4:5], off
	v_add_u32_e32 v9, 0x100, v9
	s_waitcnt vmcnt(0)
	v_and_b32_e32 v1, 0xffff8000, v1
.LBB0_7:
	s_or_b64 exec, exec, s[4:5]
	v_cmp_gt_i32_e64 s[0:1], s6, v9
	v_mov_b32_e32 v4, 0
	v_mov_b32_e32 v7, 0
	s_and_saveexec_b64 s[4:5], s[0:1]
	s_cbranch_execz .LBB0_9
; %bb.8:
	v_add_u32_e32 v6, s2, v9
	v_mov_b32_e32 v7, 0
	v_lshlrev_b64 v[6:7], 1, v[6:7]
	v_mov_b32_e32 v5, s11
	v_add_co_u32_e64 v6, s[0:1], s10, v6
	v_addc_co_u32_e64 v7, s[0:1], v5, v7, s[0:1]
	global_load_ushort v5, v[6:7], off
	v_add_u32_e32 v9, 0x100, v9
	s_waitcnt vmcnt(0)
	v_and_b32_e32 v7, 0xffff8000, v5
.LBB0_9:
	s_or_b64 exec, exec, s[4:5]
	v_cmp_gt_i32_e64 s[0:1], s6, v9
	s_and_saveexec_b64 s[4:5], s[0:1]
	s_cbranch_execz .LBB0_11
; %bb.10:
	v_add_u32_e32 v4, s2, v9
	v_mov_b32_e32 v5, 0
	v_lshlrev_b64 v[4:5], 1, v[4:5]
	v_mov_b32_e32 v6, s11
	v_add_co_u32_e64 v4, s[0:1], s10, v4
	v_addc_co_u32_e64 v5, s[0:1], v6, v5, s[0:1]
	global_load_ushort v4, v[4:5], off
	v_add_u32_e32 v9, 0x100, v9
	s_waitcnt vmcnt(0)
	v_and_b32_e32 v4, 0xffff8000, v4
.LBB0_11:
	s_or_b64 exec, exec, s[4:5]
	v_cmp_gt_i32_e64 s[0:1], s6, v9
	v_mov_b32_e32 v5, 0
	v_mov_b32_e32 v8, 0
	s_and_saveexec_b64 s[4:5], s[0:1]
	s_cbranch_execz .LBB0_13
; %bb.12:
	v_add_u32_e32 v10, s2, v9
	v_mov_b32_e32 v11, 0
	v_lshlrev_b64 v[10:11], 1, v[10:11]
	v_mov_b32_e32 v6, s11
	v_add_co_u32_e64 v10, s[0:1], s10, v10
	v_addc_co_u32_e64 v11, s[0:1], v6, v11, s[0:1]
	global_load_ushort v6, v[10:11], off
	v_add_u32_e32 v9, 0x100, v9
	s_waitcnt vmcnt(0)
	v_and_b32_e32 v8, 0xffff8000, v6
.LBB0_13:
	;; [unrolled: 34-line block ×3, first 2 shown]
	s_or_b64 exec, exec, s[4:5]
	v_cmp_gt_i32_e64 s[0:1], s6, v9
	s_and_saveexec_b64 s[4:5], s[0:1]
	s_cbranch_execz .LBB0_19
; %bb.18:
	v_add_u32_e32 v12, s2, v9
	v_mov_b32_e32 v13, 0
	v_lshlrev_b64 v[12:13], 1, v[12:13]
	v_mov_b32_e32 v6, s11
	v_add_co_u32_e64 v12, s[0:1], s10, v12
	v_addc_co_u32_e64 v13, s[0:1], v6, v13, s[0:1]
	global_load_ushort v6, v[12:13], off
	s_waitcnt vmcnt(0)
	v_and_b32_e32 v6, 0xffff8000, v6
.LBB0_19:
	s_or_b64 exec, exec, s[4:5]
	v_mov_b32_e32 v9, 0x7fff
	v_and_b32_e32 v9, s7, v9
	s_and_saveexec_b64 s[0:1], vcc
	s_cbranch_execnz .LBB0_29
; %bb.20:
	s_or_b64 exec, exec, s[0:1]
	v_cmp_gt_i32_e32 vcc, s6, v0
	s_and_saveexec_b64 s[0:1], vcc
	s_cbranch_execnz .LBB0_30
.LBB0_21:
	s_or_b64 exec, exec, s[0:1]
	v_cmp_gt_i32_e32 vcc, s6, v0
	s_and_saveexec_b64 s[0:1], vcc
	s_cbranch_execnz .LBB0_31
.LBB0_22:
	s_or_b64 exec, exec, s[0:1]
	v_cmp_gt_i32_e32 vcc, s6, v0
	s_and_saveexec_b64 s[0:1], vcc
	s_cbranch_execnz .LBB0_32
.LBB0_23:
	s_or_b64 exec, exec, s[0:1]
	v_cmp_gt_i32_e32 vcc, s6, v0
	s_and_saveexec_b64 s[0:1], vcc
	s_cbranch_execnz .LBB0_33
.LBB0_24:
	s_or_b64 exec, exec, s[0:1]
	v_cmp_gt_i32_e32 vcc, s6, v0
	s_and_saveexec_b64 s[0:1], vcc
	s_cbranch_execnz .LBB0_34
.LBB0_25:
	s_or_b64 exec, exec, s[0:1]
	v_cmp_gt_i32_e32 vcc, s6, v0
	s_and_saveexec_b64 s[0:1], vcc
	s_cbranch_execnz .LBB0_35
.LBB0_26:
	s_or_b64 exec, exec, s[0:1]
	v_cmp_gt_i32_e32 vcc, s6, v0
	s_and_saveexec_b64 s[0:1], vcc
	s_cbranch_execz .LBB0_28
.LBB0_27:
	v_add_u32_e32 v0, s2, v0
	v_mov_b32_e32 v1, 0
	v_lshlrev_b64 v[0:1], 1, v[0:1]
	v_mov_b32_e32 v3, s9
	v_add_co_u32_e32 v0, vcc, s8, v0
	v_or_b32_e32 v2, v6, v9
	v_addc_co_u32_e32 v1, vcc, v3, v1, vcc
	global_store_short v[0:1], v2, off
.LBB0_28:
	s_endpgm
.LBB0_29:
	v_or_b32_e32 v11, v3, v9
	v_mov_b32_e32 v3, 0
	v_lshlrev_b64 v[2:3], 1, v[2:3]
	v_mov_b32_e32 v12, s9
	v_add_co_u32_e32 v2, vcc, s8, v2
	v_or_b32_e32 v0, 0x100, v0
	v_addc_co_u32_e32 v3, vcc, v12, v3, vcc
	global_store_short v[2:3], v11, off
	s_or_b64 exec, exec, s[0:1]
	v_cmp_gt_i32_e32 vcc, s6, v0
	s_and_saveexec_b64 s[0:1], vcc
	s_cbranch_execz .LBB0_21
.LBB0_30:
	v_add_u32_e32 v2, s2, v0
	v_mov_b32_e32 v3, 0
	v_lshlrev_b64 v[2:3], 1, v[2:3]
	v_mov_b32_e32 v11, s9
	v_add_co_u32_e32 v2, vcc, s8, v2
	v_or_b32_e32 v1, v1, v9
	v_addc_co_u32_e32 v3, vcc, v11, v3, vcc
	v_add_u32_e32 v0, 0x100, v0
	global_store_short v[2:3], v1, off
	s_or_b64 exec, exec, s[0:1]
	v_cmp_gt_i32_e32 vcc, s6, v0
	s_and_saveexec_b64 s[0:1], vcc
	s_cbranch_execz .LBB0_22
.LBB0_31:
	v_add_u32_e32 v2, s2, v0
	v_mov_b32_e32 v3, 0
	v_lshlrev_b64 v[2:3], 1, v[2:3]
	v_or_b32_e32 v1, v7, v9
	v_mov_b32_e32 v7, s9
	v_add_co_u32_e32 v2, vcc, s8, v2
	v_addc_co_u32_e32 v3, vcc, v7, v3, vcc
	v_add_u32_e32 v0, 0x100, v0
	global_store_short v[2:3], v1, off
	s_or_b64 exec, exec, s[0:1]
	v_cmp_gt_i32_e32 vcc, s6, v0
	s_and_saveexec_b64 s[0:1], vcc
	s_cbranch_execz .LBB0_23
.LBB0_32:
	v_add_u32_e32 v2, s2, v0
	v_mov_b32_e32 v3, 0
	v_lshlrev_b64 v[2:3], 1, v[2:3]
	v_or_b32_e32 v1, v4, v9
	v_mov_b32_e32 v4, s9
	v_add_co_u32_e32 v2, vcc, s8, v2
	v_addc_co_u32_e32 v3, vcc, v4, v3, vcc
	v_add_u32_e32 v0, 0x100, v0
	global_store_short v[2:3], v1, off
	s_or_b64 exec, exec, s[0:1]
	v_cmp_gt_i32_e32 vcc, s6, v0
	s_and_saveexec_b64 s[0:1], vcc
	s_cbranch_execz .LBB0_24
.LBB0_33:
	v_add_u32_e32 v2, s2, v0
	v_mov_b32_e32 v3, 0
	v_lshlrev_b64 v[2:3], 1, v[2:3]
	v_mov_b32_e32 v4, s9
	v_add_co_u32_e32 v2, vcc, s8, v2
	v_or_b32_e32 v1, v8, v9
	v_addc_co_u32_e32 v3, vcc, v4, v3, vcc
	v_add_u32_e32 v0, 0x100, v0
	global_store_short v[2:3], v1, off
	s_or_b64 exec, exec, s[0:1]
	v_cmp_gt_i32_e32 vcc, s6, v0
	s_and_saveexec_b64 s[0:1], vcc
	s_cbranch_execz .LBB0_25
.LBB0_34:
	v_add_u32_e32 v2, s2, v0
	v_mov_b32_e32 v3, 0
	v_lshlrev_b64 v[2:3], 1, v[2:3]
	v_mov_b32_e32 v4, s9
	v_add_co_u32_e32 v2, vcc, s8, v2
	v_or_b32_e32 v1, v5, v9
	v_addc_co_u32_e32 v3, vcc, v4, v3, vcc
	v_add_u32_e32 v0, 0x100, v0
	global_store_short v[2:3], v1, off
	s_or_b64 exec, exec, s[0:1]
	v_cmp_gt_i32_e32 vcc, s6, v0
	s_and_saveexec_b64 s[0:1], vcc
	s_cbranch_execz .LBB0_26
.LBB0_35:
	v_add_u32_e32 v2, s2, v0
	v_mov_b32_e32 v3, 0
	v_lshlrev_b64 v[2:3], 1, v[2:3]
	v_mov_b32_e32 v4, s9
	v_add_co_u32_e32 v2, vcc, s8, v2
	v_or_b32_e32 v1, v10, v9
	v_addc_co_u32_e32 v3, vcc, v4, v3, vcc
	v_add_u32_e32 v0, 0x100, v0
	global_store_short v[2:3], v1, off
	s_or_b64 exec, exec, s[0:1]
	v_cmp_gt_i32_e32 vcc, s6, v0
	s_and_saveexec_b64 s[0:1], vcc
	s_cbranch_execnz .LBB0_27
	s_branch .LBB0_28
	.section	.rodata,"a",@progbits
	.p2align	6, 0x0
	.amdhsa_kernel _ZN2at6native29vectorized_elementwise_kernelILi16ENS0_13AUnaryFunctorIN3c104HalfES4_S4_ZNS0_20copysign_kernel_cudaERNS_18TensorIteratorBaseEEUlS4_S4_E_EESt5arrayIPcLm2EEEEviT0_T1_
		.amdhsa_group_segment_fixed_size 0
		.amdhsa_private_segment_fixed_size 0
		.amdhsa_kernarg_size 24
		.amdhsa_user_sgpr_count 6
		.amdhsa_user_sgpr_private_segment_buffer 1
		.amdhsa_user_sgpr_dispatch_ptr 0
		.amdhsa_user_sgpr_queue_ptr 0
		.amdhsa_user_sgpr_kernarg_segment_ptr 1
		.amdhsa_user_sgpr_dispatch_id 0
		.amdhsa_user_sgpr_flat_scratch_init 0
		.amdhsa_user_sgpr_kernarg_preload_length 0
		.amdhsa_user_sgpr_kernarg_preload_offset 0
		.amdhsa_user_sgpr_private_segment_size 0
		.amdhsa_uses_dynamic_stack 0
		.amdhsa_system_sgpr_private_segment_wavefront_offset 0
		.amdhsa_system_sgpr_workgroup_id_x 1
		.amdhsa_system_sgpr_workgroup_id_y 0
		.amdhsa_system_sgpr_workgroup_id_z 0
		.amdhsa_system_sgpr_workgroup_info 0
		.amdhsa_system_vgpr_workitem_id 0
		.amdhsa_next_free_vgpr 14
		.amdhsa_next_free_sgpr 12
		.amdhsa_accum_offset 16
		.amdhsa_reserve_vcc 1
		.amdhsa_reserve_flat_scratch 0
		.amdhsa_float_round_mode_32 0
		.amdhsa_float_round_mode_16_64 0
		.amdhsa_float_denorm_mode_32 3
		.amdhsa_float_denorm_mode_16_64 3
		.amdhsa_dx10_clamp 1
		.amdhsa_ieee_mode 1
		.amdhsa_fp16_overflow 0
		.amdhsa_tg_split 0
		.amdhsa_exception_fp_ieee_invalid_op 0
		.amdhsa_exception_fp_denorm_src 0
		.amdhsa_exception_fp_ieee_div_zero 0
		.amdhsa_exception_fp_ieee_overflow 0
		.amdhsa_exception_fp_ieee_underflow 0
		.amdhsa_exception_fp_ieee_inexact 0
		.amdhsa_exception_int_div_zero 0
	.end_amdhsa_kernel
	.section	.text._ZN2at6native29vectorized_elementwise_kernelILi16ENS0_13AUnaryFunctorIN3c104HalfES4_S4_ZNS0_20copysign_kernel_cudaERNS_18TensorIteratorBaseEEUlS4_S4_E_EESt5arrayIPcLm2EEEEviT0_T1_,"axG",@progbits,_ZN2at6native29vectorized_elementwise_kernelILi16ENS0_13AUnaryFunctorIN3c104HalfES4_S4_ZNS0_20copysign_kernel_cudaERNS_18TensorIteratorBaseEEUlS4_S4_E_EESt5arrayIPcLm2EEEEviT0_T1_,comdat
.Lfunc_end0:
	.size	_ZN2at6native29vectorized_elementwise_kernelILi16ENS0_13AUnaryFunctorIN3c104HalfES4_S4_ZNS0_20copysign_kernel_cudaERNS_18TensorIteratorBaseEEUlS4_S4_E_EESt5arrayIPcLm2EEEEviT0_T1_, .Lfunc_end0-_ZN2at6native29vectorized_elementwise_kernelILi16ENS0_13AUnaryFunctorIN3c104HalfES4_S4_ZNS0_20copysign_kernel_cudaERNS_18TensorIteratorBaseEEUlS4_S4_E_EESt5arrayIPcLm2EEEEviT0_T1_
                                        ; -- End function
	.section	.AMDGPU.csdata,"",@progbits
; Kernel info:
; codeLenInByte = 1576
; NumSgprs: 16
; NumVgprs: 14
; NumAgprs: 0
; TotalNumVgprs: 14
; ScratchSize: 0
; MemoryBound: 0
; FloatMode: 240
; IeeeMode: 1
; LDSByteSize: 0 bytes/workgroup (compile time only)
; SGPRBlocks: 1
; VGPRBlocks: 1
; NumSGPRsForWavesPerEU: 16
; NumVGPRsForWavesPerEU: 14
; AccumOffset: 16
; Occupancy: 8
; WaveLimiterHint : 0
; COMPUTE_PGM_RSRC2:SCRATCH_EN: 0
; COMPUTE_PGM_RSRC2:USER_SGPR: 6
; COMPUTE_PGM_RSRC2:TRAP_HANDLER: 0
; COMPUTE_PGM_RSRC2:TGID_X_EN: 1
; COMPUTE_PGM_RSRC2:TGID_Y_EN: 0
; COMPUTE_PGM_RSRC2:TGID_Z_EN: 0
; COMPUTE_PGM_RSRC2:TIDIG_COMP_CNT: 0
; COMPUTE_PGM_RSRC3_GFX90A:ACCUM_OFFSET: 3
; COMPUTE_PGM_RSRC3_GFX90A:TG_SPLIT: 0
	.section	.text._ZN2at6native29vectorized_elementwise_kernelILi8ENS0_13AUnaryFunctorIN3c104HalfES4_S4_ZNS0_20copysign_kernel_cudaERNS_18TensorIteratorBaseEEUlS4_S4_E_EESt5arrayIPcLm2EEEEviT0_T1_,"axG",@progbits,_ZN2at6native29vectorized_elementwise_kernelILi8ENS0_13AUnaryFunctorIN3c104HalfES4_S4_ZNS0_20copysign_kernel_cudaERNS_18TensorIteratorBaseEEUlS4_S4_E_EESt5arrayIPcLm2EEEEviT0_T1_,comdat
	.globl	_ZN2at6native29vectorized_elementwise_kernelILi8ENS0_13AUnaryFunctorIN3c104HalfES4_S4_ZNS0_20copysign_kernel_cudaERNS_18TensorIteratorBaseEEUlS4_S4_E_EESt5arrayIPcLm2EEEEviT0_T1_ ; -- Begin function _ZN2at6native29vectorized_elementwise_kernelILi8ENS0_13AUnaryFunctorIN3c104HalfES4_S4_ZNS0_20copysign_kernel_cudaERNS_18TensorIteratorBaseEEUlS4_S4_E_EESt5arrayIPcLm2EEEEviT0_T1_
	.p2align	8
	.type	_ZN2at6native29vectorized_elementwise_kernelILi8ENS0_13AUnaryFunctorIN3c104HalfES4_S4_ZNS0_20copysign_kernel_cudaERNS_18TensorIteratorBaseEEUlS4_S4_E_EESt5arrayIPcLm2EEEEviT0_T1_,@function
_ZN2at6native29vectorized_elementwise_kernelILi8ENS0_13AUnaryFunctorIN3c104HalfES4_S4_ZNS0_20copysign_kernel_cudaERNS_18TensorIteratorBaseEEUlS4_S4_E_EESt5arrayIPcLm2EEEEviT0_T1_: ; @_ZN2at6native29vectorized_elementwise_kernelILi8ENS0_13AUnaryFunctorIN3c104HalfES4_S4_ZNS0_20copysign_kernel_cudaERNS_18TensorIteratorBaseEEUlS4_S4_E_EESt5arrayIPcLm2EEEEviT0_T1_
; %bb.0:
	s_load_dwordx2 s[0:1], s[4:5], 0x0
	s_load_dwordx4 s[8:11], s[4:5], 0x8
	s_lshl_b32 s2, s6, 11
	s_waitcnt lgkmcnt(0)
	s_sub_i32 s6, s0, s2
	s_lshr_b32 s7, s1, 16
	s_cmpk_gt_i32 s6, 0x7ff
	s_mov_b64 s[0:1], -1
	s_cbranch_scc0 .LBB1_2
; %bb.1:
	s_ashr_i32 s3, s2, 31
	s_lshl_b64 s[0:1], s[2:3], 1
	s_add_u32 s4, s10, s0
	s_addc_u32 s5, s11, s1
	v_lshlrev_b32_e32 v1, 4, v0
	global_load_dwordx4 v[2:5], v1, s[4:5]
	v_mov_b32_e32 v6, 0x7fff
	s_movk_i32 s3, 0x8000
	v_and_b32_e32 v6, s7, v6
	s_mov_b32 s4, 0x5040100
	s_add_u32 s0, s8, s0
	s_addc_u32 s1, s9, s1
	s_waitcnt vmcnt(0)
	v_and_b32_sdwa v7, v3, s3 dst_sel:DWORD dst_unused:UNUSED_PAD src0_sel:WORD_1 src1_sel:DWORD
	v_and_b32_e32 v3, 0xffff8000, v3
	v_and_b32_sdwa v8, v2, s3 dst_sel:DWORD dst_unused:UNUSED_PAD src0_sel:WORD_1 src1_sel:DWORD
	v_and_b32_e32 v2, 0xffff8000, v2
	;; [unrolled: 2-line block ×4, first 2 shown]
	v_or_b32_e32 v2, v2, v6
	v_or_b32_e32 v8, v8, v6
	;; [unrolled: 1-line block ×8, first 2 shown]
	v_perm_b32 v5, v6, v5, s4
	v_perm_b32 v4, v10, v4, s4
	;; [unrolled: 1-line block ×4, first 2 shown]
	global_store_dwordx4 v1, v[2:5], s[0:1]
	s_mov_b64 s[0:1], 0
.LBB1_2:
	s_andn2_b64 vcc, exec, s[0:1]
	s_cbranch_vccnz .LBB1_28
; %bb.3:
	v_cmp_gt_i32_e32 vcc, s6, v0
	v_mov_b32_e32 v1, 0
	v_or_b32_e32 v2, s2, v0
	v_mov_b32_e32 v3, 0
	v_mov_b32_e32 v9, v0
	s_and_saveexec_b64 s[4:5], vcc
	s_cbranch_execz .LBB1_5
; %bb.4:
	v_mov_b32_e32 v3, 0
	v_lshlrev_b64 v[4:5], 1, v[2:3]
	v_mov_b32_e32 v3, s11
	v_add_co_u32_e64 v4, s[0:1], s10, v4
	v_addc_co_u32_e64 v5, s[0:1], v3, v5, s[0:1]
	global_load_ushort v3, v[4:5], off
	v_or_b32_e32 v9, 0x100, v0
	s_waitcnt vmcnt(0)
	v_and_b32_e32 v3, 0xffff8000, v3
.LBB1_5:
	s_or_b64 exec, exec, s[4:5]
	v_cmp_gt_i32_e64 s[0:1], s6, v9
	s_and_saveexec_b64 s[4:5], s[0:1]
	s_cbranch_execz .LBB1_7
; %bb.6:
	v_add_u32_e32 v4, s2, v9
	v_mov_b32_e32 v5, 0
	v_lshlrev_b64 v[4:5], 1, v[4:5]
	v_mov_b32_e32 v1, s11
	v_add_co_u32_e64 v4, s[0:1], s10, v4
	v_addc_co_u32_e64 v5, s[0:1], v1, v5, s[0:1]
	global_load_ushort v1, v[4:5], off
	v_add_u32_e32 v9, 0x100, v9
	s_waitcnt vmcnt(0)
	v_and_b32_e32 v1, 0xffff8000, v1
.LBB1_7:
	s_or_b64 exec, exec, s[4:5]
	v_cmp_gt_i32_e64 s[0:1], s6, v9
	v_mov_b32_e32 v4, 0
	v_mov_b32_e32 v7, 0
	s_and_saveexec_b64 s[4:5], s[0:1]
	s_cbranch_execz .LBB1_9
; %bb.8:
	v_add_u32_e32 v6, s2, v9
	v_mov_b32_e32 v7, 0
	v_lshlrev_b64 v[6:7], 1, v[6:7]
	v_mov_b32_e32 v5, s11
	v_add_co_u32_e64 v6, s[0:1], s10, v6
	v_addc_co_u32_e64 v7, s[0:1], v5, v7, s[0:1]
	global_load_ushort v5, v[6:7], off
	v_add_u32_e32 v9, 0x100, v9
	s_waitcnt vmcnt(0)
	v_and_b32_e32 v7, 0xffff8000, v5
.LBB1_9:
	s_or_b64 exec, exec, s[4:5]
	v_cmp_gt_i32_e64 s[0:1], s6, v9
	s_and_saveexec_b64 s[4:5], s[0:1]
	s_cbranch_execz .LBB1_11
; %bb.10:
	v_add_u32_e32 v4, s2, v9
	v_mov_b32_e32 v5, 0
	v_lshlrev_b64 v[4:5], 1, v[4:5]
	v_mov_b32_e32 v6, s11
	v_add_co_u32_e64 v4, s[0:1], s10, v4
	v_addc_co_u32_e64 v5, s[0:1], v6, v5, s[0:1]
	global_load_ushort v4, v[4:5], off
	v_add_u32_e32 v9, 0x100, v9
	s_waitcnt vmcnt(0)
	v_and_b32_e32 v4, 0xffff8000, v4
.LBB1_11:
	s_or_b64 exec, exec, s[4:5]
	v_cmp_gt_i32_e64 s[0:1], s6, v9
	v_mov_b32_e32 v5, 0
	v_mov_b32_e32 v8, 0
	s_and_saveexec_b64 s[4:5], s[0:1]
	s_cbranch_execz .LBB1_13
; %bb.12:
	v_add_u32_e32 v10, s2, v9
	v_mov_b32_e32 v11, 0
	v_lshlrev_b64 v[10:11], 1, v[10:11]
	v_mov_b32_e32 v6, s11
	v_add_co_u32_e64 v10, s[0:1], s10, v10
	v_addc_co_u32_e64 v11, s[0:1], v6, v11, s[0:1]
	global_load_ushort v6, v[10:11], off
	v_add_u32_e32 v9, 0x100, v9
	s_waitcnt vmcnt(0)
	v_and_b32_e32 v8, 0xffff8000, v6
.LBB1_13:
	;; [unrolled: 34-line block ×3, first 2 shown]
	s_or_b64 exec, exec, s[4:5]
	v_cmp_gt_i32_e64 s[0:1], s6, v9
	s_and_saveexec_b64 s[4:5], s[0:1]
	s_cbranch_execz .LBB1_19
; %bb.18:
	v_add_u32_e32 v12, s2, v9
	v_mov_b32_e32 v13, 0
	v_lshlrev_b64 v[12:13], 1, v[12:13]
	v_mov_b32_e32 v6, s11
	v_add_co_u32_e64 v12, s[0:1], s10, v12
	v_addc_co_u32_e64 v13, s[0:1], v6, v13, s[0:1]
	global_load_ushort v6, v[12:13], off
	s_waitcnt vmcnt(0)
	v_and_b32_e32 v6, 0xffff8000, v6
.LBB1_19:
	s_or_b64 exec, exec, s[4:5]
	v_mov_b32_e32 v9, 0x7fff
	v_and_b32_e32 v9, s7, v9
	s_and_saveexec_b64 s[0:1], vcc
	s_cbranch_execnz .LBB1_29
; %bb.20:
	s_or_b64 exec, exec, s[0:1]
	v_cmp_gt_i32_e32 vcc, s6, v0
	s_and_saveexec_b64 s[0:1], vcc
	s_cbranch_execnz .LBB1_30
.LBB1_21:
	s_or_b64 exec, exec, s[0:1]
	v_cmp_gt_i32_e32 vcc, s6, v0
	s_and_saveexec_b64 s[0:1], vcc
	s_cbranch_execnz .LBB1_31
.LBB1_22:
	s_or_b64 exec, exec, s[0:1]
	v_cmp_gt_i32_e32 vcc, s6, v0
	s_and_saveexec_b64 s[0:1], vcc
	s_cbranch_execnz .LBB1_32
.LBB1_23:
	s_or_b64 exec, exec, s[0:1]
	v_cmp_gt_i32_e32 vcc, s6, v0
	s_and_saveexec_b64 s[0:1], vcc
	s_cbranch_execnz .LBB1_33
.LBB1_24:
	s_or_b64 exec, exec, s[0:1]
	v_cmp_gt_i32_e32 vcc, s6, v0
	s_and_saveexec_b64 s[0:1], vcc
	s_cbranch_execnz .LBB1_34
.LBB1_25:
	s_or_b64 exec, exec, s[0:1]
	v_cmp_gt_i32_e32 vcc, s6, v0
	s_and_saveexec_b64 s[0:1], vcc
	s_cbranch_execnz .LBB1_35
.LBB1_26:
	s_or_b64 exec, exec, s[0:1]
	v_cmp_gt_i32_e32 vcc, s6, v0
	s_and_saveexec_b64 s[0:1], vcc
	s_cbranch_execz .LBB1_28
.LBB1_27:
	v_add_u32_e32 v0, s2, v0
	v_mov_b32_e32 v1, 0
	v_lshlrev_b64 v[0:1], 1, v[0:1]
	v_mov_b32_e32 v3, s9
	v_add_co_u32_e32 v0, vcc, s8, v0
	v_or_b32_e32 v2, v6, v9
	v_addc_co_u32_e32 v1, vcc, v3, v1, vcc
	global_store_short v[0:1], v2, off
.LBB1_28:
	s_endpgm
.LBB1_29:
	v_or_b32_e32 v11, v3, v9
	v_mov_b32_e32 v3, 0
	v_lshlrev_b64 v[2:3], 1, v[2:3]
	v_mov_b32_e32 v12, s9
	v_add_co_u32_e32 v2, vcc, s8, v2
	v_or_b32_e32 v0, 0x100, v0
	v_addc_co_u32_e32 v3, vcc, v12, v3, vcc
	global_store_short v[2:3], v11, off
	s_or_b64 exec, exec, s[0:1]
	v_cmp_gt_i32_e32 vcc, s6, v0
	s_and_saveexec_b64 s[0:1], vcc
	s_cbranch_execz .LBB1_21
.LBB1_30:
	v_add_u32_e32 v2, s2, v0
	v_mov_b32_e32 v3, 0
	v_lshlrev_b64 v[2:3], 1, v[2:3]
	v_mov_b32_e32 v11, s9
	v_add_co_u32_e32 v2, vcc, s8, v2
	v_or_b32_e32 v1, v1, v9
	v_addc_co_u32_e32 v3, vcc, v11, v3, vcc
	v_add_u32_e32 v0, 0x100, v0
	global_store_short v[2:3], v1, off
	s_or_b64 exec, exec, s[0:1]
	v_cmp_gt_i32_e32 vcc, s6, v0
	s_and_saveexec_b64 s[0:1], vcc
	s_cbranch_execz .LBB1_22
.LBB1_31:
	v_add_u32_e32 v2, s2, v0
	v_mov_b32_e32 v3, 0
	v_lshlrev_b64 v[2:3], 1, v[2:3]
	v_or_b32_e32 v1, v7, v9
	v_mov_b32_e32 v7, s9
	v_add_co_u32_e32 v2, vcc, s8, v2
	v_addc_co_u32_e32 v3, vcc, v7, v3, vcc
	v_add_u32_e32 v0, 0x100, v0
	global_store_short v[2:3], v1, off
	s_or_b64 exec, exec, s[0:1]
	v_cmp_gt_i32_e32 vcc, s6, v0
	s_and_saveexec_b64 s[0:1], vcc
	s_cbranch_execz .LBB1_23
.LBB1_32:
	v_add_u32_e32 v2, s2, v0
	v_mov_b32_e32 v3, 0
	v_lshlrev_b64 v[2:3], 1, v[2:3]
	v_or_b32_e32 v1, v4, v9
	v_mov_b32_e32 v4, s9
	v_add_co_u32_e32 v2, vcc, s8, v2
	v_addc_co_u32_e32 v3, vcc, v4, v3, vcc
	v_add_u32_e32 v0, 0x100, v0
	global_store_short v[2:3], v1, off
	s_or_b64 exec, exec, s[0:1]
	v_cmp_gt_i32_e32 vcc, s6, v0
	s_and_saveexec_b64 s[0:1], vcc
	s_cbranch_execz .LBB1_24
.LBB1_33:
	v_add_u32_e32 v2, s2, v0
	v_mov_b32_e32 v3, 0
	v_lshlrev_b64 v[2:3], 1, v[2:3]
	v_mov_b32_e32 v4, s9
	v_add_co_u32_e32 v2, vcc, s8, v2
	v_or_b32_e32 v1, v8, v9
	v_addc_co_u32_e32 v3, vcc, v4, v3, vcc
	v_add_u32_e32 v0, 0x100, v0
	global_store_short v[2:3], v1, off
	s_or_b64 exec, exec, s[0:1]
	v_cmp_gt_i32_e32 vcc, s6, v0
	s_and_saveexec_b64 s[0:1], vcc
	s_cbranch_execz .LBB1_25
.LBB1_34:
	v_add_u32_e32 v2, s2, v0
	v_mov_b32_e32 v3, 0
	v_lshlrev_b64 v[2:3], 1, v[2:3]
	v_mov_b32_e32 v4, s9
	v_add_co_u32_e32 v2, vcc, s8, v2
	v_or_b32_e32 v1, v5, v9
	v_addc_co_u32_e32 v3, vcc, v4, v3, vcc
	v_add_u32_e32 v0, 0x100, v0
	global_store_short v[2:3], v1, off
	s_or_b64 exec, exec, s[0:1]
	v_cmp_gt_i32_e32 vcc, s6, v0
	s_and_saveexec_b64 s[0:1], vcc
	s_cbranch_execz .LBB1_26
.LBB1_35:
	v_add_u32_e32 v2, s2, v0
	v_mov_b32_e32 v3, 0
	v_lshlrev_b64 v[2:3], 1, v[2:3]
	v_mov_b32_e32 v4, s9
	v_add_co_u32_e32 v2, vcc, s8, v2
	v_or_b32_e32 v1, v10, v9
	v_addc_co_u32_e32 v3, vcc, v4, v3, vcc
	v_add_u32_e32 v0, 0x100, v0
	global_store_short v[2:3], v1, off
	s_or_b64 exec, exec, s[0:1]
	v_cmp_gt_i32_e32 vcc, s6, v0
	s_and_saveexec_b64 s[0:1], vcc
	s_cbranch_execnz .LBB1_27
	s_branch .LBB1_28
	.section	.rodata,"a",@progbits
	.p2align	6, 0x0
	.amdhsa_kernel _ZN2at6native29vectorized_elementwise_kernelILi8ENS0_13AUnaryFunctorIN3c104HalfES4_S4_ZNS0_20copysign_kernel_cudaERNS_18TensorIteratorBaseEEUlS4_S4_E_EESt5arrayIPcLm2EEEEviT0_T1_
		.amdhsa_group_segment_fixed_size 0
		.amdhsa_private_segment_fixed_size 0
		.amdhsa_kernarg_size 24
		.amdhsa_user_sgpr_count 6
		.amdhsa_user_sgpr_private_segment_buffer 1
		.amdhsa_user_sgpr_dispatch_ptr 0
		.amdhsa_user_sgpr_queue_ptr 0
		.amdhsa_user_sgpr_kernarg_segment_ptr 1
		.amdhsa_user_sgpr_dispatch_id 0
		.amdhsa_user_sgpr_flat_scratch_init 0
		.amdhsa_user_sgpr_kernarg_preload_length 0
		.amdhsa_user_sgpr_kernarg_preload_offset 0
		.amdhsa_user_sgpr_private_segment_size 0
		.amdhsa_uses_dynamic_stack 0
		.amdhsa_system_sgpr_private_segment_wavefront_offset 0
		.amdhsa_system_sgpr_workgroup_id_x 1
		.amdhsa_system_sgpr_workgroup_id_y 0
		.amdhsa_system_sgpr_workgroup_id_z 0
		.amdhsa_system_sgpr_workgroup_info 0
		.amdhsa_system_vgpr_workitem_id 0
		.amdhsa_next_free_vgpr 14
		.amdhsa_next_free_sgpr 12
		.amdhsa_accum_offset 16
		.amdhsa_reserve_vcc 1
		.amdhsa_reserve_flat_scratch 0
		.amdhsa_float_round_mode_32 0
		.amdhsa_float_round_mode_16_64 0
		.amdhsa_float_denorm_mode_32 3
		.amdhsa_float_denorm_mode_16_64 3
		.amdhsa_dx10_clamp 1
		.amdhsa_ieee_mode 1
		.amdhsa_fp16_overflow 0
		.amdhsa_tg_split 0
		.amdhsa_exception_fp_ieee_invalid_op 0
		.amdhsa_exception_fp_denorm_src 0
		.amdhsa_exception_fp_ieee_div_zero 0
		.amdhsa_exception_fp_ieee_overflow 0
		.amdhsa_exception_fp_ieee_underflow 0
		.amdhsa_exception_fp_ieee_inexact 0
		.amdhsa_exception_int_div_zero 0
	.end_amdhsa_kernel
	.section	.text._ZN2at6native29vectorized_elementwise_kernelILi8ENS0_13AUnaryFunctorIN3c104HalfES4_S4_ZNS0_20copysign_kernel_cudaERNS_18TensorIteratorBaseEEUlS4_S4_E_EESt5arrayIPcLm2EEEEviT0_T1_,"axG",@progbits,_ZN2at6native29vectorized_elementwise_kernelILi8ENS0_13AUnaryFunctorIN3c104HalfES4_S4_ZNS0_20copysign_kernel_cudaERNS_18TensorIteratorBaseEEUlS4_S4_E_EESt5arrayIPcLm2EEEEviT0_T1_,comdat
.Lfunc_end1:
	.size	_ZN2at6native29vectorized_elementwise_kernelILi8ENS0_13AUnaryFunctorIN3c104HalfES4_S4_ZNS0_20copysign_kernel_cudaERNS_18TensorIteratorBaseEEUlS4_S4_E_EESt5arrayIPcLm2EEEEviT0_T1_, .Lfunc_end1-_ZN2at6native29vectorized_elementwise_kernelILi8ENS0_13AUnaryFunctorIN3c104HalfES4_S4_ZNS0_20copysign_kernel_cudaERNS_18TensorIteratorBaseEEUlS4_S4_E_EESt5arrayIPcLm2EEEEviT0_T1_
                                        ; -- End function
	.section	.AMDGPU.csdata,"",@progbits
; Kernel info:
; codeLenInByte = 1576
; NumSgprs: 16
; NumVgprs: 14
; NumAgprs: 0
; TotalNumVgprs: 14
; ScratchSize: 0
; MemoryBound: 0
; FloatMode: 240
; IeeeMode: 1
; LDSByteSize: 0 bytes/workgroup (compile time only)
; SGPRBlocks: 1
; VGPRBlocks: 1
; NumSGPRsForWavesPerEU: 16
; NumVGPRsForWavesPerEU: 14
; AccumOffset: 16
; Occupancy: 8
; WaveLimiterHint : 0
; COMPUTE_PGM_RSRC2:SCRATCH_EN: 0
; COMPUTE_PGM_RSRC2:USER_SGPR: 6
; COMPUTE_PGM_RSRC2:TRAP_HANDLER: 0
; COMPUTE_PGM_RSRC2:TGID_X_EN: 1
; COMPUTE_PGM_RSRC2:TGID_Y_EN: 0
; COMPUTE_PGM_RSRC2:TGID_Z_EN: 0
; COMPUTE_PGM_RSRC2:TIDIG_COMP_CNT: 0
; COMPUTE_PGM_RSRC3_GFX90A:ACCUM_OFFSET: 3
; COMPUTE_PGM_RSRC3_GFX90A:TG_SPLIT: 0
	.section	.text._ZN2at6native29vectorized_elementwise_kernelILi4ENS0_13AUnaryFunctorIN3c104HalfES4_S4_ZNS0_20copysign_kernel_cudaERNS_18TensorIteratorBaseEEUlS4_S4_E_EESt5arrayIPcLm2EEEEviT0_T1_,"axG",@progbits,_ZN2at6native29vectorized_elementwise_kernelILi4ENS0_13AUnaryFunctorIN3c104HalfES4_S4_ZNS0_20copysign_kernel_cudaERNS_18TensorIteratorBaseEEUlS4_S4_E_EESt5arrayIPcLm2EEEEviT0_T1_,comdat
	.globl	_ZN2at6native29vectorized_elementwise_kernelILi4ENS0_13AUnaryFunctorIN3c104HalfES4_S4_ZNS0_20copysign_kernel_cudaERNS_18TensorIteratorBaseEEUlS4_S4_E_EESt5arrayIPcLm2EEEEviT0_T1_ ; -- Begin function _ZN2at6native29vectorized_elementwise_kernelILi4ENS0_13AUnaryFunctorIN3c104HalfES4_S4_ZNS0_20copysign_kernel_cudaERNS_18TensorIteratorBaseEEUlS4_S4_E_EESt5arrayIPcLm2EEEEviT0_T1_
	.p2align	8
	.type	_ZN2at6native29vectorized_elementwise_kernelILi4ENS0_13AUnaryFunctorIN3c104HalfES4_S4_ZNS0_20copysign_kernel_cudaERNS_18TensorIteratorBaseEEUlS4_S4_E_EESt5arrayIPcLm2EEEEviT0_T1_,@function
_ZN2at6native29vectorized_elementwise_kernelILi4ENS0_13AUnaryFunctorIN3c104HalfES4_S4_ZNS0_20copysign_kernel_cudaERNS_18TensorIteratorBaseEEUlS4_S4_E_EESt5arrayIPcLm2EEEEviT0_T1_: ; @_ZN2at6native29vectorized_elementwise_kernelILi4ENS0_13AUnaryFunctorIN3c104HalfES4_S4_ZNS0_20copysign_kernel_cudaERNS_18TensorIteratorBaseEEUlS4_S4_E_EESt5arrayIPcLm2EEEEviT0_T1_
; %bb.0:
	s_load_dwordx2 s[0:1], s[4:5], 0x0
	s_load_dwordx4 s[8:11], s[4:5], 0x8
	s_lshl_b32 s2, s6, 11
	s_waitcnt lgkmcnt(0)
	s_sub_i32 s6, s0, s2
	s_lshr_b32 s7, s1, 16
	s_cmpk_gt_i32 s6, 0x7ff
	s_mov_b64 s[0:1], -1
	s_cbranch_scc0 .LBB2_2
; %bb.1:
	s_ashr_i32 s3, s2, 31
	s_lshl_b64 s[0:1], s[2:3], 1
	s_add_u32 s4, s10, s0
	s_addc_u32 s5, s11, s1
	v_lshlrev_b32_e32 v1, 3, v0
	global_load_dwordx2 v[2:3], v1, s[4:5]
	global_load_dwordx2 v[4:5], v1, s[4:5] offset:2048
	v_mov_b32_e32 v6, 0x7fff
	s_movk_i32 s3, 0x8000
	v_and_b32_e32 v6, s7, v6
	s_add_u32 s0, s8, s0
	s_addc_u32 s1, s9, s1
	s_waitcnt vmcnt(1)
	v_and_b32_e32 v7, 0xffff8000, v2
	v_and_b32_sdwa v2, v2, s3 dst_sel:DWORD dst_unused:UNUSED_PAD src0_sel:WORD_1 src1_sel:DWORD
	v_and_b32_e32 v8, 0xffff8000, v3
	s_waitcnt vmcnt(0)
	v_and_b32_e32 v9, 0xffff8000, v4
	v_or_b32_e32 v7, v7, v6
	v_and_b32_sdwa v3, v3, s3 dst_sel:DWORD dst_unused:UNUSED_PAD src0_sel:WORD_1 src1_sel:DWORD
	v_and_b32_sdwa v4, v4, s3 dst_sel:DWORD dst_unused:UNUSED_PAD src0_sel:WORD_1 src1_sel:DWORD
	v_and_b32_e32 v10, 0xffff8000, v5
	v_and_b32_sdwa v5, v5, s3 dst_sel:DWORD dst_unused:UNUSED_PAD src0_sel:WORD_1 src1_sel:DWORD
	v_or_b32_sdwa v2, v2, v6 dst_sel:WORD_1 dst_unused:UNUSED_PAD src0_sel:DWORD src1_sel:DWORD
	v_or_b32_e32 v8, v8, v6
	v_or_b32_e32 v9, v9, v6
	v_and_b32_e32 v7, 0xffff, v7
	v_or_b32_sdwa v3, v3, v6 dst_sel:WORD_1 dst_unused:UNUSED_PAD src0_sel:DWORD src1_sel:DWORD
	v_or_b32_sdwa v4, v4, v6 dst_sel:WORD_1 dst_unused:UNUSED_PAD src0_sel:DWORD src1_sel:DWORD
	v_or_b32_e32 v10, v10, v6
	v_or_b32_sdwa v5, v5, v6 dst_sel:WORD_1 dst_unused:UNUSED_PAD src0_sel:DWORD src1_sel:DWORD
	v_and_b32_e32 v6, 0xffff, v8
	v_and_b32_e32 v9, 0xffff, v9
	v_or_b32_e32 v2, v2, v7
	v_and_b32_e32 v8, 0xffff, v10
	v_or3_b32 v3, 0, v6, v3
	v_or_b32_e32 v4, v4, v9
	v_or3_b32 v2, v2, 0, 0
	v_or3_b32 v5, 0, v8, v5
	;; [unrolled: 1-line block ×3, first 2 shown]
	global_store_dwordx2 v1, v[2:3], s[0:1]
	global_store_dwordx2 v1, v[4:5], s[0:1] offset:2048
	s_mov_b64 s[0:1], 0
.LBB2_2:
	s_andn2_b64 vcc, exec, s[0:1]
	s_cbranch_vccnz .LBB2_28
; %bb.3:
	v_cmp_gt_i32_e32 vcc, s6, v0
	v_mov_b32_e32 v1, 0
	v_or_b32_e32 v2, s2, v0
	v_mov_b32_e32 v3, 0
	v_mov_b32_e32 v9, v0
	s_and_saveexec_b64 s[4:5], vcc
	s_cbranch_execz .LBB2_5
; %bb.4:
	v_mov_b32_e32 v3, 0
	v_lshlrev_b64 v[4:5], 1, v[2:3]
	v_mov_b32_e32 v3, s11
	v_add_co_u32_e64 v4, s[0:1], s10, v4
	v_addc_co_u32_e64 v5, s[0:1], v3, v5, s[0:1]
	global_load_ushort v3, v[4:5], off
	v_or_b32_e32 v9, 0x100, v0
	s_waitcnt vmcnt(0)
	v_and_b32_e32 v3, 0xffff8000, v3
.LBB2_5:
	s_or_b64 exec, exec, s[4:5]
	v_cmp_gt_i32_e64 s[0:1], s6, v9
	s_and_saveexec_b64 s[4:5], s[0:1]
	s_cbranch_execz .LBB2_7
; %bb.6:
	v_add_u32_e32 v4, s2, v9
	v_mov_b32_e32 v5, 0
	v_lshlrev_b64 v[4:5], 1, v[4:5]
	v_mov_b32_e32 v1, s11
	v_add_co_u32_e64 v4, s[0:1], s10, v4
	v_addc_co_u32_e64 v5, s[0:1], v1, v5, s[0:1]
	global_load_ushort v1, v[4:5], off
	v_add_u32_e32 v9, 0x100, v9
	s_waitcnt vmcnt(0)
	v_and_b32_e32 v1, 0xffff8000, v1
.LBB2_7:
	s_or_b64 exec, exec, s[4:5]
	v_cmp_gt_i32_e64 s[0:1], s6, v9
	v_mov_b32_e32 v4, 0
	v_mov_b32_e32 v7, 0
	s_and_saveexec_b64 s[4:5], s[0:1]
	s_cbranch_execz .LBB2_9
; %bb.8:
	v_add_u32_e32 v6, s2, v9
	v_mov_b32_e32 v7, 0
	v_lshlrev_b64 v[6:7], 1, v[6:7]
	v_mov_b32_e32 v5, s11
	v_add_co_u32_e64 v6, s[0:1], s10, v6
	v_addc_co_u32_e64 v7, s[0:1], v5, v7, s[0:1]
	global_load_ushort v5, v[6:7], off
	v_add_u32_e32 v9, 0x100, v9
	s_waitcnt vmcnt(0)
	v_and_b32_e32 v7, 0xffff8000, v5
.LBB2_9:
	s_or_b64 exec, exec, s[4:5]
	v_cmp_gt_i32_e64 s[0:1], s6, v9
	s_and_saveexec_b64 s[4:5], s[0:1]
	s_cbranch_execz .LBB2_11
; %bb.10:
	v_add_u32_e32 v4, s2, v9
	v_mov_b32_e32 v5, 0
	v_lshlrev_b64 v[4:5], 1, v[4:5]
	v_mov_b32_e32 v6, s11
	v_add_co_u32_e64 v4, s[0:1], s10, v4
	v_addc_co_u32_e64 v5, s[0:1], v6, v5, s[0:1]
	global_load_ushort v4, v[4:5], off
	v_add_u32_e32 v9, 0x100, v9
	s_waitcnt vmcnt(0)
	v_and_b32_e32 v4, 0xffff8000, v4
.LBB2_11:
	s_or_b64 exec, exec, s[4:5]
	v_cmp_gt_i32_e64 s[0:1], s6, v9
	v_mov_b32_e32 v5, 0
	v_mov_b32_e32 v8, 0
	s_and_saveexec_b64 s[4:5], s[0:1]
	s_cbranch_execz .LBB2_13
; %bb.12:
	v_add_u32_e32 v10, s2, v9
	v_mov_b32_e32 v11, 0
	v_lshlrev_b64 v[10:11], 1, v[10:11]
	v_mov_b32_e32 v6, s11
	v_add_co_u32_e64 v10, s[0:1], s10, v10
	v_addc_co_u32_e64 v11, s[0:1], v6, v11, s[0:1]
	global_load_ushort v6, v[10:11], off
	v_add_u32_e32 v9, 0x100, v9
	s_waitcnt vmcnt(0)
	v_and_b32_e32 v8, 0xffff8000, v6
.LBB2_13:
	;; [unrolled: 34-line block ×3, first 2 shown]
	s_or_b64 exec, exec, s[4:5]
	v_cmp_gt_i32_e64 s[0:1], s6, v9
	s_and_saveexec_b64 s[4:5], s[0:1]
	s_cbranch_execz .LBB2_19
; %bb.18:
	v_add_u32_e32 v12, s2, v9
	v_mov_b32_e32 v13, 0
	v_lshlrev_b64 v[12:13], 1, v[12:13]
	v_mov_b32_e32 v6, s11
	v_add_co_u32_e64 v12, s[0:1], s10, v12
	v_addc_co_u32_e64 v13, s[0:1], v6, v13, s[0:1]
	global_load_ushort v6, v[12:13], off
	s_waitcnt vmcnt(0)
	v_and_b32_e32 v6, 0xffff8000, v6
.LBB2_19:
	s_or_b64 exec, exec, s[4:5]
	v_mov_b32_e32 v9, 0x7fff
	v_and_b32_e32 v9, s7, v9
	s_and_saveexec_b64 s[0:1], vcc
	s_cbranch_execnz .LBB2_29
; %bb.20:
	s_or_b64 exec, exec, s[0:1]
	v_cmp_gt_i32_e32 vcc, s6, v0
	s_and_saveexec_b64 s[0:1], vcc
	s_cbranch_execnz .LBB2_30
.LBB2_21:
	s_or_b64 exec, exec, s[0:1]
	v_cmp_gt_i32_e32 vcc, s6, v0
	s_and_saveexec_b64 s[0:1], vcc
	s_cbranch_execnz .LBB2_31
.LBB2_22:
	s_or_b64 exec, exec, s[0:1]
	v_cmp_gt_i32_e32 vcc, s6, v0
	s_and_saveexec_b64 s[0:1], vcc
	s_cbranch_execnz .LBB2_32
.LBB2_23:
	s_or_b64 exec, exec, s[0:1]
	v_cmp_gt_i32_e32 vcc, s6, v0
	s_and_saveexec_b64 s[0:1], vcc
	s_cbranch_execnz .LBB2_33
.LBB2_24:
	s_or_b64 exec, exec, s[0:1]
	v_cmp_gt_i32_e32 vcc, s6, v0
	s_and_saveexec_b64 s[0:1], vcc
	s_cbranch_execnz .LBB2_34
.LBB2_25:
	s_or_b64 exec, exec, s[0:1]
	v_cmp_gt_i32_e32 vcc, s6, v0
	s_and_saveexec_b64 s[0:1], vcc
	s_cbranch_execnz .LBB2_35
.LBB2_26:
	s_or_b64 exec, exec, s[0:1]
	v_cmp_gt_i32_e32 vcc, s6, v0
	s_and_saveexec_b64 s[0:1], vcc
	s_cbranch_execz .LBB2_28
.LBB2_27:
	v_add_u32_e32 v0, s2, v0
	v_mov_b32_e32 v1, 0
	v_lshlrev_b64 v[0:1], 1, v[0:1]
	v_mov_b32_e32 v3, s9
	v_add_co_u32_e32 v0, vcc, s8, v0
	v_or_b32_e32 v2, v6, v9
	v_addc_co_u32_e32 v1, vcc, v3, v1, vcc
	global_store_short v[0:1], v2, off
.LBB2_28:
	s_endpgm
.LBB2_29:
	v_or_b32_e32 v11, v3, v9
	v_mov_b32_e32 v3, 0
	v_lshlrev_b64 v[2:3], 1, v[2:3]
	v_mov_b32_e32 v12, s9
	v_add_co_u32_e32 v2, vcc, s8, v2
	v_or_b32_e32 v0, 0x100, v0
	v_addc_co_u32_e32 v3, vcc, v12, v3, vcc
	global_store_short v[2:3], v11, off
	s_or_b64 exec, exec, s[0:1]
	v_cmp_gt_i32_e32 vcc, s6, v0
	s_and_saveexec_b64 s[0:1], vcc
	s_cbranch_execz .LBB2_21
.LBB2_30:
	v_add_u32_e32 v2, s2, v0
	v_mov_b32_e32 v3, 0
	v_lshlrev_b64 v[2:3], 1, v[2:3]
	v_mov_b32_e32 v11, s9
	v_add_co_u32_e32 v2, vcc, s8, v2
	v_or_b32_e32 v1, v1, v9
	v_addc_co_u32_e32 v3, vcc, v11, v3, vcc
	v_add_u32_e32 v0, 0x100, v0
	global_store_short v[2:3], v1, off
	s_or_b64 exec, exec, s[0:1]
	v_cmp_gt_i32_e32 vcc, s6, v0
	s_and_saveexec_b64 s[0:1], vcc
	s_cbranch_execz .LBB2_22
.LBB2_31:
	v_add_u32_e32 v2, s2, v0
	v_mov_b32_e32 v3, 0
	v_lshlrev_b64 v[2:3], 1, v[2:3]
	v_or_b32_e32 v1, v7, v9
	v_mov_b32_e32 v7, s9
	v_add_co_u32_e32 v2, vcc, s8, v2
	v_addc_co_u32_e32 v3, vcc, v7, v3, vcc
	v_add_u32_e32 v0, 0x100, v0
	global_store_short v[2:3], v1, off
	s_or_b64 exec, exec, s[0:1]
	v_cmp_gt_i32_e32 vcc, s6, v0
	s_and_saveexec_b64 s[0:1], vcc
	s_cbranch_execz .LBB2_23
.LBB2_32:
	v_add_u32_e32 v2, s2, v0
	v_mov_b32_e32 v3, 0
	v_lshlrev_b64 v[2:3], 1, v[2:3]
	v_or_b32_e32 v1, v4, v9
	v_mov_b32_e32 v4, s9
	v_add_co_u32_e32 v2, vcc, s8, v2
	v_addc_co_u32_e32 v3, vcc, v4, v3, vcc
	v_add_u32_e32 v0, 0x100, v0
	global_store_short v[2:3], v1, off
	s_or_b64 exec, exec, s[0:1]
	v_cmp_gt_i32_e32 vcc, s6, v0
	s_and_saveexec_b64 s[0:1], vcc
	s_cbranch_execz .LBB2_24
.LBB2_33:
	v_add_u32_e32 v2, s2, v0
	v_mov_b32_e32 v3, 0
	v_lshlrev_b64 v[2:3], 1, v[2:3]
	v_mov_b32_e32 v4, s9
	v_add_co_u32_e32 v2, vcc, s8, v2
	v_or_b32_e32 v1, v8, v9
	v_addc_co_u32_e32 v3, vcc, v4, v3, vcc
	v_add_u32_e32 v0, 0x100, v0
	global_store_short v[2:3], v1, off
	s_or_b64 exec, exec, s[0:1]
	v_cmp_gt_i32_e32 vcc, s6, v0
	s_and_saveexec_b64 s[0:1], vcc
	s_cbranch_execz .LBB2_25
.LBB2_34:
	v_add_u32_e32 v2, s2, v0
	v_mov_b32_e32 v3, 0
	v_lshlrev_b64 v[2:3], 1, v[2:3]
	v_mov_b32_e32 v4, s9
	v_add_co_u32_e32 v2, vcc, s8, v2
	v_or_b32_e32 v1, v5, v9
	v_addc_co_u32_e32 v3, vcc, v4, v3, vcc
	v_add_u32_e32 v0, 0x100, v0
	global_store_short v[2:3], v1, off
	s_or_b64 exec, exec, s[0:1]
	v_cmp_gt_i32_e32 vcc, s6, v0
	s_and_saveexec_b64 s[0:1], vcc
	s_cbranch_execz .LBB2_26
.LBB2_35:
	v_add_u32_e32 v2, s2, v0
	v_mov_b32_e32 v3, 0
	v_lshlrev_b64 v[2:3], 1, v[2:3]
	v_mov_b32_e32 v4, s9
	v_add_co_u32_e32 v2, vcc, s8, v2
	v_or_b32_e32 v1, v10, v9
	v_addc_co_u32_e32 v3, vcc, v4, v3, vcc
	v_add_u32_e32 v0, 0x100, v0
	global_store_short v[2:3], v1, off
	s_or_b64 exec, exec, s[0:1]
	v_cmp_gt_i32_e32 vcc, s6, v0
	s_and_saveexec_b64 s[0:1], vcc
	s_cbranch_execnz .LBB2_27
	s_branch .LBB2_28
	.section	.rodata,"a",@progbits
	.p2align	6, 0x0
	.amdhsa_kernel _ZN2at6native29vectorized_elementwise_kernelILi4ENS0_13AUnaryFunctorIN3c104HalfES4_S4_ZNS0_20copysign_kernel_cudaERNS_18TensorIteratorBaseEEUlS4_S4_E_EESt5arrayIPcLm2EEEEviT0_T1_
		.amdhsa_group_segment_fixed_size 0
		.amdhsa_private_segment_fixed_size 0
		.amdhsa_kernarg_size 24
		.amdhsa_user_sgpr_count 6
		.amdhsa_user_sgpr_private_segment_buffer 1
		.amdhsa_user_sgpr_dispatch_ptr 0
		.amdhsa_user_sgpr_queue_ptr 0
		.amdhsa_user_sgpr_kernarg_segment_ptr 1
		.amdhsa_user_sgpr_dispatch_id 0
		.amdhsa_user_sgpr_flat_scratch_init 0
		.amdhsa_user_sgpr_kernarg_preload_length 0
		.amdhsa_user_sgpr_kernarg_preload_offset 0
		.amdhsa_user_sgpr_private_segment_size 0
		.amdhsa_uses_dynamic_stack 0
		.amdhsa_system_sgpr_private_segment_wavefront_offset 0
		.amdhsa_system_sgpr_workgroup_id_x 1
		.amdhsa_system_sgpr_workgroup_id_y 0
		.amdhsa_system_sgpr_workgroup_id_z 0
		.amdhsa_system_sgpr_workgroup_info 0
		.amdhsa_system_vgpr_workitem_id 0
		.amdhsa_next_free_vgpr 14
		.amdhsa_next_free_sgpr 12
		.amdhsa_accum_offset 16
		.amdhsa_reserve_vcc 1
		.amdhsa_reserve_flat_scratch 0
		.amdhsa_float_round_mode_32 0
		.amdhsa_float_round_mode_16_64 0
		.amdhsa_float_denorm_mode_32 3
		.amdhsa_float_denorm_mode_16_64 3
		.amdhsa_dx10_clamp 1
		.amdhsa_ieee_mode 1
		.amdhsa_fp16_overflow 0
		.amdhsa_tg_split 0
		.amdhsa_exception_fp_ieee_invalid_op 0
		.amdhsa_exception_fp_denorm_src 0
		.amdhsa_exception_fp_ieee_div_zero 0
		.amdhsa_exception_fp_ieee_overflow 0
		.amdhsa_exception_fp_ieee_underflow 0
		.amdhsa_exception_fp_ieee_inexact 0
		.amdhsa_exception_int_div_zero 0
	.end_amdhsa_kernel
	.section	.text._ZN2at6native29vectorized_elementwise_kernelILi4ENS0_13AUnaryFunctorIN3c104HalfES4_S4_ZNS0_20copysign_kernel_cudaERNS_18TensorIteratorBaseEEUlS4_S4_E_EESt5arrayIPcLm2EEEEviT0_T1_,"axG",@progbits,_ZN2at6native29vectorized_elementwise_kernelILi4ENS0_13AUnaryFunctorIN3c104HalfES4_S4_ZNS0_20copysign_kernel_cudaERNS_18TensorIteratorBaseEEUlS4_S4_E_EESt5arrayIPcLm2EEEEviT0_T1_,comdat
.Lfunc_end2:
	.size	_ZN2at6native29vectorized_elementwise_kernelILi4ENS0_13AUnaryFunctorIN3c104HalfES4_S4_ZNS0_20copysign_kernel_cudaERNS_18TensorIteratorBaseEEUlS4_S4_E_EESt5arrayIPcLm2EEEEviT0_T1_, .Lfunc_end2-_ZN2at6native29vectorized_elementwise_kernelILi4ENS0_13AUnaryFunctorIN3c104HalfES4_S4_ZNS0_20copysign_kernel_cudaERNS_18TensorIteratorBaseEEUlS4_S4_E_EESt5arrayIPcLm2EEEEviT0_T1_
                                        ; -- End function
	.section	.AMDGPU.csdata,"",@progbits
; Kernel info:
; codeLenInByte = 1644
; NumSgprs: 16
; NumVgprs: 14
; NumAgprs: 0
; TotalNumVgprs: 14
; ScratchSize: 0
; MemoryBound: 0
; FloatMode: 240
; IeeeMode: 1
; LDSByteSize: 0 bytes/workgroup (compile time only)
; SGPRBlocks: 1
; VGPRBlocks: 1
; NumSGPRsForWavesPerEU: 16
; NumVGPRsForWavesPerEU: 14
; AccumOffset: 16
; Occupancy: 8
; WaveLimiterHint : 1
; COMPUTE_PGM_RSRC2:SCRATCH_EN: 0
; COMPUTE_PGM_RSRC2:USER_SGPR: 6
; COMPUTE_PGM_RSRC2:TRAP_HANDLER: 0
; COMPUTE_PGM_RSRC2:TGID_X_EN: 1
; COMPUTE_PGM_RSRC2:TGID_Y_EN: 0
; COMPUTE_PGM_RSRC2:TGID_Z_EN: 0
; COMPUTE_PGM_RSRC2:TIDIG_COMP_CNT: 0
; COMPUTE_PGM_RSRC3_GFX90A:ACCUM_OFFSET: 3
; COMPUTE_PGM_RSRC3_GFX90A:TG_SPLIT: 0
	.section	.text._ZN2at6native29vectorized_elementwise_kernelILi2ENS0_13AUnaryFunctorIN3c104HalfES4_S4_ZNS0_20copysign_kernel_cudaERNS_18TensorIteratorBaseEEUlS4_S4_E_EESt5arrayIPcLm2EEEEviT0_T1_,"axG",@progbits,_ZN2at6native29vectorized_elementwise_kernelILi2ENS0_13AUnaryFunctorIN3c104HalfES4_S4_ZNS0_20copysign_kernel_cudaERNS_18TensorIteratorBaseEEUlS4_S4_E_EESt5arrayIPcLm2EEEEviT0_T1_,comdat
	.globl	_ZN2at6native29vectorized_elementwise_kernelILi2ENS0_13AUnaryFunctorIN3c104HalfES4_S4_ZNS0_20copysign_kernel_cudaERNS_18TensorIteratorBaseEEUlS4_S4_E_EESt5arrayIPcLm2EEEEviT0_T1_ ; -- Begin function _ZN2at6native29vectorized_elementwise_kernelILi2ENS0_13AUnaryFunctorIN3c104HalfES4_S4_ZNS0_20copysign_kernel_cudaERNS_18TensorIteratorBaseEEUlS4_S4_E_EESt5arrayIPcLm2EEEEviT0_T1_
	.p2align	8
	.type	_ZN2at6native29vectorized_elementwise_kernelILi2ENS0_13AUnaryFunctorIN3c104HalfES4_S4_ZNS0_20copysign_kernel_cudaERNS_18TensorIteratorBaseEEUlS4_S4_E_EESt5arrayIPcLm2EEEEviT0_T1_,@function
_ZN2at6native29vectorized_elementwise_kernelILi2ENS0_13AUnaryFunctorIN3c104HalfES4_S4_ZNS0_20copysign_kernel_cudaERNS_18TensorIteratorBaseEEUlS4_S4_E_EESt5arrayIPcLm2EEEEviT0_T1_: ; @_ZN2at6native29vectorized_elementwise_kernelILi2ENS0_13AUnaryFunctorIN3c104HalfES4_S4_ZNS0_20copysign_kernel_cudaERNS_18TensorIteratorBaseEEUlS4_S4_E_EESt5arrayIPcLm2EEEEviT0_T1_
; %bb.0:
	s_load_dwordx2 s[0:1], s[4:5], 0x0
	s_load_dwordx4 s[8:11], s[4:5], 0x8
	s_lshl_b32 s2, s6, 11
	s_waitcnt lgkmcnt(0)
	s_sub_i32 s6, s0, s2
	s_lshr_b32 s7, s1, 16
	s_cmpk_gt_i32 s6, 0x7ff
	s_mov_b64 s[0:1], -1
	s_cbranch_scc0 .LBB3_2
; %bb.1:
	s_ashr_i32 s3, s2, 31
	s_lshl_b64 s[0:1], s[2:3], 1
	s_add_u32 s4, s10, s0
	s_addc_u32 s5, s11, s1
	v_lshlrev_b32_e32 v1, 2, v0
	global_load_dword v2, v1, s[4:5]
	global_load_dword v3, v1, s[4:5] offset:1024
	global_load_dword v4, v1, s[4:5] offset:2048
	;; [unrolled: 1-line block ×3, first 2 shown]
	v_mov_b32_e32 v6, 0x7fff
	s_movk_i32 s3, 0x8000
	v_and_b32_e32 v6, s7, v6
	s_add_u32 s0, s8, s0
	s_addc_u32 s1, s9, s1
	s_waitcnt vmcnt(3)
	v_and_b32_e32 v7, 0xffff8000, v2
	v_and_b32_sdwa v2, v2, s3 dst_sel:DWORD dst_unused:UNUSED_PAD src0_sel:WORD_1 src1_sel:DWORD
	s_waitcnt vmcnt(2)
	v_and_b32_e32 v8, 0xffff8000, v3
	v_and_b32_sdwa v3, v3, s3 dst_sel:DWORD dst_unused:UNUSED_PAD src0_sel:WORD_1 src1_sel:DWORD
	;; [unrolled: 3-line block ×4, first 2 shown]
	v_or_b32_e32 v7, v7, v6
	v_or_b32_sdwa v2, v2, v6 dst_sel:WORD_1 dst_unused:UNUSED_PAD src0_sel:DWORD src1_sel:DWORD
	v_or_b32_e32 v8, v8, v6
	v_or_b32_sdwa v3, v3, v6 dst_sel:WORD_1 dst_unused:UNUSED_PAD src0_sel:DWORD src1_sel:DWORD
	;; [unrolled: 2-line block ×4, first 2 shown]
	v_or_b32_sdwa v2, v2, v7 dst_sel:DWORD dst_unused:UNUSED_PAD src0_sel:DWORD src1_sel:WORD_0
	v_or_b32_sdwa v3, v3, v8 dst_sel:DWORD dst_unused:UNUSED_PAD src0_sel:DWORD src1_sel:WORD_0
	;; [unrolled: 1-line block ×4, first 2 shown]
	global_store_dword v1, v2, s[0:1]
	global_store_dword v1, v3, s[0:1] offset:1024
	global_store_dword v1, v4, s[0:1] offset:2048
	;; [unrolled: 1-line block ×3, first 2 shown]
	s_mov_b64 s[0:1], 0
.LBB3_2:
	s_andn2_b64 vcc, exec, s[0:1]
	s_cbranch_vccnz .LBB3_28
; %bb.3:
	v_cmp_gt_i32_e32 vcc, s6, v0
	v_mov_b32_e32 v1, 0
	v_or_b32_e32 v2, s2, v0
	v_mov_b32_e32 v3, 0
	v_mov_b32_e32 v9, v0
	s_and_saveexec_b64 s[4:5], vcc
	s_cbranch_execz .LBB3_5
; %bb.4:
	v_mov_b32_e32 v3, 0
	v_lshlrev_b64 v[4:5], 1, v[2:3]
	v_mov_b32_e32 v3, s11
	v_add_co_u32_e64 v4, s[0:1], s10, v4
	v_addc_co_u32_e64 v5, s[0:1], v3, v5, s[0:1]
	global_load_ushort v3, v[4:5], off
	v_or_b32_e32 v9, 0x100, v0
	s_waitcnt vmcnt(0)
	v_and_b32_e32 v3, 0xffff8000, v3
.LBB3_5:
	s_or_b64 exec, exec, s[4:5]
	v_cmp_gt_i32_e64 s[0:1], s6, v9
	s_and_saveexec_b64 s[4:5], s[0:1]
	s_cbranch_execz .LBB3_7
; %bb.6:
	v_add_u32_e32 v4, s2, v9
	v_mov_b32_e32 v5, 0
	v_lshlrev_b64 v[4:5], 1, v[4:5]
	v_mov_b32_e32 v1, s11
	v_add_co_u32_e64 v4, s[0:1], s10, v4
	v_addc_co_u32_e64 v5, s[0:1], v1, v5, s[0:1]
	global_load_ushort v1, v[4:5], off
	v_add_u32_e32 v9, 0x100, v9
	s_waitcnt vmcnt(0)
	v_and_b32_e32 v1, 0xffff8000, v1
.LBB3_7:
	s_or_b64 exec, exec, s[4:5]
	v_cmp_gt_i32_e64 s[0:1], s6, v9
	v_mov_b32_e32 v4, 0
	v_mov_b32_e32 v7, 0
	s_and_saveexec_b64 s[4:5], s[0:1]
	s_cbranch_execz .LBB3_9
; %bb.8:
	v_add_u32_e32 v6, s2, v9
	v_mov_b32_e32 v7, 0
	v_lshlrev_b64 v[6:7], 1, v[6:7]
	v_mov_b32_e32 v5, s11
	v_add_co_u32_e64 v6, s[0:1], s10, v6
	v_addc_co_u32_e64 v7, s[0:1], v5, v7, s[0:1]
	global_load_ushort v5, v[6:7], off
	v_add_u32_e32 v9, 0x100, v9
	s_waitcnt vmcnt(0)
	v_and_b32_e32 v7, 0xffff8000, v5
.LBB3_9:
	s_or_b64 exec, exec, s[4:5]
	v_cmp_gt_i32_e64 s[0:1], s6, v9
	s_and_saveexec_b64 s[4:5], s[0:1]
	s_cbranch_execz .LBB3_11
; %bb.10:
	v_add_u32_e32 v4, s2, v9
	v_mov_b32_e32 v5, 0
	v_lshlrev_b64 v[4:5], 1, v[4:5]
	v_mov_b32_e32 v6, s11
	v_add_co_u32_e64 v4, s[0:1], s10, v4
	v_addc_co_u32_e64 v5, s[0:1], v6, v5, s[0:1]
	global_load_ushort v4, v[4:5], off
	v_add_u32_e32 v9, 0x100, v9
	s_waitcnt vmcnt(0)
	v_and_b32_e32 v4, 0xffff8000, v4
.LBB3_11:
	s_or_b64 exec, exec, s[4:5]
	v_cmp_gt_i32_e64 s[0:1], s6, v9
	v_mov_b32_e32 v5, 0
	v_mov_b32_e32 v8, 0
	s_and_saveexec_b64 s[4:5], s[0:1]
	s_cbranch_execz .LBB3_13
; %bb.12:
	v_add_u32_e32 v10, s2, v9
	v_mov_b32_e32 v11, 0
	v_lshlrev_b64 v[10:11], 1, v[10:11]
	v_mov_b32_e32 v6, s11
	v_add_co_u32_e64 v10, s[0:1], s10, v10
	v_addc_co_u32_e64 v11, s[0:1], v6, v11, s[0:1]
	global_load_ushort v6, v[10:11], off
	v_add_u32_e32 v9, 0x100, v9
	s_waitcnt vmcnt(0)
	v_and_b32_e32 v8, 0xffff8000, v6
.LBB3_13:
	;; [unrolled: 34-line block ×3, first 2 shown]
	s_or_b64 exec, exec, s[4:5]
	v_cmp_gt_i32_e64 s[0:1], s6, v9
	s_and_saveexec_b64 s[4:5], s[0:1]
	s_cbranch_execz .LBB3_19
; %bb.18:
	v_add_u32_e32 v12, s2, v9
	v_mov_b32_e32 v13, 0
	v_lshlrev_b64 v[12:13], 1, v[12:13]
	v_mov_b32_e32 v6, s11
	v_add_co_u32_e64 v12, s[0:1], s10, v12
	v_addc_co_u32_e64 v13, s[0:1], v6, v13, s[0:1]
	global_load_ushort v6, v[12:13], off
	s_waitcnt vmcnt(0)
	v_and_b32_e32 v6, 0xffff8000, v6
.LBB3_19:
	s_or_b64 exec, exec, s[4:5]
	v_mov_b32_e32 v9, 0x7fff
	v_and_b32_e32 v9, s7, v9
	s_and_saveexec_b64 s[0:1], vcc
	s_cbranch_execnz .LBB3_29
; %bb.20:
	s_or_b64 exec, exec, s[0:1]
	v_cmp_gt_i32_e32 vcc, s6, v0
	s_and_saveexec_b64 s[0:1], vcc
	s_cbranch_execnz .LBB3_30
.LBB3_21:
	s_or_b64 exec, exec, s[0:1]
	v_cmp_gt_i32_e32 vcc, s6, v0
	s_and_saveexec_b64 s[0:1], vcc
	s_cbranch_execnz .LBB3_31
.LBB3_22:
	s_or_b64 exec, exec, s[0:1]
	v_cmp_gt_i32_e32 vcc, s6, v0
	s_and_saveexec_b64 s[0:1], vcc
	s_cbranch_execnz .LBB3_32
.LBB3_23:
	s_or_b64 exec, exec, s[0:1]
	v_cmp_gt_i32_e32 vcc, s6, v0
	s_and_saveexec_b64 s[0:1], vcc
	s_cbranch_execnz .LBB3_33
.LBB3_24:
	s_or_b64 exec, exec, s[0:1]
	v_cmp_gt_i32_e32 vcc, s6, v0
	s_and_saveexec_b64 s[0:1], vcc
	s_cbranch_execnz .LBB3_34
.LBB3_25:
	s_or_b64 exec, exec, s[0:1]
	v_cmp_gt_i32_e32 vcc, s6, v0
	s_and_saveexec_b64 s[0:1], vcc
	s_cbranch_execnz .LBB3_35
.LBB3_26:
	s_or_b64 exec, exec, s[0:1]
	v_cmp_gt_i32_e32 vcc, s6, v0
	s_and_saveexec_b64 s[0:1], vcc
	s_cbranch_execz .LBB3_28
.LBB3_27:
	v_add_u32_e32 v0, s2, v0
	v_mov_b32_e32 v1, 0
	v_lshlrev_b64 v[0:1], 1, v[0:1]
	v_mov_b32_e32 v3, s9
	v_add_co_u32_e32 v0, vcc, s8, v0
	v_or_b32_e32 v2, v6, v9
	v_addc_co_u32_e32 v1, vcc, v3, v1, vcc
	global_store_short v[0:1], v2, off
.LBB3_28:
	s_endpgm
.LBB3_29:
	v_or_b32_e32 v11, v3, v9
	v_mov_b32_e32 v3, 0
	v_lshlrev_b64 v[2:3], 1, v[2:3]
	v_mov_b32_e32 v12, s9
	v_add_co_u32_e32 v2, vcc, s8, v2
	v_or_b32_e32 v0, 0x100, v0
	v_addc_co_u32_e32 v3, vcc, v12, v3, vcc
	global_store_short v[2:3], v11, off
	s_or_b64 exec, exec, s[0:1]
	v_cmp_gt_i32_e32 vcc, s6, v0
	s_and_saveexec_b64 s[0:1], vcc
	s_cbranch_execz .LBB3_21
.LBB3_30:
	v_add_u32_e32 v2, s2, v0
	v_mov_b32_e32 v3, 0
	v_lshlrev_b64 v[2:3], 1, v[2:3]
	v_mov_b32_e32 v11, s9
	v_add_co_u32_e32 v2, vcc, s8, v2
	v_or_b32_e32 v1, v1, v9
	v_addc_co_u32_e32 v3, vcc, v11, v3, vcc
	v_add_u32_e32 v0, 0x100, v0
	global_store_short v[2:3], v1, off
	s_or_b64 exec, exec, s[0:1]
	v_cmp_gt_i32_e32 vcc, s6, v0
	s_and_saveexec_b64 s[0:1], vcc
	s_cbranch_execz .LBB3_22
.LBB3_31:
	v_add_u32_e32 v2, s2, v0
	v_mov_b32_e32 v3, 0
	v_lshlrev_b64 v[2:3], 1, v[2:3]
	v_or_b32_e32 v1, v7, v9
	v_mov_b32_e32 v7, s9
	v_add_co_u32_e32 v2, vcc, s8, v2
	v_addc_co_u32_e32 v3, vcc, v7, v3, vcc
	v_add_u32_e32 v0, 0x100, v0
	global_store_short v[2:3], v1, off
	s_or_b64 exec, exec, s[0:1]
	v_cmp_gt_i32_e32 vcc, s6, v0
	s_and_saveexec_b64 s[0:1], vcc
	s_cbranch_execz .LBB3_23
.LBB3_32:
	v_add_u32_e32 v2, s2, v0
	v_mov_b32_e32 v3, 0
	v_lshlrev_b64 v[2:3], 1, v[2:3]
	v_or_b32_e32 v1, v4, v9
	v_mov_b32_e32 v4, s9
	v_add_co_u32_e32 v2, vcc, s8, v2
	v_addc_co_u32_e32 v3, vcc, v4, v3, vcc
	v_add_u32_e32 v0, 0x100, v0
	global_store_short v[2:3], v1, off
	s_or_b64 exec, exec, s[0:1]
	v_cmp_gt_i32_e32 vcc, s6, v0
	s_and_saveexec_b64 s[0:1], vcc
	s_cbranch_execz .LBB3_24
.LBB3_33:
	v_add_u32_e32 v2, s2, v0
	v_mov_b32_e32 v3, 0
	v_lshlrev_b64 v[2:3], 1, v[2:3]
	v_mov_b32_e32 v4, s9
	v_add_co_u32_e32 v2, vcc, s8, v2
	v_or_b32_e32 v1, v8, v9
	v_addc_co_u32_e32 v3, vcc, v4, v3, vcc
	v_add_u32_e32 v0, 0x100, v0
	global_store_short v[2:3], v1, off
	s_or_b64 exec, exec, s[0:1]
	v_cmp_gt_i32_e32 vcc, s6, v0
	s_and_saveexec_b64 s[0:1], vcc
	s_cbranch_execz .LBB3_25
.LBB3_34:
	v_add_u32_e32 v2, s2, v0
	v_mov_b32_e32 v3, 0
	v_lshlrev_b64 v[2:3], 1, v[2:3]
	v_mov_b32_e32 v4, s9
	v_add_co_u32_e32 v2, vcc, s8, v2
	v_or_b32_e32 v1, v5, v9
	v_addc_co_u32_e32 v3, vcc, v4, v3, vcc
	v_add_u32_e32 v0, 0x100, v0
	global_store_short v[2:3], v1, off
	s_or_b64 exec, exec, s[0:1]
	v_cmp_gt_i32_e32 vcc, s6, v0
	s_and_saveexec_b64 s[0:1], vcc
	s_cbranch_execz .LBB3_26
.LBB3_35:
	v_add_u32_e32 v2, s2, v0
	v_mov_b32_e32 v3, 0
	v_lshlrev_b64 v[2:3], 1, v[2:3]
	v_mov_b32_e32 v4, s9
	v_add_co_u32_e32 v2, vcc, s8, v2
	v_or_b32_e32 v1, v10, v9
	v_addc_co_u32_e32 v3, vcc, v4, v3, vcc
	v_add_u32_e32 v0, 0x100, v0
	global_store_short v[2:3], v1, off
	s_or_b64 exec, exec, s[0:1]
	v_cmp_gt_i32_e32 vcc, s6, v0
	s_and_saveexec_b64 s[0:1], vcc
	s_cbranch_execnz .LBB3_27
	s_branch .LBB3_28
	.section	.rodata,"a",@progbits
	.p2align	6, 0x0
	.amdhsa_kernel _ZN2at6native29vectorized_elementwise_kernelILi2ENS0_13AUnaryFunctorIN3c104HalfES4_S4_ZNS0_20copysign_kernel_cudaERNS_18TensorIteratorBaseEEUlS4_S4_E_EESt5arrayIPcLm2EEEEviT0_T1_
		.amdhsa_group_segment_fixed_size 0
		.amdhsa_private_segment_fixed_size 0
		.amdhsa_kernarg_size 24
		.amdhsa_user_sgpr_count 6
		.amdhsa_user_sgpr_private_segment_buffer 1
		.amdhsa_user_sgpr_dispatch_ptr 0
		.amdhsa_user_sgpr_queue_ptr 0
		.amdhsa_user_sgpr_kernarg_segment_ptr 1
		.amdhsa_user_sgpr_dispatch_id 0
		.amdhsa_user_sgpr_flat_scratch_init 0
		.amdhsa_user_sgpr_kernarg_preload_length 0
		.amdhsa_user_sgpr_kernarg_preload_offset 0
		.amdhsa_user_sgpr_private_segment_size 0
		.amdhsa_uses_dynamic_stack 0
		.amdhsa_system_sgpr_private_segment_wavefront_offset 0
		.amdhsa_system_sgpr_workgroup_id_x 1
		.amdhsa_system_sgpr_workgroup_id_y 0
		.amdhsa_system_sgpr_workgroup_id_z 0
		.amdhsa_system_sgpr_workgroup_info 0
		.amdhsa_system_vgpr_workitem_id 0
		.amdhsa_next_free_vgpr 14
		.amdhsa_next_free_sgpr 12
		.amdhsa_accum_offset 16
		.amdhsa_reserve_vcc 1
		.amdhsa_reserve_flat_scratch 0
		.amdhsa_float_round_mode_32 0
		.amdhsa_float_round_mode_16_64 0
		.amdhsa_float_denorm_mode_32 3
		.amdhsa_float_denorm_mode_16_64 3
		.amdhsa_dx10_clamp 1
		.amdhsa_ieee_mode 1
		.amdhsa_fp16_overflow 0
		.amdhsa_tg_split 0
		.amdhsa_exception_fp_ieee_invalid_op 0
		.amdhsa_exception_fp_denorm_src 0
		.amdhsa_exception_fp_ieee_div_zero 0
		.amdhsa_exception_fp_ieee_overflow 0
		.amdhsa_exception_fp_ieee_underflow 0
		.amdhsa_exception_fp_ieee_inexact 0
		.amdhsa_exception_int_div_zero 0
	.end_amdhsa_kernel
	.section	.text._ZN2at6native29vectorized_elementwise_kernelILi2ENS0_13AUnaryFunctorIN3c104HalfES4_S4_ZNS0_20copysign_kernel_cudaERNS_18TensorIteratorBaseEEUlS4_S4_E_EESt5arrayIPcLm2EEEEviT0_T1_,"axG",@progbits,_ZN2at6native29vectorized_elementwise_kernelILi2ENS0_13AUnaryFunctorIN3c104HalfES4_S4_ZNS0_20copysign_kernel_cudaERNS_18TensorIteratorBaseEEUlS4_S4_E_EESt5arrayIPcLm2EEEEviT0_T1_,comdat
.Lfunc_end3:
	.size	_ZN2at6native29vectorized_elementwise_kernelILi2ENS0_13AUnaryFunctorIN3c104HalfES4_S4_ZNS0_20copysign_kernel_cudaERNS_18TensorIteratorBaseEEUlS4_S4_E_EESt5arrayIPcLm2EEEEviT0_T1_, .Lfunc_end3-_ZN2at6native29vectorized_elementwise_kernelILi2ENS0_13AUnaryFunctorIN3c104HalfES4_S4_ZNS0_20copysign_kernel_cudaERNS_18TensorIteratorBaseEEUlS4_S4_E_EESt5arrayIPcLm2EEEEviT0_T1_
                                        ; -- End function
	.section	.AMDGPU.csdata,"",@progbits
; Kernel info:
; codeLenInByte = 1644
; NumSgprs: 16
; NumVgprs: 14
; NumAgprs: 0
; TotalNumVgprs: 14
; ScratchSize: 0
; MemoryBound: 0
; FloatMode: 240
; IeeeMode: 1
; LDSByteSize: 0 bytes/workgroup (compile time only)
; SGPRBlocks: 1
; VGPRBlocks: 1
; NumSGPRsForWavesPerEU: 16
; NumVGPRsForWavesPerEU: 14
; AccumOffset: 16
; Occupancy: 8
; WaveLimiterHint : 1
; COMPUTE_PGM_RSRC2:SCRATCH_EN: 0
; COMPUTE_PGM_RSRC2:USER_SGPR: 6
; COMPUTE_PGM_RSRC2:TRAP_HANDLER: 0
; COMPUTE_PGM_RSRC2:TGID_X_EN: 1
; COMPUTE_PGM_RSRC2:TGID_Y_EN: 0
; COMPUTE_PGM_RSRC2:TGID_Z_EN: 0
; COMPUTE_PGM_RSRC2:TIDIG_COMP_CNT: 0
; COMPUTE_PGM_RSRC3_GFX90A:ACCUM_OFFSET: 3
; COMPUTE_PGM_RSRC3_GFX90A:TG_SPLIT: 0
	.section	.text._ZN2at6native27unrolled_elementwise_kernelINS0_13AUnaryFunctorIN3c104HalfES4_S4_ZNS0_20copysign_kernel_cudaERNS_18TensorIteratorBaseEEUlS4_S4_E_EESt5arrayIPcLm2EELi4E23TrivialOffsetCalculatorILi1EjESD_NS0_6memory15LoadWithoutCastENSE_16StoreWithoutCastEEEviT_T0_T2_T3_T4_T5_,"axG",@progbits,_ZN2at6native27unrolled_elementwise_kernelINS0_13AUnaryFunctorIN3c104HalfES4_S4_ZNS0_20copysign_kernel_cudaERNS_18TensorIteratorBaseEEUlS4_S4_E_EESt5arrayIPcLm2EELi4E23TrivialOffsetCalculatorILi1EjESD_NS0_6memory15LoadWithoutCastENSE_16StoreWithoutCastEEEviT_T0_T2_T3_T4_T5_,comdat
	.globl	_ZN2at6native27unrolled_elementwise_kernelINS0_13AUnaryFunctorIN3c104HalfES4_S4_ZNS0_20copysign_kernel_cudaERNS_18TensorIteratorBaseEEUlS4_S4_E_EESt5arrayIPcLm2EELi4E23TrivialOffsetCalculatorILi1EjESD_NS0_6memory15LoadWithoutCastENSE_16StoreWithoutCastEEEviT_T0_T2_T3_T4_T5_ ; -- Begin function _ZN2at6native27unrolled_elementwise_kernelINS0_13AUnaryFunctorIN3c104HalfES4_S4_ZNS0_20copysign_kernel_cudaERNS_18TensorIteratorBaseEEUlS4_S4_E_EESt5arrayIPcLm2EELi4E23TrivialOffsetCalculatorILi1EjESD_NS0_6memory15LoadWithoutCastENSE_16StoreWithoutCastEEEviT_T0_T2_T3_T4_T5_
	.p2align	8
	.type	_ZN2at6native27unrolled_elementwise_kernelINS0_13AUnaryFunctorIN3c104HalfES4_S4_ZNS0_20copysign_kernel_cudaERNS_18TensorIteratorBaseEEUlS4_S4_E_EESt5arrayIPcLm2EELi4E23TrivialOffsetCalculatorILi1EjESD_NS0_6memory15LoadWithoutCastENSE_16StoreWithoutCastEEEviT_T0_T2_T3_T4_T5_,@function
_ZN2at6native27unrolled_elementwise_kernelINS0_13AUnaryFunctorIN3c104HalfES4_S4_ZNS0_20copysign_kernel_cudaERNS_18TensorIteratorBaseEEUlS4_S4_E_EESt5arrayIPcLm2EELi4E23TrivialOffsetCalculatorILi1EjESD_NS0_6memory15LoadWithoutCastENSE_16StoreWithoutCastEEEviT_T0_T2_T3_T4_T5_: ; @_ZN2at6native27unrolled_elementwise_kernelINS0_13AUnaryFunctorIN3c104HalfES4_S4_ZNS0_20copysign_kernel_cudaERNS_18TensorIteratorBaseEEUlS4_S4_E_EESt5arrayIPcLm2EELi4E23TrivialOffsetCalculatorILi1EjESD_NS0_6memory15LoadWithoutCastENSE_16StoreWithoutCastEEEviT_T0_T2_T3_T4_T5_
; %bb.0:
	s_load_dwordx2 s[2:3], s[4:5], 0x0
	s_load_dwordx4 s[8:11], s[4:5], 0x8
	s_lshl_b32 s6, s6, 10
	v_mov_b32_e32 v1, 0
	v_or_b32_e32 v2, s6, v0
	s_waitcnt lgkmcnt(0)
	s_sub_i32 s2, s2, s6
	v_cmp_gt_i32_e32 vcc, s2, v0
	v_mov_b32_e32 v5, 0
	v_mov_b32_e32 v3, v0
	s_and_saveexec_b64 s[4:5], vcc
	s_cbranch_execz .LBB4_2
; %bb.1:
	v_mov_b32_e32 v3, 0
	v_lshlrev_b64 v[4:5], 1, v[2:3]
	v_mov_b32_e32 v3, s11
	v_add_co_u32_e64 v4, s[0:1], s10, v4
	v_addc_co_u32_e64 v5, s[0:1], v3, v5, s[0:1]
	global_load_ushort v4, v[4:5], off
	v_or_b32_e32 v3, 0x100, v0
	s_waitcnt vmcnt(0)
	v_and_b32_e32 v5, 0xffff8000, v4
.LBB4_2:
	s_or_b64 exec, exec, s[4:5]
	v_cmp_gt_i32_e64 s[0:1], s2, v3
	s_and_saveexec_b64 s[4:5], s[0:1]
	s_cbranch_execz .LBB4_4
; %bb.3:
	v_add_u32_e32 v6, s6, v3
	v_mov_b32_e32 v7, 0
	v_lshlrev_b64 v[6:7], 1, v[6:7]
	v_mov_b32_e32 v1, s11
	v_add_co_u32_e64 v6, s[0:1], s10, v6
	v_addc_co_u32_e64 v7, s[0:1], v1, v7, s[0:1]
	global_load_ushort v1, v[6:7], off
	v_add_u32_e32 v3, 0x100, v3
	s_waitcnt vmcnt(0)
	v_and_b32_e32 v1, 0xffff8000, v1
.LBB4_4:
	s_or_b64 exec, exec, s[4:5]
	v_cmp_gt_i32_e64 s[0:1], s2, v3
	v_mov_b32_e32 v4, 0
	v_mov_b32_e32 v6, 0
	s_and_saveexec_b64 s[4:5], s[0:1]
	s_cbranch_execz .LBB4_6
; %bb.5:
	v_add_u32_e32 v6, s6, v3
	v_mov_b32_e32 v7, 0
	v_lshlrev_b64 v[6:7], 1, v[6:7]
	v_mov_b32_e32 v8, s11
	v_add_co_u32_e64 v6, s[0:1], s10, v6
	v_addc_co_u32_e64 v7, s[0:1], v8, v7, s[0:1]
	global_load_ushort v6, v[6:7], off
	v_add_u32_e32 v3, 0x100, v3
	s_waitcnt vmcnt(0)
	v_and_b32_e32 v6, 0xffff8000, v6
.LBB4_6:
	s_or_b64 exec, exec, s[4:5]
	v_cmp_gt_i32_e64 s[0:1], s2, v3
	s_and_saveexec_b64 s[4:5], s[0:1]
	s_cbranch_execz .LBB4_8
; %bb.7:
	v_add_u32_e32 v8, s6, v3
	v_mov_b32_e32 v9, 0
	v_lshlrev_b64 v[8:9], 1, v[8:9]
	v_mov_b32_e32 v3, s11
	v_add_co_u32_e64 v8, s[0:1], s10, v8
	v_addc_co_u32_e64 v9, s[0:1], v3, v9, s[0:1]
	global_load_ushort v3, v[8:9], off
	s_waitcnt vmcnt(0)
	v_and_b32_e32 v4, 0xffff8000, v3
.LBB4_8:
	s_or_b64 exec, exec, s[4:5]
	s_lshr_b32 s0, s3, 16
	v_mov_b32_e32 v3, 0x7fff
	v_and_b32_e32 v7, s0, v3
	s_and_saveexec_b64 s[0:1], vcc
	s_cbranch_execnz .LBB4_13
; %bb.9:
	s_or_b64 exec, exec, s[0:1]
	v_cmp_gt_i32_e32 vcc, s2, v0
	s_and_saveexec_b64 s[0:1], vcc
	s_cbranch_execnz .LBB4_14
.LBB4_10:
	s_or_b64 exec, exec, s[0:1]
	v_cmp_gt_i32_e32 vcc, s2, v0
	s_and_saveexec_b64 s[0:1], vcc
	s_cbranch_execnz .LBB4_15
.LBB4_11:
	s_or_b64 exec, exec, s[0:1]
	v_cmp_gt_i32_e32 vcc, s2, v0
	s_and_saveexec_b64 s[0:1], vcc
	s_cbranch_execnz .LBB4_16
.LBB4_12:
	s_endpgm
.LBB4_13:
	v_mov_b32_e32 v3, 0
	v_lshlrev_b64 v[2:3], 1, v[2:3]
	v_mov_b32_e32 v8, s9
	v_add_co_u32_e32 v2, vcc, s8, v2
	v_or_b32_e32 v0, 0x100, v0
	v_addc_co_u32_e32 v3, vcc, v8, v3, vcc
	v_or_b32_e32 v5, v5, v7
	global_store_short v[2:3], v5, off
	s_or_b64 exec, exec, s[0:1]
	v_cmp_gt_i32_e32 vcc, s2, v0
	s_and_saveexec_b64 s[0:1], vcc
	s_cbranch_execz .LBB4_10
.LBB4_14:
	v_or_b32_e32 v2, v1, v7
	v_add_u32_e32 v3, 0x100, v0
	v_add_u32_e32 v0, s6, v0
	v_mov_b32_e32 v1, 0
	v_lshlrev_b64 v[0:1], 1, v[0:1]
	v_mov_b32_e32 v5, s9
	v_add_co_u32_e32 v0, vcc, s8, v0
	v_addc_co_u32_e32 v1, vcc, v5, v1, vcc
	global_store_short v[0:1], v2, off
	v_mov_b32_e32 v0, v3
	s_or_b64 exec, exec, s[0:1]
	v_cmp_gt_i32_e32 vcc, s2, v0
	s_and_saveexec_b64 s[0:1], vcc
	s_cbranch_execz .LBB4_11
.LBB4_15:
	v_add_u32_e32 v3, 0x100, v0
	v_add_u32_e32 v0, s6, v0
	v_mov_b32_e32 v1, 0
	v_lshlrev_b64 v[0:1], 1, v[0:1]
	v_mov_b32_e32 v5, s9
	v_add_co_u32_e32 v0, vcc, s8, v0
	v_or_b32_e32 v2, v6, v7
	v_addc_co_u32_e32 v1, vcc, v5, v1, vcc
	global_store_short v[0:1], v2, off
	v_mov_b32_e32 v0, v3
	s_or_b64 exec, exec, s[0:1]
	v_cmp_gt_i32_e32 vcc, s2, v0
	s_and_saveexec_b64 s[0:1], vcc
	s_cbranch_execz .LBB4_12
.LBB4_16:
	v_add_u32_e32 v0, s6, v0
	v_mov_b32_e32 v1, 0
	v_lshlrev_b64 v[0:1], 1, v[0:1]
	v_mov_b32_e32 v3, s9
	v_add_co_u32_e32 v0, vcc, s8, v0
	v_or_b32_e32 v2, v4, v7
	v_addc_co_u32_e32 v1, vcc, v3, v1, vcc
	global_store_short v[0:1], v2, off
	s_endpgm
	.section	.rodata,"a",@progbits
	.p2align	6, 0x0
	.amdhsa_kernel _ZN2at6native27unrolled_elementwise_kernelINS0_13AUnaryFunctorIN3c104HalfES4_S4_ZNS0_20copysign_kernel_cudaERNS_18TensorIteratorBaseEEUlS4_S4_E_EESt5arrayIPcLm2EELi4E23TrivialOffsetCalculatorILi1EjESD_NS0_6memory15LoadWithoutCastENSE_16StoreWithoutCastEEEviT_T0_T2_T3_T4_T5_
		.amdhsa_group_segment_fixed_size 0
		.amdhsa_private_segment_fixed_size 0
		.amdhsa_kernarg_size 28
		.amdhsa_user_sgpr_count 6
		.amdhsa_user_sgpr_private_segment_buffer 1
		.amdhsa_user_sgpr_dispatch_ptr 0
		.amdhsa_user_sgpr_queue_ptr 0
		.amdhsa_user_sgpr_kernarg_segment_ptr 1
		.amdhsa_user_sgpr_dispatch_id 0
		.amdhsa_user_sgpr_flat_scratch_init 0
		.amdhsa_user_sgpr_kernarg_preload_length 0
		.amdhsa_user_sgpr_kernarg_preload_offset 0
		.amdhsa_user_sgpr_private_segment_size 0
		.amdhsa_uses_dynamic_stack 0
		.amdhsa_system_sgpr_private_segment_wavefront_offset 0
		.amdhsa_system_sgpr_workgroup_id_x 1
		.amdhsa_system_sgpr_workgroup_id_y 0
		.amdhsa_system_sgpr_workgroup_id_z 0
		.amdhsa_system_sgpr_workgroup_info 0
		.amdhsa_system_vgpr_workitem_id 0
		.amdhsa_next_free_vgpr 10
		.amdhsa_next_free_sgpr 12
		.amdhsa_accum_offset 12
		.amdhsa_reserve_vcc 1
		.amdhsa_reserve_flat_scratch 0
		.amdhsa_float_round_mode_32 0
		.amdhsa_float_round_mode_16_64 0
		.amdhsa_float_denorm_mode_32 3
		.amdhsa_float_denorm_mode_16_64 3
		.amdhsa_dx10_clamp 1
		.amdhsa_ieee_mode 1
		.amdhsa_fp16_overflow 0
		.amdhsa_tg_split 0
		.amdhsa_exception_fp_ieee_invalid_op 0
		.amdhsa_exception_fp_denorm_src 0
		.amdhsa_exception_fp_ieee_div_zero 0
		.amdhsa_exception_fp_ieee_overflow 0
		.amdhsa_exception_fp_ieee_underflow 0
		.amdhsa_exception_fp_ieee_inexact 0
		.amdhsa_exception_int_div_zero 0
	.end_amdhsa_kernel
	.section	.text._ZN2at6native27unrolled_elementwise_kernelINS0_13AUnaryFunctorIN3c104HalfES4_S4_ZNS0_20copysign_kernel_cudaERNS_18TensorIteratorBaseEEUlS4_S4_E_EESt5arrayIPcLm2EELi4E23TrivialOffsetCalculatorILi1EjESD_NS0_6memory15LoadWithoutCastENSE_16StoreWithoutCastEEEviT_T0_T2_T3_T4_T5_,"axG",@progbits,_ZN2at6native27unrolled_elementwise_kernelINS0_13AUnaryFunctorIN3c104HalfES4_S4_ZNS0_20copysign_kernel_cudaERNS_18TensorIteratorBaseEEUlS4_S4_E_EESt5arrayIPcLm2EELi4E23TrivialOffsetCalculatorILi1EjESD_NS0_6memory15LoadWithoutCastENSE_16StoreWithoutCastEEEviT_T0_T2_T3_T4_T5_,comdat
.Lfunc_end4:
	.size	_ZN2at6native27unrolled_elementwise_kernelINS0_13AUnaryFunctorIN3c104HalfES4_S4_ZNS0_20copysign_kernel_cudaERNS_18TensorIteratorBaseEEUlS4_S4_E_EESt5arrayIPcLm2EELi4E23TrivialOffsetCalculatorILi1EjESD_NS0_6memory15LoadWithoutCastENSE_16StoreWithoutCastEEEviT_T0_T2_T3_T4_T5_, .Lfunc_end4-_ZN2at6native27unrolled_elementwise_kernelINS0_13AUnaryFunctorIN3c104HalfES4_S4_ZNS0_20copysign_kernel_cudaERNS_18TensorIteratorBaseEEUlS4_S4_E_EESt5arrayIPcLm2EELi4E23TrivialOffsetCalculatorILi1EjESD_NS0_6memory15LoadWithoutCastENSE_16StoreWithoutCastEEEviT_T0_T2_T3_T4_T5_
                                        ; -- End function
	.section	.AMDGPU.csdata,"",@progbits
; Kernel info:
; codeLenInByte = 688
; NumSgprs: 16
; NumVgprs: 10
; NumAgprs: 0
; TotalNumVgprs: 10
; ScratchSize: 0
; MemoryBound: 0
; FloatMode: 240
; IeeeMode: 1
; LDSByteSize: 0 bytes/workgroup (compile time only)
; SGPRBlocks: 1
; VGPRBlocks: 1
; NumSGPRsForWavesPerEU: 16
; NumVGPRsForWavesPerEU: 10
; AccumOffset: 12
; Occupancy: 8
; WaveLimiterHint : 0
; COMPUTE_PGM_RSRC2:SCRATCH_EN: 0
; COMPUTE_PGM_RSRC2:USER_SGPR: 6
; COMPUTE_PGM_RSRC2:TRAP_HANDLER: 0
; COMPUTE_PGM_RSRC2:TGID_X_EN: 1
; COMPUTE_PGM_RSRC2:TGID_Y_EN: 0
; COMPUTE_PGM_RSRC2:TGID_Z_EN: 0
; COMPUTE_PGM_RSRC2:TIDIG_COMP_CNT: 0
; COMPUTE_PGM_RSRC3_GFX90A:ACCUM_OFFSET: 2
; COMPUTE_PGM_RSRC3_GFX90A:TG_SPLIT: 0
	.section	.text._ZN2at6native32elementwise_kernel_manual_unrollILi128ELi8EZNS0_22gpu_kernel_impl_nocastINS0_13AUnaryFunctorIN3c104HalfES5_S5_ZNS0_20copysign_kernel_cudaERNS_18TensorIteratorBaseEEUlS5_S5_E_EEEEvS7_RKT_EUlibE_EEviT1_,"axG",@progbits,_ZN2at6native32elementwise_kernel_manual_unrollILi128ELi8EZNS0_22gpu_kernel_impl_nocastINS0_13AUnaryFunctorIN3c104HalfES5_S5_ZNS0_20copysign_kernel_cudaERNS_18TensorIteratorBaseEEUlS5_S5_E_EEEEvS7_RKT_EUlibE_EEviT1_,comdat
	.globl	_ZN2at6native32elementwise_kernel_manual_unrollILi128ELi8EZNS0_22gpu_kernel_impl_nocastINS0_13AUnaryFunctorIN3c104HalfES5_S5_ZNS0_20copysign_kernel_cudaERNS_18TensorIteratorBaseEEUlS5_S5_E_EEEEvS7_RKT_EUlibE_EEviT1_ ; -- Begin function _ZN2at6native32elementwise_kernel_manual_unrollILi128ELi8EZNS0_22gpu_kernel_impl_nocastINS0_13AUnaryFunctorIN3c104HalfES5_S5_ZNS0_20copysign_kernel_cudaERNS_18TensorIteratorBaseEEUlS5_S5_E_EEEEvS7_RKT_EUlibE_EEviT1_
	.p2align	8
	.type	_ZN2at6native32elementwise_kernel_manual_unrollILi128ELi8EZNS0_22gpu_kernel_impl_nocastINS0_13AUnaryFunctorIN3c104HalfES5_S5_ZNS0_20copysign_kernel_cudaERNS_18TensorIteratorBaseEEUlS5_S5_E_EEEEvS7_RKT_EUlibE_EEviT1_,@function
_ZN2at6native32elementwise_kernel_manual_unrollILi128ELi8EZNS0_22gpu_kernel_impl_nocastINS0_13AUnaryFunctorIN3c104HalfES5_S5_ZNS0_20copysign_kernel_cudaERNS_18TensorIteratorBaseEEUlS5_S5_E_EEEEvS7_RKT_EUlibE_EEviT1_: ; @_ZN2at6native32elementwise_kernel_manual_unrollILi128ELi8EZNS0_22gpu_kernel_impl_nocastINS0_13AUnaryFunctorIN3c104HalfES5_S5_ZNS0_20copysign_kernel_cudaERNS_18TensorIteratorBaseEEUlS5_S5_E_EEEEvS7_RKT_EUlibE_EEviT1_
; %bb.0:
	s_load_dword s59, s[4:5], 0x0
	s_load_dword s33, s[4:5], 0x8
	s_or_b32 s34, s4, 8
	v_lshl_or_b32 v24, s6, 10, v0
	v_or_b32_e32 v31, 0x380, v24
	s_mov_b32 s35, s5
	s_waitcnt lgkmcnt(0)
	s_add_i32 s58, s33, -1
	s_cmp_gt_u32 s58, 1
	v_cmp_le_i32_e32 vcc, s59, v31
	s_cselect_b64 s[6:7], -1, 0
	s_and_saveexec_b64 s[0:1], vcc
	s_xor_b64 s[40:41], exec, s[0:1]
	s_cbranch_execz .LBB5_8
; %bb.1:
	s_load_dwordx4 s[24:27], s[34:35], 0x4
	s_load_dwordx2 s[42:43], s[34:35], 0x14
	s_load_dword s8, s[4:5], 0x160
	s_cmp_lg_u32 s33, 0
	s_cselect_b64 s[48:49], -1, 0
	s_add_u32 s46, s34, 0xc4
	s_load_dwordx4 s[28:31], s[34:35], 0xc4
	s_load_dwordx4 s[0:3], s[34:35], 0x148
	s_addc_u32 s47, s35, 0
	s_min_u32 s60, s58, 15
	s_cmp_gt_u32 s33, 1
	s_cselect_b64 s[44:45], -1, 0
	s_waitcnt lgkmcnt(0)
	s_lshr_b32 s8, s8, 16
	v_mov_b32_e32 v0, 0x7fff
	v_and_b32_e32 v4, s8, v0
	v_cmp_gt_i32_e32 vcc, s59, v24
	s_and_saveexec_b64 s[50:51], vcc
	s_cbranch_execz .LBB5_16
; %bb.2:
	s_andn2_b64 vcc, exec, s[6:7]
	s_cbranch_vccnz .LBB5_24
; %bb.3:
	s_mov_b32 s52, 0
	s_andn2_b64 vcc, exec, s[48:49]
	v_mov_b32_e32 v2, 0
	v_mov_b32_e32 v0, 0
	s_cbranch_vccnz .LBB5_136
; %bb.4:
	s_add_i32 s61, s60, 1
	s_cmp_eq_u32 s58, 2
	s_cbranch_scc1 .LBB5_131
; %bb.5:
	s_and_b32 s52, s61, 28
	s_mov_b32 s53, 0
	v_mov_b32_e32 v0, 0
	s_mov_b64 s[54:55], s[34:35]
	s_mov_b64 s[56:57], s[46:47]
	v_mov_b32_e32 v3, v24
	v_mov_b32_e32 v2, 0
.LBB5_6:                                ; =>This Inner Loop Header: Depth=1
	s_load_dwordx8 s[16:23], s[54:55], 0x4
	s_load_dwordx4 s[36:39], s[54:55], 0x24
	s_load_dwordx8 s[8:15], s[56:57], 0x0
	s_add_u32 s54, s54, 48
	s_addc_u32 s55, s55, 0
	s_waitcnt lgkmcnt(0)
	v_mul_hi_u32 v1, s17, v3
	v_add_u32_e32 v1, v3, v1
	v_lshrrev_b32_e32 v1, s18, v1
	v_mul_lo_u32 v5, v1, s16
	v_mul_hi_u32 v6, s20, v1
	v_sub_u32_e32 v3, v3, v5
	v_add_u32_e32 v5, v1, v6
	v_lshrrev_b32_e32 v5, s21, v5
	v_mul_lo_u32 v7, v5, s19
	v_mul_hi_u32 v8, s23, v5
	v_sub_u32_e32 v1, v1, v7
	v_add_u32_e32 v7, v5, v8
	v_mul_lo_u32 v6, v3, s9
	v_mul_lo_u32 v3, v3, s8
	v_mul_lo_u32 v8, v1, s11
	v_mul_lo_u32 v1, v1, s10
	v_lshrrev_b32_e32 v7, s36, v7
	v_add3_u32 v0, v3, v0, v1
	v_mul_hi_u32 v3, s38, v7
	v_add_u32_e32 v3, v7, v3
	v_lshrrev_b32_e32 v3, s39, v3
	s_add_i32 s53, s53, 4
	v_add3_u32 v1, v6, v2, v8
	v_mul_lo_u32 v2, v7, s22
	v_mul_lo_u32 v6, v3, s37
	s_add_u32 s56, s56, 32
	v_sub_u32_e32 v2, v5, v2
	v_sub_u32_e32 v6, v7, v6
	s_addc_u32 s57, s57, 0
	v_mul_lo_u32 v5, v2, s12
	v_mul_lo_u32 v2, v2, s13
	;; [unrolled: 1-line block ×4, first 2 shown]
	s_cmp_lg_u32 s52, s53
	v_add3_u32 v2, v2, v1, v6
	v_add3_u32 v0, v5, v0, v7
	s_cbranch_scc1 .LBB5_6
; %bb.7:
	v_mov_b32_e32 v1, v2
	s_branch .LBB5_132
.LBB5_8:
	s_andn2_saveexec_b64 s[0:1], s[40:41]
	s_cbranch_execz .LBB5_227
.LBB5_9:
	v_cndmask_b32_e64 v0, 0, 1, s[6:7]
	v_cmp_ne_u32_e64 s[0:1], 1, v0
	s_andn2_b64 vcc, exec, s[6:7]
	s_cbranch_vccnz .LBB5_23
; %bb.10:
	s_mov_b32 s2, 0
	s_cmp_lg_u32 s33, 0
	v_mov_b32_e32 v2, 0
	v_mov_b32_e32 v0, 0
	s_cbranch_scc0 .LBB5_15
; %bb.11:
	s_min_u32 s30, s58, 15
	s_add_i32 s30, s30, 1
	s_cmp_eq_u32 s58, 2
	s_cbranch_scc1 .LBB5_26
; %bb.12:
	s_add_u32 s6, s34, 0xc4
	s_addc_u32 s7, s35, 0
	s_and_b32 s2, s30, 28
	s_mov_b32 s3, 0
	v_mov_b32_e32 v0, 0
	s_mov_b64 s[28:29], s[34:35]
	v_mov_b32_e32 v3, v24
	v_mov_b32_e32 v2, 0
.LBB5_13:                               ; =>This Inner Loop Header: Depth=1
	s_load_dwordx8 s[16:23], s[28:29], 0x4
	s_load_dwordx4 s[24:27], s[28:29], 0x24
	s_load_dwordx8 s[8:15], s[6:7], 0x0
	s_add_u32 s28, s28, 48
	s_addc_u32 s29, s29, 0
	s_waitcnt lgkmcnt(0)
	v_mul_hi_u32 v1, s17, v3
	v_add_u32_e32 v1, v3, v1
	v_lshrrev_b32_e32 v1, s18, v1
	v_mul_lo_u32 v4, v1, s16
	v_mul_hi_u32 v5, s20, v1
	v_sub_u32_e32 v3, v3, v4
	v_add_u32_e32 v4, v1, v5
	v_lshrrev_b32_e32 v4, s21, v4
	v_mul_lo_u32 v6, v4, s19
	v_mul_hi_u32 v7, s23, v4
	v_sub_u32_e32 v1, v1, v6
	v_add_u32_e32 v6, v4, v7
	v_mul_lo_u32 v5, v3, s9
	v_mul_lo_u32 v3, v3, s8
	;; [unrolled: 1-line block ×4, first 2 shown]
	v_lshrrev_b32_e32 v6, s24, v6
	v_add3_u32 v0, v3, v0, v1
	v_mul_hi_u32 v3, s26, v6
	v_add_u32_e32 v3, v6, v3
	v_lshrrev_b32_e32 v3, s27, v3
	s_add_i32 s3, s3, 4
	v_add3_u32 v1, v5, v2, v7
	v_mul_lo_u32 v2, v6, s22
	v_mul_lo_u32 v5, v3, s25
	s_add_u32 s6, s6, 32
	v_sub_u32_e32 v2, v4, v2
	v_sub_u32_e32 v5, v6, v5
	s_addc_u32 s7, s7, 0
	v_mul_lo_u32 v4, v2, s12
	v_mul_lo_u32 v2, v2, s13
	;; [unrolled: 1-line block ×4, first 2 shown]
	s_cmp_lg_u32 s2, s3
	v_add3_u32 v2, v2, v1, v5
	v_add3_u32 v0, v4, v0, v6
	s_cbranch_scc1 .LBB5_13
; %bb.14:
	v_mov_b32_e32 v1, v2
	s_and_b32 s8, s30, 3
	s_cmp_eq_u32 s8, 0
	s_cbranch_scc0 .LBB5_27
.LBB5_15:
	s_cbranch_execz .LBB5_30
	s_branch .LBB5_32
.LBB5_16:
	s_or_b64 exec, exec, s[50:51]
	v_cmp_gt_i32_e32 vcc, s59, v24
	s_and_saveexec_b64 s[50:51], vcc
	s_cbranch_execz .LBB5_140
.LBB5_17:
	s_andn2_b64 vcc, exec, s[6:7]
	s_cbranch_vccnz .LBB5_25
; %bb.18:
	s_mov_b32 s52, 0
	s_andn2_b64 vcc, exec, s[48:49]
	v_mov_b32_e32 v2, 0
	v_mov_b32_e32 v0, 0
	s_cbranch_vccnz .LBB5_153
; %bb.19:
	s_add_i32 s61, s60, 1
	s_cmp_eq_u32 s58, 2
	s_cbranch_scc1 .LBB5_148
; %bb.20:
	s_and_b32 s52, s61, 28
	s_mov_b32 s53, 0
	v_mov_b32_e32 v0, 0
	s_mov_b64 s[54:55], s[34:35]
	s_mov_b64 s[56:57], s[46:47]
	v_mov_b32_e32 v3, v24
	v_mov_b32_e32 v2, 0
.LBB5_21:                               ; =>This Inner Loop Header: Depth=1
	s_load_dwordx8 s[16:23], s[54:55], 0x4
	s_load_dwordx4 s[36:39], s[54:55], 0x24
	s_load_dwordx8 s[8:15], s[56:57], 0x0
	s_add_u32 s54, s54, 48
	s_addc_u32 s55, s55, 0
	s_waitcnt lgkmcnt(0)
	v_mul_hi_u32 v1, s17, v3
	v_add_u32_e32 v1, v3, v1
	v_lshrrev_b32_e32 v1, s18, v1
	v_mul_lo_u32 v5, v1, s16
	v_mul_hi_u32 v6, s20, v1
	v_sub_u32_e32 v3, v3, v5
	v_add_u32_e32 v5, v1, v6
	v_lshrrev_b32_e32 v5, s21, v5
	v_mul_lo_u32 v7, v5, s19
	v_mul_hi_u32 v8, s23, v5
	v_sub_u32_e32 v1, v1, v7
	v_add_u32_e32 v7, v5, v8
	v_mul_lo_u32 v6, v3, s9
	v_mul_lo_u32 v3, v3, s8
	;; [unrolled: 1-line block ×4, first 2 shown]
	v_lshrrev_b32_e32 v7, s36, v7
	v_add3_u32 v0, v3, v0, v1
	v_mul_hi_u32 v3, s38, v7
	v_add_u32_e32 v3, v7, v3
	v_lshrrev_b32_e32 v3, s39, v3
	s_add_i32 s53, s53, 4
	v_add3_u32 v1, v6, v2, v8
	v_mul_lo_u32 v2, v7, s22
	v_mul_lo_u32 v6, v3, s37
	s_add_u32 s56, s56, 32
	v_sub_u32_e32 v2, v5, v2
	v_sub_u32_e32 v6, v7, v6
	s_addc_u32 s57, s57, 0
	v_mul_lo_u32 v5, v2, s12
	v_mul_lo_u32 v2, v2, s13
	v_mul_lo_u32 v7, v6, s14
	v_mul_lo_u32 v6, v6, s15
	s_cmp_eq_u32 s52, s53
	v_add3_u32 v2, v2, v1, v6
	v_add3_u32 v0, v5, v0, v7
	s_cbranch_scc0 .LBB5_21
; %bb.22:
	v_mov_b32_e32 v1, v2
	s_branch .LBB5_149
.LBB5_23:
                                        ; implicit-def: $vgpr2
                                        ; implicit-def: $vgpr0
	s_branch .LBB5_30
.LBB5_24:
                                        ; implicit-def: $vgpr2
                                        ; implicit-def: $vgpr0
	s_branch .LBB5_137
.LBB5_25:
                                        ; implicit-def: $vgpr2
                                        ; implicit-def: $vgpr0
	s_branch .LBB5_154
.LBB5_26:
	s_mov_b32 s3, s2
	v_pk_mov_b32 v[0:1], s[2:3], s[2:3] op_sel:[0,1]
                                        ; implicit-def: $vgpr2
	v_mov_b32_e32 v3, v24
	s_and_b32 s8, s30, 3
	s_cmp_eq_u32 s8, 0
	s_cbranch_scc1 .LBB5_15
.LBB5_27:
	s_lshl_b32 s3, s2, 3
	s_add_u32 s3, s3, s34
	s_addc_u32 s7, 0, s35
	s_add_u32 s6, s3, 0xc4
	s_addc_u32 s7, s7, 0
	s_mul_i32 s2, s2, 12
	s_add_u32 s2, s34, s2
	s_addc_u32 s3, 0, s35
.LBB5_28:                               ; =>This Inner Loop Header: Depth=1
	s_load_dwordx2 s[10:11], s[2:3], 0x4
	s_load_dword s9, s[2:3], 0xc
	s_load_dwordx2 s[12:13], s[6:7], 0x0
	v_mov_b32_e32 v2, v1
	s_add_u32 s2, s2, 12
	s_waitcnt lgkmcnt(0)
	v_mul_hi_u32 v1, s11, v3
	v_add_u32_e32 v1, v3, v1
	v_lshrrev_b32_e32 v1, s9, v1
	s_addc_u32 s3, s3, 0
	v_mul_lo_u32 v4, v1, s10
	s_add_u32 s6, s6, 8
	v_sub_u32_e32 v6, v3, v4
	v_mov_b32_e32 v3, v1
	s_addc_u32 s7, s7, 0
	s_add_i32 s8, s8, -1
	v_mad_u64_u32 v[4:5], s[10:11], v6, s13, v[2:3]
	v_mad_u64_u32 v[0:1], s[10:11], v6, s12, v[0:1]
	s_cmp_lg_u32 s8, 0
	v_mov_b32_e32 v1, v4
	s_cbranch_scc1 .LBB5_28
; %bb.29:
	v_mov_b32_e32 v2, v1
	s_cbranch_execnz .LBB5_32
.LBB5_30:
	s_load_dwordx4 s[8:11], s[34:35], 0x4
	s_load_dwordx2 s[2:3], s[34:35], 0xc4
	s_cmp_lt_u32 s33, 2
	s_waitcnt lgkmcnt(0)
	v_mul_hi_u32 v0, s9, v24
	v_add_u32_e32 v0, v24, v0
	v_lshrrev_b32_e32 v1, s10, v0
	v_mul_lo_u32 v0, v1, s8
	v_sub_u32_e32 v0, v24, v0
	v_mul_lo_u32 v2, v0, s3
	v_mul_lo_u32 v0, v0, s2
	s_cbranch_scc1 .LBB5_32
; %bb.31:
	s_load_dwordx4 s[8:11], s[34:35], 0x10
	s_load_dwordx2 s[2:3], s[34:35], 0xcc
	s_waitcnt lgkmcnt(0)
	v_mul_hi_u32 v3, s9, v1
	v_add_u32_e32 v3, v1, v3
	v_lshrrev_b32_e32 v3, s10, v3
	v_mul_lo_u32 v3, v3, s8
	v_sub_u32_e32 v3, v1, v3
	v_mad_u64_u32 v[0:1], s[6:7], v3, s2, v[0:1]
	v_mad_u64_u32 v[2:3], s[2:3], v3, s3, v[2:3]
.LBB5_32:
	s_and_b64 vcc, exec, s[0:1]
	v_add_u32_e32 v1, 0x80, v24
	s_cbranch_vccnz .LBB5_39
; %bb.33:
	s_mov_b32 s2, 0
	s_cmp_lg_u32 s33, 0
	v_mov_b32_e32 v6, 0
	v_mov_b32_e32 v4, 0
	s_cbranch_scc0 .LBB5_38
; %bb.34:
	s_min_u32 s30, s58, 15
	s_add_i32 s30, s30, 1
	s_cmp_eq_u32 s58, 2
	s_cbranch_scc1 .LBB5_40
; %bb.35:
	s_add_u32 s6, s34, 0xc4
	s_addc_u32 s7, s35, 0
	s_and_b32 s2, s30, 28
	s_mov_b32 s3, 0
	v_mov_b32_e32 v4, 0
	s_mov_b64 s[28:29], s[34:35]
	v_mov_b32_e32 v3, v1
	v_mov_b32_e32 v6, 0
.LBB5_36:                               ; =>This Inner Loop Header: Depth=1
	s_load_dwordx8 s[16:23], s[28:29], 0x4
	s_load_dwordx4 s[24:27], s[28:29], 0x24
	s_load_dwordx8 s[8:15], s[6:7], 0x0
	s_add_u32 s28, s28, 48
	s_addc_u32 s29, s29, 0
	s_waitcnt lgkmcnt(0)
	v_mul_hi_u32 v5, s17, v3
	v_add_u32_e32 v5, v3, v5
	v_lshrrev_b32_e32 v5, s18, v5
	v_mul_lo_u32 v7, v5, s16
	v_mul_hi_u32 v8, s20, v5
	v_sub_u32_e32 v3, v3, v7
	v_add_u32_e32 v7, v5, v8
	v_lshrrev_b32_e32 v7, s21, v7
	v_mul_lo_u32 v9, v7, s19
	v_mul_hi_u32 v10, s23, v7
	v_sub_u32_e32 v5, v5, v9
	v_add_u32_e32 v9, v7, v10
	v_mul_lo_u32 v8, v3, s9
	v_mul_lo_u32 v3, v3, s8
	;; [unrolled: 1-line block ×4, first 2 shown]
	v_lshrrev_b32_e32 v9, s24, v9
	v_add3_u32 v4, v3, v4, v5
	v_add3_u32 v5, v8, v6, v10
	v_mul_lo_u32 v3, v9, s22
	v_mul_hi_u32 v6, s26, v9
	v_sub_u32_e32 v3, v7, v3
	v_add_u32_e32 v6, v9, v6
	v_mul_lo_u32 v7, v3, s12
	v_mul_lo_u32 v8, v3, s13
	v_lshrrev_b32_e32 v3, s27, v6
	s_add_i32 s3, s3, 4
	v_mul_lo_u32 v6, v3, s25
	s_add_u32 s6, s6, 32
	v_sub_u32_e32 v6, v9, v6
	s_addc_u32 s7, s7, 0
	v_mul_lo_u32 v9, v6, s14
	v_mul_lo_u32 v6, v6, s15
	s_cmp_lg_u32 s2, s3
	v_add3_u32 v6, v8, v5, v6
	v_add3_u32 v4, v7, v4, v9
	s_cbranch_scc1 .LBB5_36
; %bb.37:
	v_mov_b32_e32 v5, v6
	s_and_b32 s8, s30, 3
	s_cmp_eq_u32 s8, 0
	s_cbranch_scc0 .LBB5_41
.LBB5_38:
	s_cbranch_execz .LBB5_44
	s_branch .LBB5_46
.LBB5_39:
                                        ; implicit-def: $vgpr6
                                        ; implicit-def: $vgpr4
	s_branch .LBB5_44
.LBB5_40:
	s_mov_b32 s3, s2
	v_pk_mov_b32 v[4:5], s[2:3], s[2:3] op_sel:[0,1]
                                        ; implicit-def: $vgpr6
	v_mov_b32_e32 v3, v1
	s_and_b32 s8, s30, 3
	s_cmp_eq_u32 s8, 0
	s_cbranch_scc1 .LBB5_38
.LBB5_41:
	s_lshl_b32 s3, s2, 3
	s_add_u32 s3, s3, s34
	s_addc_u32 s7, 0, s35
	s_add_u32 s6, s3, 0xc4
	s_addc_u32 s7, s7, 0
	s_mul_i32 s2, s2, 12
	s_add_u32 s2, s34, s2
	s_addc_u32 s3, 0, s35
.LBB5_42:                               ; =>This Inner Loop Header: Depth=1
	s_load_dwordx2 s[10:11], s[2:3], 0x4
	s_load_dword s9, s[2:3], 0xc
	s_load_dwordx2 s[12:13], s[6:7], 0x0
	v_mov_b32_e32 v6, v5
	s_add_u32 s2, s2, 12
	s_waitcnt lgkmcnt(0)
	v_mul_hi_u32 v5, s11, v3
	v_add_u32_e32 v5, v3, v5
	v_lshrrev_b32_e32 v5, s9, v5
	s_addc_u32 s3, s3, 0
	v_mul_lo_u32 v7, v5, s10
	s_add_u32 s6, s6, 8
	v_sub_u32_e32 v8, v3, v7
	s_addc_u32 s7, s7, 0
	s_add_i32 s8, s8, -1
	v_mov_b32_e32 v3, v5
	v_mad_u64_u32 v[6:7], s[10:11], v8, s13, v[6:7]
	v_mad_u64_u32 v[4:5], s[10:11], v8, s12, v[4:5]
	s_cmp_lg_u32 s8, 0
	v_mov_b32_e32 v5, v6
	s_cbranch_scc1 .LBB5_42
; %bb.43:
	v_mov_b32_e32 v6, v5
	s_cbranch_execnz .LBB5_46
.LBB5_44:
	s_load_dwordx4 s[8:11], s[34:35], 0x4
	s_load_dwordx2 s[2:3], s[34:35], 0xc4
	s_cmp_lt_u32 s33, 2
	s_waitcnt lgkmcnt(0)
	v_mul_hi_u32 v3, s9, v1
	v_add_u32_e32 v3, v1, v3
	v_lshrrev_b32_e32 v3, s10, v3
	v_mul_lo_u32 v4, v3, s8
	v_sub_u32_e32 v1, v1, v4
	v_mul_lo_u32 v6, v1, s3
	v_mul_lo_u32 v4, v1, s2
	s_cbranch_scc1 .LBB5_46
; %bb.45:
	s_load_dwordx4 s[8:11], s[34:35], 0x10
	s_load_dwordx2 s[2:3], s[34:35], 0xcc
	s_waitcnt lgkmcnt(0)
	v_mul_hi_u32 v1, s9, v3
	v_add_u32_e32 v1, v3, v1
	v_lshrrev_b32_e32 v1, s10, v1
	v_mul_lo_u32 v1, v1, s8
	v_sub_u32_e32 v1, v3, v1
	v_mad_u64_u32 v[4:5], s[6:7], v1, s2, v[4:5]
	v_mad_u64_u32 v[6:7], s[2:3], v1, s3, v[6:7]
.LBB5_46:
	s_and_b64 vcc, exec, s[0:1]
	v_add_u32_e32 v1, 0x100, v24
	s_cbranch_vccnz .LBB5_53
; %bb.47:
	s_mov_b32 s2, 0
	s_cmp_lg_u32 s33, 0
	v_mov_b32_e32 v10, 0
	v_mov_b32_e32 v8, 0
	s_cbranch_scc0 .LBB5_52
; %bb.48:
	s_min_u32 s30, s58, 15
	s_add_i32 s30, s30, 1
	s_cmp_eq_u32 s58, 2
	s_cbranch_scc1 .LBB5_54
; %bb.49:
	s_add_u32 s6, s34, 0xc4
	s_addc_u32 s7, s35, 0
	s_and_b32 s2, s30, 28
	s_mov_b32 s3, 0
	v_mov_b32_e32 v8, 0
	s_mov_b64 s[28:29], s[34:35]
	v_mov_b32_e32 v3, v1
	v_mov_b32_e32 v10, 0
.LBB5_50:                               ; =>This Inner Loop Header: Depth=1
	s_load_dwordx8 s[16:23], s[28:29], 0x4
	s_load_dwordx4 s[24:27], s[28:29], 0x24
	s_load_dwordx8 s[8:15], s[6:7], 0x0
	s_add_u32 s28, s28, 48
	s_addc_u32 s29, s29, 0
	s_waitcnt lgkmcnt(0)
	v_mul_hi_u32 v5, s17, v3
	v_add_u32_e32 v5, v3, v5
	v_lshrrev_b32_e32 v5, s18, v5
	v_mul_lo_u32 v7, v5, s16
	v_mul_hi_u32 v9, s20, v5
	v_sub_u32_e32 v3, v3, v7
	v_add_u32_e32 v7, v5, v9
	v_lshrrev_b32_e32 v7, s21, v7
	v_mul_lo_u32 v11, v7, s19
	v_mul_hi_u32 v12, s23, v7
	v_sub_u32_e32 v5, v5, v11
	v_add_u32_e32 v11, v7, v12
	v_mul_lo_u32 v9, v3, s9
	v_mul_lo_u32 v3, v3, s8
	;; [unrolled: 1-line block ×4, first 2 shown]
	v_lshrrev_b32_e32 v11, s24, v11
	v_add3_u32 v5, v3, v8, v5
	v_add3_u32 v8, v9, v10, v12
	v_mul_lo_u32 v3, v11, s22
	v_mul_hi_u32 v9, s26, v11
	v_sub_u32_e32 v3, v7, v3
	v_add_u32_e32 v7, v11, v9
	v_mul_lo_u32 v9, v3, s12
	v_mul_lo_u32 v10, v3, s13
	v_lshrrev_b32_e32 v3, s27, v7
	s_add_i32 s3, s3, 4
	v_mul_lo_u32 v7, v3, s25
	s_add_u32 s6, s6, 32
	v_sub_u32_e32 v7, v11, v7
	s_addc_u32 s7, s7, 0
	v_mul_lo_u32 v11, v7, s14
	v_mul_lo_u32 v7, v7, s15
	s_cmp_lg_u32 s2, s3
	v_add3_u32 v10, v10, v8, v7
	v_add3_u32 v8, v9, v5, v11
	s_cbranch_scc1 .LBB5_50
; %bb.51:
	v_mov_b32_e32 v9, v10
	s_and_b32 s8, s30, 3
	s_cmp_eq_u32 s8, 0
	s_cbranch_scc0 .LBB5_55
.LBB5_52:
	s_cbranch_execz .LBB5_58
	s_branch .LBB5_60
.LBB5_53:
                                        ; implicit-def: $vgpr10
                                        ; implicit-def: $vgpr8
	s_branch .LBB5_58
.LBB5_54:
	s_mov_b32 s3, s2
	v_pk_mov_b32 v[8:9], s[2:3], s[2:3] op_sel:[0,1]
                                        ; implicit-def: $vgpr10
	v_mov_b32_e32 v3, v1
	s_and_b32 s8, s30, 3
	s_cmp_eq_u32 s8, 0
	s_cbranch_scc1 .LBB5_52
.LBB5_55:
	s_lshl_b32 s3, s2, 3
	s_add_u32 s3, s3, s34
	s_addc_u32 s7, 0, s35
	s_add_u32 s6, s3, 0xc4
	s_addc_u32 s7, s7, 0
	s_mul_i32 s2, s2, 12
	s_add_u32 s2, s34, s2
	s_addc_u32 s3, 0, s35
.LBB5_56:                               ; =>This Inner Loop Header: Depth=1
	s_load_dwordx2 s[10:11], s[2:3], 0x4
	s_load_dword s9, s[2:3], 0xc
	s_load_dwordx2 s[12:13], s[6:7], 0x0
	s_add_u32 s2, s2, 12
	s_addc_u32 s3, s3, 0
	s_waitcnt lgkmcnt(0)
	v_mul_hi_u32 v5, s11, v3
	v_add_u32_e32 v5, v3, v5
	v_lshrrev_b32_e32 v5, s9, v5
	v_mul_lo_u32 v7, v5, s10
	v_mov_b32_e32 v10, v9
	s_add_u32 s6, s6, 8
	v_sub_u32_e32 v7, v3, v7
	s_addc_u32 s7, s7, 0
	s_add_i32 s8, s8, -1
	v_mad_u64_u32 v[10:11], s[10:11], v7, s13, v[10:11]
	v_mad_u64_u32 v[8:9], s[10:11], v7, s12, v[8:9]
	s_cmp_lg_u32 s8, 0
	v_mov_b32_e32 v3, v5
	v_mov_b32_e32 v9, v10
	s_cbranch_scc1 .LBB5_56
; %bb.57:
	v_mov_b32_e32 v10, v9
	s_cbranch_execnz .LBB5_60
.LBB5_58:
	s_load_dwordx4 s[8:11], s[34:35], 0x4
	s_load_dwordx2 s[2:3], s[34:35], 0xc4
	s_cmp_lt_u32 s33, 2
	s_waitcnt lgkmcnt(0)
	v_mul_hi_u32 v3, s9, v1
	v_add_u32_e32 v3, v1, v3
	v_lshrrev_b32_e32 v3, s10, v3
	v_mul_lo_u32 v5, v3, s8
	v_sub_u32_e32 v1, v1, v5
	v_mul_lo_u32 v10, v1, s3
	v_mul_lo_u32 v8, v1, s2
	s_cbranch_scc1 .LBB5_60
; %bb.59:
	s_load_dwordx4 s[8:11], s[34:35], 0x10
	s_load_dwordx2 s[2:3], s[34:35], 0xcc
	s_waitcnt lgkmcnt(0)
	v_mul_hi_u32 v1, s9, v3
	v_add_u32_e32 v1, v3, v1
	v_lshrrev_b32_e32 v1, s10, v1
	v_mul_lo_u32 v1, v1, s8
	v_sub_u32_e32 v1, v3, v1
	v_mad_u64_u32 v[8:9], s[6:7], v1, s2, v[8:9]
	v_mad_u64_u32 v[10:11], s[2:3], v1, s3, v[10:11]
.LBB5_60:
	s_and_b64 vcc, exec, s[0:1]
	v_add_u32_e32 v1, 0x180, v24
	s_cbranch_vccnz .LBB5_67
; %bb.61:
	s_mov_b32 s2, 0
	s_cmp_lg_u32 s33, 0
	v_mov_b32_e32 v14, 0
	v_mov_b32_e32 v12, 0
	s_cbranch_scc0 .LBB5_66
; %bb.62:
	s_min_u32 s30, s58, 15
	s_add_i32 s30, s30, 1
	s_cmp_eq_u32 s58, 2
	s_cbranch_scc1 .LBB5_68
; %bb.63:
	s_add_u32 s6, s34, 0xc4
	s_addc_u32 s7, s35, 0
	s_and_b32 s2, s30, 28
	s_mov_b32 s3, 0
	v_mov_b32_e32 v12, 0
	s_mov_b64 s[28:29], s[34:35]
	v_mov_b32_e32 v3, v1
	v_mov_b32_e32 v14, 0
.LBB5_64:                               ; =>This Inner Loop Header: Depth=1
	s_load_dwordx8 s[16:23], s[28:29], 0x4
	s_load_dwordx4 s[24:27], s[28:29], 0x24
	s_load_dwordx8 s[8:15], s[6:7], 0x0
	s_add_u32 s28, s28, 48
	s_addc_u32 s29, s29, 0
	s_waitcnt lgkmcnt(0)
	v_mul_hi_u32 v5, s17, v3
	v_add_u32_e32 v5, v3, v5
	v_lshrrev_b32_e32 v5, s18, v5
	v_mul_lo_u32 v7, v5, s16
	v_mul_hi_u32 v9, s20, v5
	v_sub_u32_e32 v3, v3, v7
	v_add_u32_e32 v7, v5, v9
	v_lshrrev_b32_e32 v7, s21, v7
	v_mul_lo_u32 v11, v7, s19
	v_mul_hi_u32 v13, s23, v7
	v_sub_u32_e32 v5, v5, v11
	v_add_u32_e32 v11, v7, v13
	v_mul_lo_u32 v9, v3, s9
	v_mul_lo_u32 v3, v3, s8
	;; [unrolled: 1-line block ×4, first 2 shown]
	v_lshrrev_b32_e32 v11, s24, v11
	v_add3_u32 v5, v3, v12, v5
	v_mul_lo_u32 v3, v11, s22
	v_mul_hi_u32 v12, s26, v11
	v_sub_u32_e32 v3, v7, v3
	v_add_u32_e32 v7, v11, v12
	v_add3_u32 v9, v9, v14, v13
	v_mul_lo_u32 v12, v3, s12
	v_mul_lo_u32 v13, v3, s13
	v_lshrrev_b32_e32 v3, s27, v7
	s_add_i32 s3, s3, 4
	v_mul_lo_u32 v7, v3, s25
	s_add_u32 s6, s6, 32
	v_sub_u32_e32 v7, v11, v7
	s_addc_u32 s7, s7, 0
	v_mul_lo_u32 v11, v7, s14
	v_mul_lo_u32 v7, v7, s15
	s_cmp_lg_u32 s2, s3
	v_add3_u32 v14, v13, v9, v7
	v_add3_u32 v12, v12, v5, v11
	s_cbranch_scc1 .LBB5_64
; %bb.65:
	v_mov_b32_e32 v13, v14
	s_and_b32 s8, s30, 3
	s_cmp_eq_u32 s8, 0
	s_cbranch_scc0 .LBB5_69
.LBB5_66:
	s_cbranch_execz .LBB5_72
	s_branch .LBB5_74
.LBB5_67:
                                        ; implicit-def: $vgpr14
                                        ; implicit-def: $vgpr12
	s_branch .LBB5_72
.LBB5_68:
	s_mov_b32 s3, s2
	v_pk_mov_b32 v[12:13], s[2:3], s[2:3] op_sel:[0,1]
                                        ; implicit-def: $vgpr14
	v_mov_b32_e32 v3, v1
	s_and_b32 s8, s30, 3
	s_cmp_eq_u32 s8, 0
	s_cbranch_scc1 .LBB5_66
.LBB5_69:
	s_lshl_b32 s3, s2, 3
	s_add_u32 s3, s3, s34
	s_addc_u32 s7, 0, s35
	s_add_u32 s6, s3, 0xc4
	s_addc_u32 s7, s7, 0
	s_mul_i32 s2, s2, 12
	s_add_u32 s2, s34, s2
	s_addc_u32 s3, 0, s35
.LBB5_70:                               ; =>This Inner Loop Header: Depth=1
	s_load_dwordx2 s[10:11], s[2:3], 0x4
	s_load_dword s9, s[2:3], 0xc
	s_load_dwordx2 s[12:13], s[6:7], 0x0
	s_add_u32 s2, s2, 12
	s_addc_u32 s3, s3, 0
	s_waitcnt lgkmcnt(0)
	v_mul_hi_u32 v5, s11, v3
	v_add_u32_e32 v5, v3, v5
	v_lshrrev_b32_e32 v5, s9, v5
	v_mul_lo_u32 v7, v5, s10
	v_mov_b32_e32 v14, v13
	s_add_u32 s6, s6, 8
	v_sub_u32_e32 v7, v3, v7
	s_addc_u32 s7, s7, 0
	s_add_i32 s8, s8, -1
	v_mad_u64_u32 v[14:15], s[10:11], v7, s13, v[14:15]
	v_mad_u64_u32 v[12:13], s[10:11], v7, s12, v[12:13]
	s_cmp_lg_u32 s8, 0
	v_mov_b32_e32 v3, v5
	v_mov_b32_e32 v13, v14
	s_cbranch_scc1 .LBB5_70
; %bb.71:
	v_mov_b32_e32 v14, v13
	s_cbranch_execnz .LBB5_74
.LBB5_72:
	s_load_dwordx4 s[8:11], s[34:35], 0x4
	s_load_dwordx2 s[2:3], s[34:35], 0xc4
	s_cmp_lt_u32 s33, 2
	s_waitcnt lgkmcnt(0)
	v_mul_hi_u32 v3, s9, v1
	v_add_u32_e32 v3, v1, v3
	v_lshrrev_b32_e32 v3, s10, v3
	v_mul_lo_u32 v5, v3, s8
	v_sub_u32_e32 v1, v1, v5
	v_mul_lo_u32 v14, v1, s3
	v_mul_lo_u32 v12, v1, s2
	s_cbranch_scc1 .LBB5_74
; %bb.73:
	s_load_dwordx4 s[8:11], s[34:35], 0x10
	s_load_dwordx2 s[2:3], s[34:35], 0xcc
	s_waitcnt lgkmcnt(0)
	v_mul_hi_u32 v1, s9, v3
	v_add_u32_e32 v1, v3, v1
	v_lshrrev_b32_e32 v1, s10, v1
	v_mul_lo_u32 v1, v1, s8
	v_sub_u32_e32 v1, v3, v1
	v_mad_u64_u32 v[12:13], s[6:7], v1, s2, v[12:13]
	v_mad_u64_u32 v[14:15], s[2:3], v1, s3, v[14:15]
.LBB5_74:
	s_and_b64 vcc, exec, s[0:1]
	v_add_u32_e32 v1, 0x200, v24
	s_cbranch_vccnz .LBB5_81
; %bb.75:
	s_mov_b32 s2, 0
	s_cmp_lg_u32 s33, 0
	v_mov_b32_e32 v18, 0
	v_mov_b32_e32 v16, 0
	s_cbranch_scc0 .LBB5_80
; %bb.76:
	s_min_u32 s30, s58, 15
	s_add_i32 s30, s30, 1
	s_cmp_eq_u32 s58, 2
	s_cbranch_scc1 .LBB5_82
; %bb.77:
	s_add_u32 s6, s34, 0xc4
	s_addc_u32 s7, s35, 0
	s_and_b32 s2, s30, 28
	s_mov_b32 s3, 0
	v_mov_b32_e32 v16, 0
	s_mov_b64 s[28:29], s[34:35]
	v_mov_b32_e32 v3, v1
	v_mov_b32_e32 v18, 0
.LBB5_78:                               ; =>This Inner Loop Header: Depth=1
	s_load_dwordx8 s[16:23], s[28:29], 0x4
	s_load_dwordx4 s[24:27], s[28:29], 0x24
	s_load_dwordx8 s[8:15], s[6:7], 0x0
	s_add_u32 s28, s28, 48
	s_addc_u32 s29, s29, 0
	s_waitcnt lgkmcnt(0)
	v_mul_hi_u32 v5, s17, v3
	v_add_u32_e32 v5, v3, v5
	v_lshrrev_b32_e32 v5, s18, v5
	v_mul_lo_u32 v7, v5, s16
	v_mul_hi_u32 v9, s20, v5
	v_sub_u32_e32 v3, v3, v7
	v_add_u32_e32 v7, v5, v9
	v_lshrrev_b32_e32 v7, s21, v7
	v_mul_lo_u32 v11, v7, s19
	v_mul_hi_u32 v13, s23, v7
	v_sub_u32_e32 v5, v5, v11
	v_add_u32_e32 v11, v7, v13
	v_mul_lo_u32 v9, v3, s9
	v_mul_lo_u32 v3, v3, s8
	;; [unrolled: 1-line block ×4, first 2 shown]
	v_lshrrev_b32_e32 v11, s24, v11
	v_add3_u32 v5, v3, v16, v5
	v_add3_u32 v9, v9, v18, v13
	v_mul_lo_u32 v3, v11, s22
	v_mul_hi_u32 v13, s26, v11
	v_sub_u32_e32 v3, v7, v3
	v_add_u32_e32 v7, v11, v13
	v_mul_lo_u32 v13, v3, s12
	v_mul_lo_u32 v15, v3, s13
	v_lshrrev_b32_e32 v3, s27, v7
	s_add_i32 s3, s3, 4
	v_mul_lo_u32 v7, v3, s25
	s_add_u32 s6, s6, 32
	v_sub_u32_e32 v7, v11, v7
	s_addc_u32 s7, s7, 0
	v_mul_lo_u32 v11, v7, s14
	v_mul_lo_u32 v7, v7, s15
	s_cmp_lg_u32 s2, s3
	v_add3_u32 v18, v15, v9, v7
	v_add3_u32 v16, v13, v5, v11
	s_cbranch_scc1 .LBB5_78
; %bb.79:
	v_mov_b32_e32 v17, v18
	s_and_b32 s8, s30, 3
	s_cmp_eq_u32 s8, 0
	s_cbranch_scc0 .LBB5_83
.LBB5_80:
	s_cbranch_execz .LBB5_86
	s_branch .LBB5_88
.LBB5_81:
                                        ; implicit-def: $vgpr18
                                        ; implicit-def: $vgpr16
	s_branch .LBB5_86
.LBB5_82:
	s_mov_b32 s3, s2
	v_pk_mov_b32 v[16:17], s[2:3], s[2:3] op_sel:[0,1]
                                        ; implicit-def: $vgpr18
	v_mov_b32_e32 v3, v1
	s_and_b32 s8, s30, 3
	s_cmp_eq_u32 s8, 0
	s_cbranch_scc1 .LBB5_80
.LBB5_83:
	s_lshl_b32 s3, s2, 3
	s_add_u32 s3, s3, s34
	s_addc_u32 s7, 0, s35
	s_add_u32 s6, s3, 0xc4
	s_addc_u32 s7, s7, 0
	s_mul_i32 s2, s2, 12
	s_add_u32 s2, s34, s2
	s_addc_u32 s3, 0, s35
.LBB5_84:                               ; =>This Inner Loop Header: Depth=1
	s_load_dwordx2 s[10:11], s[2:3], 0x4
	s_load_dword s9, s[2:3], 0xc
	s_load_dwordx2 s[12:13], s[6:7], 0x0
	s_add_u32 s2, s2, 12
	s_addc_u32 s3, s3, 0
	s_waitcnt lgkmcnt(0)
	v_mul_hi_u32 v5, s11, v3
	v_add_u32_e32 v5, v3, v5
	v_lshrrev_b32_e32 v5, s9, v5
	v_mul_lo_u32 v7, v5, s10
	v_mov_b32_e32 v18, v17
	s_add_u32 s6, s6, 8
	v_sub_u32_e32 v7, v3, v7
	s_addc_u32 s7, s7, 0
	s_add_i32 s8, s8, -1
	v_mad_u64_u32 v[18:19], s[10:11], v7, s13, v[18:19]
	v_mad_u64_u32 v[16:17], s[10:11], v7, s12, v[16:17]
	s_cmp_lg_u32 s8, 0
	v_mov_b32_e32 v3, v5
	v_mov_b32_e32 v17, v18
	s_cbranch_scc1 .LBB5_84
; %bb.85:
	v_mov_b32_e32 v18, v17
	s_cbranch_execnz .LBB5_88
.LBB5_86:
	s_load_dwordx4 s[8:11], s[34:35], 0x4
	s_load_dwordx2 s[2:3], s[34:35], 0xc4
	s_cmp_lt_u32 s33, 2
	s_waitcnt lgkmcnt(0)
	v_mul_hi_u32 v3, s9, v1
	v_add_u32_e32 v3, v1, v3
	v_lshrrev_b32_e32 v3, s10, v3
	v_mul_lo_u32 v5, v3, s8
	v_sub_u32_e32 v1, v1, v5
	v_mul_lo_u32 v18, v1, s3
	v_mul_lo_u32 v16, v1, s2
	s_cbranch_scc1 .LBB5_88
; %bb.87:
	s_load_dwordx4 s[8:11], s[34:35], 0x10
	s_load_dwordx2 s[2:3], s[34:35], 0xcc
	s_waitcnt lgkmcnt(0)
	v_mul_hi_u32 v1, s9, v3
	v_add_u32_e32 v1, v3, v1
	v_lshrrev_b32_e32 v1, s10, v1
	v_mul_lo_u32 v1, v1, s8
	v_sub_u32_e32 v1, v3, v1
	v_mad_u64_u32 v[16:17], s[6:7], v1, s2, v[16:17]
	v_mad_u64_u32 v[18:19], s[2:3], v1, s3, v[18:19]
.LBB5_88:
	s_and_b64 vcc, exec, s[0:1]
	v_add_u32_e32 v1, 0x280, v24
	s_cbranch_vccnz .LBB5_95
; %bb.89:
	s_mov_b32 s2, 0
	s_cmp_lg_u32 s33, 0
	v_mov_b32_e32 v22, 0
	v_mov_b32_e32 v20, 0
	s_cbranch_scc0 .LBB5_94
; %bb.90:
	s_min_u32 s30, s58, 15
	s_add_i32 s30, s30, 1
	s_cmp_eq_u32 s58, 2
	s_cbranch_scc1 .LBB5_96
; %bb.91:
	s_add_u32 s6, s34, 0xc4
	s_addc_u32 s7, s35, 0
	s_and_b32 s2, s30, 28
	s_mov_b32 s3, 0
	v_mov_b32_e32 v20, 0
	s_mov_b64 s[28:29], s[34:35]
	v_mov_b32_e32 v3, v1
	v_mov_b32_e32 v22, 0
.LBB5_92:                               ; =>This Inner Loop Header: Depth=1
	s_load_dwordx8 s[16:23], s[28:29], 0x4
	s_load_dwordx4 s[24:27], s[28:29], 0x24
	s_load_dwordx8 s[8:15], s[6:7], 0x0
	s_add_u32 s28, s28, 48
	s_addc_u32 s29, s29, 0
	s_waitcnt lgkmcnt(0)
	v_mul_hi_u32 v5, s17, v3
	v_add_u32_e32 v5, v3, v5
	v_lshrrev_b32_e32 v5, s18, v5
	v_mul_lo_u32 v7, v5, s16
	v_mul_hi_u32 v9, s20, v5
	v_sub_u32_e32 v3, v3, v7
	v_add_u32_e32 v7, v5, v9
	v_lshrrev_b32_e32 v7, s21, v7
	v_mul_lo_u32 v11, v7, s19
	v_mul_hi_u32 v13, s23, v7
	v_sub_u32_e32 v5, v5, v11
	v_add_u32_e32 v11, v7, v13
	v_mul_lo_u32 v9, v3, s9
	v_mul_lo_u32 v3, v3, s8
	;; [unrolled: 1-line block ×4, first 2 shown]
	v_lshrrev_b32_e32 v11, s24, v11
	v_add3_u32 v5, v3, v20, v5
	v_add3_u32 v9, v9, v22, v13
	v_mul_lo_u32 v3, v11, s22
	v_mul_hi_u32 v13, s26, v11
	v_sub_u32_e32 v3, v7, v3
	v_add_u32_e32 v7, v11, v13
	v_mul_lo_u32 v13, v3, s12
	v_mul_lo_u32 v15, v3, s13
	v_lshrrev_b32_e32 v3, s27, v7
	s_add_i32 s3, s3, 4
	v_mul_lo_u32 v7, v3, s25
	s_add_u32 s6, s6, 32
	v_sub_u32_e32 v7, v11, v7
	s_addc_u32 s7, s7, 0
	v_mul_lo_u32 v11, v7, s14
	v_mul_lo_u32 v7, v7, s15
	s_cmp_lg_u32 s2, s3
	v_add3_u32 v22, v15, v9, v7
	v_add3_u32 v20, v13, v5, v11
	s_cbranch_scc1 .LBB5_92
; %bb.93:
	v_mov_b32_e32 v21, v22
	s_and_b32 s8, s30, 3
	s_cmp_eq_u32 s8, 0
	s_cbranch_scc0 .LBB5_97
.LBB5_94:
	s_cbranch_execz .LBB5_100
	s_branch .LBB5_102
.LBB5_95:
                                        ; implicit-def: $vgpr22
                                        ; implicit-def: $vgpr20
	s_branch .LBB5_100
.LBB5_96:
	s_mov_b32 s3, s2
	v_pk_mov_b32 v[20:21], s[2:3], s[2:3] op_sel:[0,1]
                                        ; implicit-def: $vgpr22
	v_mov_b32_e32 v3, v1
	s_and_b32 s8, s30, 3
	s_cmp_eq_u32 s8, 0
	s_cbranch_scc1 .LBB5_94
.LBB5_97:
	s_lshl_b32 s3, s2, 3
	s_add_u32 s3, s3, s34
	s_addc_u32 s7, 0, s35
	s_add_u32 s6, s3, 0xc4
	s_addc_u32 s7, s7, 0
	s_mul_i32 s2, s2, 12
	s_add_u32 s2, s34, s2
	s_addc_u32 s3, 0, s35
.LBB5_98:                               ; =>This Inner Loop Header: Depth=1
	s_load_dwordx2 s[10:11], s[2:3], 0x4
	s_load_dword s9, s[2:3], 0xc
	s_load_dwordx2 s[12:13], s[6:7], 0x0
	s_add_u32 s2, s2, 12
	s_addc_u32 s3, s3, 0
	s_waitcnt lgkmcnt(0)
	v_mul_hi_u32 v5, s11, v3
	v_add_u32_e32 v5, v3, v5
	v_lshrrev_b32_e32 v5, s9, v5
	v_mul_lo_u32 v7, v5, s10
	v_mov_b32_e32 v22, v21
	s_add_u32 s6, s6, 8
	v_sub_u32_e32 v7, v3, v7
	s_addc_u32 s7, s7, 0
	s_add_i32 s8, s8, -1
	v_mad_u64_u32 v[22:23], s[10:11], v7, s13, v[22:23]
	v_mad_u64_u32 v[20:21], s[10:11], v7, s12, v[20:21]
	s_cmp_lg_u32 s8, 0
	v_mov_b32_e32 v3, v5
	v_mov_b32_e32 v21, v22
	s_cbranch_scc1 .LBB5_98
; %bb.99:
	v_mov_b32_e32 v22, v21
	s_cbranch_execnz .LBB5_102
.LBB5_100:
	s_load_dwordx4 s[8:11], s[34:35], 0x4
	s_load_dwordx2 s[2:3], s[34:35], 0xc4
	s_cmp_lt_u32 s33, 2
	s_waitcnt lgkmcnt(0)
	v_mul_hi_u32 v3, s9, v1
	v_add_u32_e32 v3, v1, v3
	v_lshrrev_b32_e32 v3, s10, v3
	v_mul_lo_u32 v5, v3, s8
	v_sub_u32_e32 v1, v1, v5
	v_mul_lo_u32 v22, v1, s3
	v_mul_lo_u32 v20, v1, s2
	s_cbranch_scc1 .LBB5_102
; %bb.101:
	s_load_dwordx4 s[8:11], s[34:35], 0x10
	s_load_dwordx2 s[2:3], s[34:35], 0xcc
	s_waitcnt lgkmcnt(0)
	v_mul_hi_u32 v1, s9, v3
	v_add_u32_e32 v1, v3, v1
	v_lshrrev_b32_e32 v1, s10, v1
	v_mul_lo_u32 v1, v1, s8
	v_sub_u32_e32 v1, v3, v1
	v_mad_u64_u32 v[20:21], s[6:7], v1, s2, v[20:21]
	v_mad_u64_u32 v[22:23], s[2:3], v1, s3, v[22:23]
.LBB5_102:
	s_and_b64 vcc, exec, s[0:1]
	v_add_u32_e32 v1, 0x300, v24
	s_cbranch_vccnz .LBB5_109
; %bb.103:
	s_mov_b32 s2, 0
	s_cmp_lg_u32 s33, 0
	v_mov_b32_e32 v26, 0
	v_mov_b32_e32 v24, 0
	s_cbranch_scc0 .LBB5_108
; %bb.104:
	s_min_u32 s30, s58, 15
	s_add_i32 s30, s30, 1
	s_cmp_eq_u32 s58, 2
	s_cbranch_scc1 .LBB5_110
; %bb.105:
	s_add_u32 s6, s34, 0xc4
	s_addc_u32 s7, s35, 0
	s_and_b32 s2, s30, 28
	s_mov_b32 s3, 0
	v_mov_b32_e32 v24, 0
	s_mov_b64 s[28:29], s[34:35]
	v_mov_b32_e32 v3, v1
	v_mov_b32_e32 v26, 0
.LBB5_106:                              ; =>This Inner Loop Header: Depth=1
	s_load_dwordx8 s[16:23], s[28:29], 0x4
	s_load_dwordx4 s[24:27], s[28:29], 0x24
	s_load_dwordx8 s[8:15], s[6:7], 0x0
	s_add_u32 s28, s28, 48
	s_addc_u32 s29, s29, 0
	s_waitcnt lgkmcnt(0)
	v_mul_hi_u32 v5, s17, v3
	v_add_u32_e32 v5, v3, v5
	v_lshrrev_b32_e32 v5, s18, v5
	v_mul_lo_u32 v7, v5, s16
	v_mul_hi_u32 v9, s20, v5
	v_sub_u32_e32 v3, v3, v7
	v_add_u32_e32 v7, v5, v9
	v_lshrrev_b32_e32 v7, s21, v7
	v_mul_lo_u32 v11, v7, s19
	v_mul_hi_u32 v13, s23, v7
	v_sub_u32_e32 v5, v5, v11
	v_add_u32_e32 v11, v7, v13
	v_mul_lo_u32 v9, v3, s9
	v_mul_lo_u32 v3, v3, s8
	;; [unrolled: 1-line block ×4, first 2 shown]
	v_lshrrev_b32_e32 v11, s24, v11
	v_add3_u32 v5, v3, v24, v5
	v_add3_u32 v9, v9, v26, v13
	v_mul_lo_u32 v3, v11, s22
	v_mul_hi_u32 v13, s26, v11
	v_sub_u32_e32 v3, v7, v3
	v_add_u32_e32 v7, v11, v13
	v_mul_lo_u32 v13, v3, s12
	v_mul_lo_u32 v15, v3, s13
	v_lshrrev_b32_e32 v3, s27, v7
	s_add_i32 s3, s3, 4
	v_mul_lo_u32 v7, v3, s25
	s_add_u32 s6, s6, 32
	v_sub_u32_e32 v7, v11, v7
	s_addc_u32 s7, s7, 0
	v_mul_lo_u32 v11, v7, s14
	v_mul_lo_u32 v7, v7, s15
	s_cmp_lg_u32 s2, s3
	v_add3_u32 v26, v15, v9, v7
	v_add3_u32 v24, v13, v5, v11
	s_cbranch_scc1 .LBB5_106
; %bb.107:
	v_mov_b32_e32 v25, v26
	s_and_b32 s8, s30, 3
	s_cmp_eq_u32 s8, 0
	s_cbranch_scc0 .LBB5_111
.LBB5_108:
	s_cbranch_execz .LBB5_114
	s_branch .LBB5_116
.LBB5_109:
                                        ; implicit-def: $vgpr26
                                        ; implicit-def: $vgpr24
	s_branch .LBB5_114
.LBB5_110:
	s_mov_b32 s3, s2
	v_pk_mov_b32 v[24:25], s[2:3], s[2:3] op_sel:[0,1]
                                        ; implicit-def: $vgpr26
	v_mov_b32_e32 v3, v1
	s_and_b32 s8, s30, 3
	s_cmp_eq_u32 s8, 0
	s_cbranch_scc1 .LBB5_108
.LBB5_111:
	s_lshl_b32 s3, s2, 3
	s_add_u32 s3, s3, s34
	s_addc_u32 s7, 0, s35
	s_add_u32 s6, s3, 0xc4
	s_addc_u32 s7, s7, 0
	s_mul_i32 s2, s2, 12
	s_add_u32 s2, s34, s2
	s_addc_u32 s3, 0, s35
.LBB5_112:                              ; =>This Inner Loop Header: Depth=1
	s_load_dwordx2 s[10:11], s[2:3], 0x4
	s_load_dword s9, s[2:3], 0xc
	s_load_dwordx2 s[12:13], s[6:7], 0x0
	s_add_u32 s2, s2, 12
	s_addc_u32 s3, s3, 0
	s_waitcnt lgkmcnt(0)
	v_mul_hi_u32 v5, s11, v3
	v_add_u32_e32 v5, v3, v5
	v_lshrrev_b32_e32 v5, s9, v5
	v_mul_lo_u32 v7, v5, s10
	v_mov_b32_e32 v26, v25
	s_add_u32 s6, s6, 8
	v_sub_u32_e32 v7, v3, v7
	s_addc_u32 s7, s7, 0
	s_add_i32 s8, s8, -1
	v_mad_u64_u32 v[26:27], s[10:11], v7, s13, v[26:27]
	v_mad_u64_u32 v[24:25], s[10:11], v7, s12, v[24:25]
	s_cmp_lg_u32 s8, 0
	v_mov_b32_e32 v3, v5
	v_mov_b32_e32 v25, v26
	s_cbranch_scc1 .LBB5_112
; %bb.113:
	v_mov_b32_e32 v26, v25
	s_cbranch_execnz .LBB5_116
.LBB5_114:
	s_load_dwordx4 s[8:11], s[34:35], 0x4
	s_load_dwordx2 s[2:3], s[34:35], 0xc4
	s_cmp_lt_u32 s33, 2
	s_waitcnt lgkmcnt(0)
	v_mul_hi_u32 v3, s9, v1
	v_add_u32_e32 v3, v1, v3
	v_lshrrev_b32_e32 v3, s10, v3
	v_mul_lo_u32 v5, v3, s8
	v_sub_u32_e32 v1, v1, v5
	v_mul_lo_u32 v26, v1, s3
	v_mul_lo_u32 v24, v1, s2
	s_cbranch_scc1 .LBB5_116
; %bb.115:
	s_load_dwordx4 s[8:11], s[34:35], 0x10
	s_load_dwordx2 s[2:3], s[34:35], 0xcc
	s_waitcnt lgkmcnt(0)
	v_mul_hi_u32 v1, s9, v3
	v_add_u32_e32 v1, v3, v1
	v_lshrrev_b32_e32 v1, s10, v1
	v_mul_lo_u32 v1, v1, s8
	v_sub_u32_e32 v1, v3, v1
	v_mad_u64_u32 v[24:25], s[6:7], v1, s2, v[24:25]
	v_mad_u64_u32 v[26:27], s[2:3], v1, s3, v[26:27]
.LBB5_116:
	s_and_b64 vcc, exec, s[0:1]
	s_cbranch_vccnz .LBB5_123
; %bb.117:
	s_mov_b32 s6, 0
	s_cmp_lg_u32 s33, 0
	v_mov_b32_e32 v30, 0
	v_mov_b32_e32 v28, 0
	s_cbranch_scc0 .LBB5_122
; %bb.118:
	s_min_u32 s28, s58, 15
	s_add_i32 s28, s28, 1
	s_cmp_eq_u32 s58, 2
	s_cbranch_scc1 .LBB5_124
; %bb.119:
	s_add_u32 s24, s34, 0xc4
	s_addc_u32 s25, s35, 0
	s_and_b32 s6, s28, 28
	s_mov_b32 s7, 0
	v_mov_b32_e32 v28, 0
	s_mov_b64 s[26:27], s[34:35]
	v_mov_b32_e32 v1, v31
	v_mov_b32_e32 v30, 0
.LBB5_120:                              ; =>This Inner Loop Header: Depth=1
	s_load_dwordx8 s[16:23], s[26:27], 0x4
	s_load_dwordx4 s[0:3], s[26:27], 0x24
	s_load_dwordx8 s[8:15], s[24:25], 0x0
	s_add_u32 s26, s26, 48
	s_addc_u32 s27, s27, 0
	s_waitcnt lgkmcnt(0)
	v_mul_hi_u32 v3, s17, v1
	v_add_u32_e32 v3, v1, v3
	v_lshrrev_b32_e32 v3, s18, v3
	v_mul_lo_u32 v5, v3, s16
	v_mul_hi_u32 v7, s20, v3
	v_sub_u32_e32 v1, v1, v5
	v_add_u32_e32 v5, v3, v7
	v_lshrrev_b32_e32 v5, s21, v5
	v_mul_lo_u32 v9, v5, s19
	v_mul_hi_u32 v11, s23, v5
	v_sub_u32_e32 v3, v3, v9
	v_add_u32_e32 v9, v5, v11
	v_mul_lo_u32 v7, v1, s9
	v_mul_lo_u32 v1, v1, s8
	;; [unrolled: 1-line block ×4, first 2 shown]
	v_lshrrev_b32_e32 v9, s0, v9
	v_add3_u32 v3, v1, v28, v3
	v_add3_u32 v7, v7, v30, v11
	v_mul_lo_u32 v1, v9, s22
	v_mul_hi_u32 v11, s2, v9
	v_sub_u32_e32 v1, v5, v1
	v_add_u32_e32 v5, v9, v11
	v_mul_lo_u32 v11, v1, s12
	v_mul_lo_u32 v13, v1, s13
	v_lshrrev_b32_e32 v1, s3, v5
	s_add_i32 s7, s7, 4
	v_mul_lo_u32 v5, v1, s1
	s_add_u32 s24, s24, 32
	v_sub_u32_e32 v5, v9, v5
	s_addc_u32 s25, s25, 0
	v_mul_lo_u32 v9, v5, s14
	v_mul_lo_u32 v5, v5, s15
	s_cmp_lg_u32 s6, s7
	v_add3_u32 v30, v13, v7, v5
	v_add3_u32 v28, v11, v3, v9
	s_cbranch_scc1 .LBB5_120
; %bb.121:
	v_mov_b32_e32 v29, v30
	s_and_b32 s7, s28, 3
	s_cmp_eq_u32 s7, 0
	s_cbranch_scc0 .LBB5_125
.LBB5_122:
	s_cbranch_execz .LBB5_128
	s_branch .LBB5_130
.LBB5_123:
                                        ; implicit-def: $vgpr30
                                        ; implicit-def: $vgpr28
	s_branch .LBB5_128
.LBB5_124:
	s_mov_b32 s7, s6
	v_pk_mov_b32 v[28:29], s[6:7], s[6:7] op_sel:[0,1]
                                        ; implicit-def: $vgpr30
	v_mov_b32_e32 v1, v31
	s_and_b32 s7, s28, 3
	s_cmp_eq_u32 s7, 0
	s_cbranch_scc1 .LBB5_122
.LBB5_125:
	s_lshl_b32 s0, s6, 3
	s_add_u32 s0, s0, s34
	s_addc_u32 s1, 0, s35
	s_add_u32 s0, s0, 0xc4
	s_addc_u32 s1, s1, 0
	s_mul_i32 s2, s6, 12
	s_add_u32 s2, s34, s2
	s_addc_u32 s3, 0, s35
.LBB5_126:                              ; =>This Inner Loop Header: Depth=1
	s_load_dwordx2 s[8:9], s[2:3], 0x4
	s_load_dword s6, s[2:3], 0xc
	s_load_dwordx2 s[10:11], s[0:1], 0x0
	s_add_u32 s2, s2, 12
	s_addc_u32 s3, s3, 0
	s_waitcnt lgkmcnt(0)
	v_mul_hi_u32 v3, s9, v1
	v_add_u32_e32 v3, v1, v3
	v_lshrrev_b32_e32 v3, s6, v3
	v_mul_lo_u32 v5, v3, s8
	v_mov_b32_e32 v30, v29
	s_add_u32 s0, s0, 8
	v_sub_u32_e32 v5, v1, v5
	s_addc_u32 s1, s1, 0
	s_add_i32 s7, s7, -1
	v_mad_u64_u32 v[32:33], s[8:9], v5, s11, v[30:31]
	v_mad_u64_u32 v[28:29], s[8:9], v5, s10, v[28:29]
	s_cmp_lg_u32 s7, 0
	v_mov_b32_e32 v1, v3
	v_mov_b32_e32 v29, v32
	s_cbranch_scc1 .LBB5_126
; %bb.127:
	v_mov_b32_e32 v30, v29
	s_cbranch_execnz .LBB5_130
.LBB5_128:
	s_load_dwordx4 s[0:3], s[34:35], 0x4
	s_load_dwordx2 s[6:7], s[34:35], 0xc4
	s_cmp_lt_u32 s33, 2
	s_waitcnt lgkmcnt(0)
	v_mul_hi_u32 v1, s1, v31
	v_add_u32_e32 v1, v31, v1
	v_lshrrev_b32_e32 v1, s2, v1
	v_mul_lo_u32 v3, v1, s0
	v_sub_u32_e32 v3, v31, v3
	v_mul_lo_u32 v30, v3, s7
	v_mul_lo_u32 v28, v3, s6
	s_cbranch_scc1 .LBB5_130
; %bb.129:
	s_load_dwordx4 s[0:3], s[34:35], 0x10
	s_load_dwordx2 s[6:7], s[34:35], 0xcc
	s_waitcnt lgkmcnt(0)
	v_mul_hi_u32 v3, s1, v1
	v_add_u32_e32 v3, v1, v3
	v_lshrrev_b32_e32 v3, s2, v3
	v_mul_lo_u32 v3, v3, s0
	v_sub_u32_e32 v1, v1, v3
	v_mad_u64_u32 v[28:29], s[0:1], v1, s6, v[28:29]
	v_mad_u64_u32 v[30:31], s[0:1], v1, s7, v[30:31]
.LBB5_130:
	s_load_dwordx4 s[0:3], s[34:35], 0x148
	s_load_dword s6, s[4:5], 0x160
	s_waitcnt lgkmcnt(0)
	global_load_ushort v1, v2, s[2:3]
	global_load_ushort v3, v6, s[2:3]
	;; [unrolled: 1-line block ×8, first 2 shown]
	v_mov_b32_e32 v2, 0x7fff
	s_lshr_b32 s2, s6, 16
	v_and_b32_e32 v2, s2, v2
	s_waitcnt vmcnt(7)
	v_and_b32_e32 v1, 0xffff8000, v1
	s_waitcnt vmcnt(6)
	;; [unrolled: 2-line block ×8, first 2 shown]
	v_and_b32_e32 v11, 0xffff8000, v15
	v_or_b32_e32 v1, v1, v2
	v_or_b32_e32 v3, v3, v2
	;; [unrolled: 1-line block ×8, first 2 shown]
	global_store_short v0, v1, s[0:1]
	global_store_short v4, v3, s[0:1]
	;; [unrolled: 1-line block ×8, first 2 shown]
	s_endpgm
.LBB5_131:
	s_mov_b32 s53, s52
	v_pk_mov_b32 v[0:1], s[52:53], s[52:53] op_sel:[0,1]
                                        ; implicit-def: $vgpr2
	v_mov_b32_e32 v3, v24
.LBB5_132:
	s_and_b32 s12, s61, 3
	s_cmp_eq_u32 s12, 0
	s_cbranch_scc1 .LBB5_136
; %bb.133:
	s_lshl_b32 s8, s52, 3
	s_add_u32 s8, s8, s34
	s_addc_u32 s9, s35, 0
	s_add_u32 s8, s8, 0xc4
	s_addc_u32 s9, s9, 0
	s_mul_i32 s10, s52, 12
	s_add_u32 s10, s34, s10
	s_addc_u32 s11, s35, 0
.LBB5_134:                              ; =>This Inner Loop Header: Depth=1
	s_load_dwordx2 s[14:15], s[10:11], 0x4
	s_load_dword s13, s[10:11], 0xc
	s_load_dwordx2 s[16:17], s[8:9], 0x0
	v_mov_b32_e32 v2, v1
	s_add_u32 s10, s10, 12
	s_waitcnt lgkmcnt(0)
	v_mul_hi_u32 v1, s15, v3
	v_add_u32_e32 v1, v3, v1
	v_lshrrev_b32_e32 v1, s13, v1
	s_addc_u32 s11, s11, 0
	v_mul_lo_u32 v5, v1, s14
	s_add_u32 s8, s8, 8
	v_sub_u32_e32 v5, v3, v5
	v_mov_b32_e32 v3, v1
	s_addc_u32 s9, s9, 0
	s_add_i32 s12, s12, -1
	v_mad_u64_u32 v[6:7], s[14:15], v5, s17, v[2:3]
	v_mad_u64_u32 v[0:1], s[14:15], v5, s16, v[0:1]
	s_cmp_lg_u32 s12, 0
	v_mov_b32_e32 v1, v6
	s_cbranch_scc1 .LBB5_134
; %bb.135:
	v_mov_b32_e32 v2, v1
.LBB5_136:
	s_cbranch_execnz .LBB5_139
.LBB5_137:
	v_mul_hi_u32 v0, s25, v24
	v_add_u32_e32 v0, v24, v0
	v_lshrrev_b32_e32 v1, s26, v0
	v_mul_lo_u32 v0, v1, s24
	v_sub_u32_e32 v0, v24, v0
	v_mul_lo_u32 v2, v0, s29
	s_andn2_b64 vcc, exec, s[44:45]
	v_mul_lo_u32 v0, v0, s28
	s_cbranch_vccnz .LBB5_139
; %bb.138:
	v_mul_hi_u32 v3, s42, v1
	v_add_u32_e32 v3, v1, v3
	v_lshrrev_b32_e32 v3, s43, v3
	v_mul_lo_u32 v3, v3, s27
	v_sub_u32_e32 v3, v1, v3
	v_mad_u64_u32 v[0:1], s[8:9], v3, s30, v[0:1]
	v_mad_u64_u32 v[2:3], s[8:9], v3, s31, v[2:3]
.LBB5_139:
	global_load_ushort v1, v2, s[2:3]
	v_add_u32_e32 v24, 0x80, v24
	s_waitcnt vmcnt(0)
	v_and_b32_e32 v1, 0xffff8000, v1
	v_or_b32_e32 v1, v1, v4
	global_store_short v0, v1, s[0:1]
	s_or_b64 exec, exec, s[50:51]
	v_cmp_gt_i32_e32 vcc, s59, v24
	s_and_saveexec_b64 s[50:51], vcc
	s_cbranch_execnz .LBB5_17
.LBB5_140:
	s_or_b64 exec, exec, s[50:51]
	v_cmp_gt_i32_e32 vcc, s59, v24
	s_and_saveexec_b64 s[50:51], vcc
	s_cbranch_execz .LBB5_157
.LBB5_141:
	s_andn2_b64 vcc, exec, s[6:7]
	s_cbranch_vccnz .LBB5_147
; %bb.142:
	s_mov_b32 s52, 0
	s_andn2_b64 vcc, exec, s[48:49]
	v_mov_b32_e32 v2, 0
	v_mov_b32_e32 v0, 0
	s_cbranch_vccnz .LBB5_170
; %bb.143:
	s_add_i32 s61, s60, 1
	s_cmp_eq_u32 s58, 2
	s_cbranch_scc1 .LBB5_165
; %bb.144:
	s_and_b32 s52, s61, 28
	s_mov_b32 s53, 0
	v_mov_b32_e32 v0, 0
	s_mov_b64 s[54:55], s[34:35]
	s_mov_b64 s[56:57], s[46:47]
	v_mov_b32_e32 v3, v24
	v_mov_b32_e32 v2, 0
.LBB5_145:                              ; =>This Inner Loop Header: Depth=1
	s_load_dwordx8 s[16:23], s[54:55], 0x4
	s_load_dwordx4 s[36:39], s[54:55], 0x24
	s_load_dwordx8 s[8:15], s[56:57], 0x0
	s_add_u32 s54, s54, 48
	s_addc_u32 s55, s55, 0
	s_waitcnt lgkmcnt(0)
	v_mul_hi_u32 v1, s17, v3
	v_add_u32_e32 v1, v3, v1
	v_lshrrev_b32_e32 v1, s18, v1
	v_mul_lo_u32 v5, v1, s16
	v_mul_hi_u32 v6, s20, v1
	v_sub_u32_e32 v3, v3, v5
	v_add_u32_e32 v5, v1, v6
	v_lshrrev_b32_e32 v5, s21, v5
	v_mul_lo_u32 v7, v5, s19
	v_mul_hi_u32 v8, s23, v5
	v_sub_u32_e32 v1, v1, v7
	v_add_u32_e32 v7, v5, v8
	v_mul_lo_u32 v6, v3, s9
	v_mul_lo_u32 v3, v3, s8
	;; [unrolled: 1-line block ×4, first 2 shown]
	v_lshrrev_b32_e32 v7, s36, v7
	v_add3_u32 v0, v3, v0, v1
	v_mul_hi_u32 v3, s38, v7
	v_add_u32_e32 v3, v7, v3
	v_lshrrev_b32_e32 v3, s39, v3
	s_add_i32 s53, s53, 4
	v_add3_u32 v1, v6, v2, v8
	v_mul_lo_u32 v2, v7, s22
	v_mul_lo_u32 v6, v3, s37
	s_add_u32 s56, s56, 32
	v_sub_u32_e32 v2, v5, v2
	v_sub_u32_e32 v6, v7, v6
	s_addc_u32 s57, s57, 0
	v_mul_lo_u32 v5, v2, s12
	v_mul_lo_u32 v2, v2, s13
	v_mul_lo_u32 v7, v6, s14
	v_mul_lo_u32 v6, v6, s15
	s_cmp_eq_u32 s52, s53
	v_add3_u32 v2, v2, v1, v6
	v_add3_u32 v0, v5, v0, v7
	s_cbranch_scc0 .LBB5_145
; %bb.146:
	v_mov_b32_e32 v1, v2
	s_branch .LBB5_166
.LBB5_147:
                                        ; implicit-def: $vgpr2
                                        ; implicit-def: $vgpr0
	s_branch .LBB5_171
.LBB5_148:
	s_mov_b32 s53, s52
	v_pk_mov_b32 v[0:1], s[52:53], s[52:53] op_sel:[0,1]
                                        ; implicit-def: $vgpr2
	v_mov_b32_e32 v3, v24
.LBB5_149:
	s_and_b32 s12, s61, 3
	s_cmp_eq_u32 s12, 0
	s_cbranch_scc1 .LBB5_153
; %bb.150:
	s_lshl_b32 s8, s52, 3
	s_add_u32 s8, s8, s34
	s_addc_u32 s9, s35, 0
	s_add_u32 s8, s8, 0xc4
	s_addc_u32 s9, s9, 0
	s_mul_i32 s10, s52, 12
	s_add_u32 s10, s34, s10
	s_addc_u32 s11, s35, 0
.LBB5_151:                              ; =>This Inner Loop Header: Depth=1
	s_load_dwordx2 s[14:15], s[10:11], 0x4
	s_load_dword s13, s[10:11], 0xc
	s_load_dwordx2 s[16:17], s[8:9], 0x0
	v_mov_b32_e32 v2, v1
	s_add_u32 s10, s10, 12
	s_waitcnt lgkmcnt(0)
	v_mul_hi_u32 v1, s15, v3
	v_add_u32_e32 v1, v3, v1
	v_lshrrev_b32_e32 v1, s13, v1
	s_addc_u32 s11, s11, 0
	v_mul_lo_u32 v5, v1, s14
	s_add_u32 s8, s8, 8
	v_sub_u32_e32 v5, v3, v5
	v_mov_b32_e32 v3, v1
	s_addc_u32 s9, s9, 0
	s_add_i32 s12, s12, -1
	v_mad_u64_u32 v[6:7], s[14:15], v5, s17, v[2:3]
	v_mad_u64_u32 v[0:1], s[14:15], v5, s16, v[0:1]
	s_cmp_lg_u32 s12, 0
	v_mov_b32_e32 v1, v6
	s_cbranch_scc1 .LBB5_151
; %bb.152:
	v_mov_b32_e32 v2, v1
.LBB5_153:
	s_cbranch_execnz .LBB5_156
.LBB5_154:
	v_mul_hi_u32 v0, s25, v24
	v_add_u32_e32 v0, v24, v0
	v_lshrrev_b32_e32 v1, s26, v0
	v_mul_lo_u32 v0, v1, s24
	v_sub_u32_e32 v0, v24, v0
	v_mul_lo_u32 v2, v0, s29
	s_andn2_b64 vcc, exec, s[44:45]
	v_mul_lo_u32 v0, v0, s28
	s_cbranch_vccnz .LBB5_156
; %bb.155:
	v_mul_hi_u32 v3, s42, v1
	v_add_u32_e32 v3, v1, v3
	v_lshrrev_b32_e32 v3, s43, v3
	v_mul_lo_u32 v3, v3, s27
	v_sub_u32_e32 v3, v1, v3
	v_mad_u64_u32 v[0:1], s[8:9], v3, s30, v[0:1]
	v_mad_u64_u32 v[2:3], s[8:9], v3, s31, v[2:3]
.LBB5_156:
	global_load_ushort v1, v2, s[2:3]
	v_add_u32_e32 v24, 0x80, v24
	s_waitcnt vmcnt(0)
	v_and_b32_e32 v1, 0xffff8000, v1
	v_or_b32_e32 v1, v1, v4
	global_store_short v0, v1, s[0:1]
	s_or_b64 exec, exec, s[50:51]
	v_cmp_gt_i32_e32 vcc, s59, v24
	s_and_saveexec_b64 s[50:51], vcc
	s_cbranch_execnz .LBB5_141
.LBB5_157:
	s_or_b64 exec, exec, s[50:51]
	v_cmp_gt_i32_e32 vcc, s59, v24
	s_and_saveexec_b64 s[50:51], vcc
	s_cbranch_execz .LBB5_174
.LBB5_158:
	s_andn2_b64 vcc, exec, s[6:7]
	s_cbranch_vccnz .LBB5_164
; %bb.159:
	s_mov_b32 s52, 0
	s_andn2_b64 vcc, exec, s[48:49]
	v_mov_b32_e32 v2, 0
	v_mov_b32_e32 v0, 0
	s_cbranch_vccnz .LBB5_187
; %bb.160:
	s_add_i32 s61, s60, 1
	s_cmp_eq_u32 s58, 2
	s_cbranch_scc1 .LBB5_182
; %bb.161:
	s_and_b32 s52, s61, 28
	s_mov_b32 s53, 0
	v_mov_b32_e32 v0, 0
	s_mov_b64 s[54:55], s[34:35]
	s_mov_b64 s[56:57], s[46:47]
	v_mov_b32_e32 v3, v24
	v_mov_b32_e32 v2, 0
.LBB5_162:                              ; =>This Inner Loop Header: Depth=1
	s_load_dwordx8 s[16:23], s[54:55], 0x4
	s_load_dwordx4 s[36:39], s[54:55], 0x24
	s_load_dwordx8 s[8:15], s[56:57], 0x0
	s_add_u32 s54, s54, 48
	s_addc_u32 s55, s55, 0
	s_waitcnt lgkmcnt(0)
	v_mul_hi_u32 v1, s17, v3
	v_add_u32_e32 v1, v3, v1
	v_lshrrev_b32_e32 v1, s18, v1
	v_mul_lo_u32 v5, v1, s16
	v_mul_hi_u32 v6, s20, v1
	v_sub_u32_e32 v3, v3, v5
	v_add_u32_e32 v5, v1, v6
	v_lshrrev_b32_e32 v5, s21, v5
	v_mul_lo_u32 v7, v5, s19
	v_mul_hi_u32 v8, s23, v5
	v_sub_u32_e32 v1, v1, v7
	v_add_u32_e32 v7, v5, v8
	v_mul_lo_u32 v6, v3, s9
	v_mul_lo_u32 v3, v3, s8
	v_mul_lo_u32 v8, v1, s11
	v_mul_lo_u32 v1, v1, s10
	v_lshrrev_b32_e32 v7, s36, v7
	v_add3_u32 v0, v3, v0, v1
	v_mul_hi_u32 v3, s38, v7
	v_add_u32_e32 v3, v7, v3
	v_lshrrev_b32_e32 v3, s39, v3
	s_add_i32 s53, s53, 4
	v_add3_u32 v1, v6, v2, v8
	v_mul_lo_u32 v2, v7, s22
	v_mul_lo_u32 v6, v3, s37
	s_add_u32 s56, s56, 32
	v_sub_u32_e32 v2, v5, v2
	v_sub_u32_e32 v6, v7, v6
	s_addc_u32 s57, s57, 0
	v_mul_lo_u32 v5, v2, s12
	v_mul_lo_u32 v2, v2, s13
	;; [unrolled: 1-line block ×4, first 2 shown]
	s_cmp_eq_u32 s52, s53
	v_add3_u32 v2, v2, v1, v6
	v_add3_u32 v0, v5, v0, v7
	s_cbranch_scc0 .LBB5_162
; %bb.163:
	v_mov_b32_e32 v1, v2
	s_branch .LBB5_183
.LBB5_164:
                                        ; implicit-def: $vgpr2
                                        ; implicit-def: $vgpr0
	s_branch .LBB5_188
.LBB5_165:
	s_mov_b32 s53, s52
	v_pk_mov_b32 v[0:1], s[52:53], s[52:53] op_sel:[0,1]
                                        ; implicit-def: $vgpr2
	v_mov_b32_e32 v3, v24
.LBB5_166:
	s_and_b32 s12, s61, 3
	s_cmp_eq_u32 s12, 0
	s_cbranch_scc1 .LBB5_170
; %bb.167:
	s_lshl_b32 s8, s52, 3
	s_add_u32 s8, s8, s34
	s_addc_u32 s9, s35, 0
	s_add_u32 s8, s8, 0xc4
	s_addc_u32 s9, s9, 0
	s_mul_i32 s10, s52, 12
	s_add_u32 s10, s34, s10
	s_addc_u32 s11, s35, 0
.LBB5_168:                              ; =>This Inner Loop Header: Depth=1
	s_load_dwordx2 s[14:15], s[10:11], 0x4
	s_load_dword s13, s[10:11], 0xc
	s_load_dwordx2 s[16:17], s[8:9], 0x0
	v_mov_b32_e32 v2, v1
	s_add_u32 s10, s10, 12
	s_waitcnt lgkmcnt(0)
	v_mul_hi_u32 v1, s15, v3
	v_add_u32_e32 v1, v3, v1
	v_lshrrev_b32_e32 v1, s13, v1
	s_addc_u32 s11, s11, 0
	v_mul_lo_u32 v5, v1, s14
	s_add_u32 s8, s8, 8
	v_sub_u32_e32 v5, v3, v5
	v_mov_b32_e32 v3, v1
	s_addc_u32 s9, s9, 0
	s_add_i32 s12, s12, -1
	v_mad_u64_u32 v[6:7], s[14:15], v5, s17, v[2:3]
	v_mad_u64_u32 v[0:1], s[14:15], v5, s16, v[0:1]
	s_cmp_lg_u32 s12, 0
	v_mov_b32_e32 v1, v6
	s_cbranch_scc1 .LBB5_168
; %bb.169:
	v_mov_b32_e32 v2, v1
.LBB5_170:
	s_cbranch_execnz .LBB5_173
.LBB5_171:
	v_mul_hi_u32 v0, s25, v24
	v_add_u32_e32 v0, v24, v0
	v_lshrrev_b32_e32 v1, s26, v0
	v_mul_lo_u32 v0, v1, s24
	v_sub_u32_e32 v0, v24, v0
	v_mul_lo_u32 v2, v0, s29
	s_andn2_b64 vcc, exec, s[44:45]
	v_mul_lo_u32 v0, v0, s28
	s_cbranch_vccnz .LBB5_173
; %bb.172:
	v_mul_hi_u32 v3, s42, v1
	v_add_u32_e32 v3, v1, v3
	v_lshrrev_b32_e32 v3, s43, v3
	v_mul_lo_u32 v3, v3, s27
	v_sub_u32_e32 v3, v1, v3
	v_mad_u64_u32 v[0:1], s[8:9], v3, s30, v[0:1]
	v_mad_u64_u32 v[2:3], s[8:9], v3, s31, v[2:3]
.LBB5_173:
	global_load_ushort v1, v2, s[2:3]
	v_add_u32_e32 v24, 0x80, v24
	s_waitcnt vmcnt(0)
	v_and_b32_e32 v1, 0xffff8000, v1
	v_or_b32_e32 v1, v1, v4
	global_store_short v0, v1, s[0:1]
	s_or_b64 exec, exec, s[50:51]
	v_cmp_gt_i32_e32 vcc, s59, v24
	s_and_saveexec_b64 s[50:51], vcc
	s_cbranch_execnz .LBB5_158
.LBB5_174:
	s_or_b64 exec, exec, s[50:51]
	v_cmp_gt_i32_e32 vcc, s59, v24
	s_and_saveexec_b64 s[50:51], vcc
	s_cbranch_execz .LBB5_191
.LBB5_175:
	s_andn2_b64 vcc, exec, s[6:7]
	s_cbranch_vccnz .LBB5_181
; %bb.176:
	s_mov_b32 s52, 0
	s_andn2_b64 vcc, exec, s[48:49]
	v_mov_b32_e32 v2, 0
	v_mov_b32_e32 v0, 0
	s_cbranch_vccnz .LBB5_204
; %bb.177:
	s_add_i32 s61, s60, 1
	s_cmp_eq_u32 s58, 2
	s_cbranch_scc1 .LBB5_199
; %bb.178:
	s_and_b32 s52, s61, 28
	s_mov_b32 s53, 0
	v_mov_b32_e32 v0, 0
	s_mov_b64 s[54:55], s[34:35]
	s_mov_b64 s[56:57], s[46:47]
	v_mov_b32_e32 v3, v24
	v_mov_b32_e32 v2, 0
.LBB5_179:                              ; =>This Inner Loop Header: Depth=1
	s_load_dwordx8 s[16:23], s[54:55], 0x4
	s_load_dwordx4 s[36:39], s[54:55], 0x24
	s_load_dwordx8 s[8:15], s[56:57], 0x0
	s_add_u32 s54, s54, 48
	s_addc_u32 s55, s55, 0
	s_waitcnt lgkmcnt(0)
	v_mul_hi_u32 v1, s17, v3
	v_add_u32_e32 v1, v3, v1
	v_lshrrev_b32_e32 v1, s18, v1
	v_mul_lo_u32 v5, v1, s16
	v_mul_hi_u32 v6, s20, v1
	v_sub_u32_e32 v3, v3, v5
	v_add_u32_e32 v5, v1, v6
	v_lshrrev_b32_e32 v5, s21, v5
	v_mul_lo_u32 v7, v5, s19
	v_mul_hi_u32 v8, s23, v5
	v_sub_u32_e32 v1, v1, v7
	v_add_u32_e32 v7, v5, v8
	v_mul_lo_u32 v6, v3, s9
	v_mul_lo_u32 v3, v3, s8
	;; [unrolled: 1-line block ×4, first 2 shown]
	v_lshrrev_b32_e32 v7, s36, v7
	v_add3_u32 v0, v3, v0, v1
	v_mul_hi_u32 v3, s38, v7
	v_add_u32_e32 v3, v7, v3
	v_lshrrev_b32_e32 v3, s39, v3
	s_add_i32 s53, s53, 4
	v_add3_u32 v1, v6, v2, v8
	v_mul_lo_u32 v2, v7, s22
	v_mul_lo_u32 v6, v3, s37
	s_add_u32 s56, s56, 32
	v_sub_u32_e32 v2, v5, v2
	v_sub_u32_e32 v6, v7, v6
	s_addc_u32 s57, s57, 0
	v_mul_lo_u32 v5, v2, s12
	v_mul_lo_u32 v2, v2, s13
	;; [unrolled: 1-line block ×4, first 2 shown]
	s_cmp_eq_u32 s52, s53
	v_add3_u32 v2, v2, v1, v6
	v_add3_u32 v0, v5, v0, v7
	s_cbranch_scc0 .LBB5_179
; %bb.180:
	v_mov_b32_e32 v1, v2
	s_branch .LBB5_200
.LBB5_181:
                                        ; implicit-def: $vgpr2
                                        ; implicit-def: $vgpr0
	s_branch .LBB5_205
.LBB5_182:
	s_mov_b32 s53, s52
	v_pk_mov_b32 v[0:1], s[52:53], s[52:53] op_sel:[0,1]
                                        ; implicit-def: $vgpr2
	v_mov_b32_e32 v3, v24
.LBB5_183:
	s_and_b32 s12, s61, 3
	s_cmp_eq_u32 s12, 0
	s_cbranch_scc1 .LBB5_187
; %bb.184:
	s_lshl_b32 s8, s52, 3
	s_add_u32 s8, s8, s34
	s_addc_u32 s9, s35, 0
	s_add_u32 s8, s8, 0xc4
	s_addc_u32 s9, s9, 0
	s_mul_i32 s10, s52, 12
	s_add_u32 s10, s34, s10
	s_addc_u32 s11, s35, 0
.LBB5_185:                              ; =>This Inner Loop Header: Depth=1
	s_load_dwordx2 s[14:15], s[10:11], 0x4
	s_load_dword s13, s[10:11], 0xc
	s_load_dwordx2 s[16:17], s[8:9], 0x0
	v_mov_b32_e32 v2, v1
	s_add_u32 s10, s10, 12
	s_waitcnt lgkmcnt(0)
	v_mul_hi_u32 v1, s15, v3
	v_add_u32_e32 v1, v3, v1
	v_lshrrev_b32_e32 v1, s13, v1
	s_addc_u32 s11, s11, 0
	v_mul_lo_u32 v5, v1, s14
	s_add_u32 s8, s8, 8
	v_sub_u32_e32 v5, v3, v5
	v_mov_b32_e32 v3, v1
	s_addc_u32 s9, s9, 0
	s_add_i32 s12, s12, -1
	v_mad_u64_u32 v[6:7], s[14:15], v5, s17, v[2:3]
	v_mad_u64_u32 v[0:1], s[14:15], v5, s16, v[0:1]
	s_cmp_lg_u32 s12, 0
	v_mov_b32_e32 v1, v6
	s_cbranch_scc1 .LBB5_185
; %bb.186:
	v_mov_b32_e32 v2, v1
.LBB5_187:
	s_cbranch_execnz .LBB5_190
.LBB5_188:
	v_mul_hi_u32 v0, s25, v24
	v_add_u32_e32 v0, v24, v0
	v_lshrrev_b32_e32 v1, s26, v0
	v_mul_lo_u32 v0, v1, s24
	v_sub_u32_e32 v0, v24, v0
	v_mul_lo_u32 v2, v0, s29
	s_andn2_b64 vcc, exec, s[44:45]
	v_mul_lo_u32 v0, v0, s28
	s_cbranch_vccnz .LBB5_190
; %bb.189:
	v_mul_hi_u32 v3, s42, v1
	v_add_u32_e32 v3, v1, v3
	v_lshrrev_b32_e32 v3, s43, v3
	v_mul_lo_u32 v3, v3, s27
	v_sub_u32_e32 v3, v1, v3
	v_mad_u64_u32 v[0:1], s[8:9], v3, s30, v[0:1]
	v_mad_u64_u32 v[2:3], s[8:9], v3, s31, v[2:3]
.LBB5_190:
	global_load_ushort v1, v2, s[2:3]
	v_add_u32_e32 v24, 0x80, v24
	s_waitcnt vmcnt(0)
	v_and_b32_e32 v1, 0xffff8000, v1
	v_or_b32_e32 v1, v1, v4
	global_store_short v0, v1, s[0:1]
	s_or_b64 exec, exec, s[50:51]
	v_cmp_gt_i32_e32 vcc, s59, v24
	s_and_saveexec_b64 s[50:51], vcc
	s_cbranch_execnz .LBB5_175
.LBB5_191:
	s_or_b64 exec, exec, s[50:51]
	v_cmp_gt_i32_e32 vcc, s59, v24
	s_and_saveexec_b64 s[50:51], vcc
	s_cbranch_execz .LBB5_208
.LBB5_192:
	s_andn2_b64 vcc, exec, s[6:7]
	s_cbranch_vccnz .LBB5_198
; %bb.193:
	s_mov_b32 s52, 0
	s_andn2_b64 vcc, exec, s[48:49]
	v_mov_b32_e32 v2, 0
	v_mov_b32_e32 v0, 0
	s_cbranch_vccnz .LBB5_221
; %bb.194:
	s_add_i32 s61, s60, 1
	s_cmp_eq_u32 s58, 2
	s_cbranch_scc1 .LBB5_216
; %bb.195:
	s_and_b32 s52, s61, 28
	s_mov_b32 s53, 0
	v_mov_b32_e32 v0, 0
	s_mov_b64 s[54:55], s[34:35]
	s_mov_b64 s[56:57], s[46:47]
	v_mov_b32_e32 v3, v24
	v_mov_b32_e32 v2, 0
.LBB5_196:                              ; =>This Inner Loop Header: Depth=1
	s_load_dwordx8 s[16:23], s[54:55], 0x4
	s_load_dwordx4 s[36:39], s[54:55], 0x24
	s_load_dwordx8 s[8:15], s[56:57], 0x0
	s_add_u32 s54, s54, 48
	s_addc_u32 s55, s55, 0
	s_waitcnt lgkmcnt(0)
	v_mul_hi_u32 v1, s17, v3
	v_add_u32_e32 v1, v3, v1
	v_lshrrev_b32_e32 v1, s18, v1
	v_mul_lo_u32 v5, v1, s16
	v_mul_hi_u32 v6, s20, v1
	v_sub_u32_e32 v3, v3, v5
	v_add_u32_e32 v5, v1, v6
	v_lshrrev_b32_e32 v5, s21, v5
	v_mul_lo_u32 v7, v5, s19
	v_mul_hi_u32 v8, s23, v5
	v_sub_u32_e32 v1, v1, v7
	v_add_u32_e32 v7, v5, v8
	v_mul_lo_u32 v6, v3, s9
	v_mul_lo_u32 v3, v3, s8
	;; [unrolled: 1-line block ×4, first 2 shown]
	v_lshrrev_b32_e32 v7, s36, v7
	v_add3_u32 v0, v3, v0, v1
	v_mul_hi_u32 v3, s38, v7
	v_add_u32_e32 v3, v7, v3
	v_lshrrev_b32_e32 v3, s39, v3
	s_add_i32 s53, s53, 4
	v_add3_u32 v1, v6, v2, v8
	v_mul_lo_u32 v2, v7, s22
	v_mul_lo_u32 v6, v3, s37
	s_add_u32 s56, s56, 32
	v_sub_u32_e32 v2, v5, v2
	v_sub_u32_e32 v6, v7, v6
	s_addc_u32 s57, s57, 0
	v_mul_lo_u32 v5, v2, s12
	v_mul_lo_u32 v2, v2, s13
	;; [unrolled: 1-line block ×4, first 2 shown]
	s_cmp_eq_u32 s52, s53
	v_add3_u32 v2, v2, v1, v6
	v_add3_u32 v0, v5, v0, v7
	s_cbranch_scc0 .LBB5_196
; %bb.197:
	v_mov_b32_e32 v1, v2
	s_branch .LBB5_217
.LBB5_198:
                                        ; implicit-def: $vgpr2
                                        ; implicit-def: $vgpr0
	s_branch .LBB5_222
.LBB5_199:
	s_mov_b32 s53, s52
	v_pk_mov_b32 v[0:1], s[52:53], s[52:53] op_sel:[0,1]
                                        ; implicit-def: $vgpr2
	v_mov_b32_e32 v3, v24
.LBB5_200:
	s_and_b32 s12, s61, 3
	s_cmp_eq_u32 s12, 0
	s_cbranch_scc1 .LBB5_204
; %bb.201:
	s_lshl_b32 s8, s52, 3
	s_add_u32 s8, s8, s34
	s_addc_u32 s9, s35, 0
	s_add_u32 s8, s8, 0xc4
	s_addc_u32 s9, s9, 0
	s_mul_i32 s10, s52, 12
	s_add_u32 s10, s34, s10
	s_addc_u32 s11, s35, 0
.LBB5_202:                              ; =>This Inner Loop Header: Depth=1
	s_load_dwordx2 s[14:15], s[10:11], 0x4
	s_load_dword s13, s[10:11], 0xc
	s_load_dwordx2 s[16:17], s[8:9], 0x0
	v_mov_b32_e32 v2, v1
	s_add_u32 s10, s10, 12
	s_waitcnt lgkmcnt(0)
	v_mul_hi_u32 v1, s15, v3
	v_add_u32_e32 v1, v3, v1
	v_lshrrev_b32_e32 v1, s13, v1
	s_addc_u32 s11, s11, 0
	v_mul_lo_u32 v5, v1, s14
	s_add_u32 s8, s8, 8
	v_sub_u32_e32 v5, v3, v5
	v_mov_b32_e32 v3, v1
	s_addc_u32 s9, s9, 0
	s_add_i32 s12, s12, -1
	v_mad_u64_u32 v[6:7], s[14:15], v5, s17, v[2:3]
	v_mad_u64_u32 v[0:1], s[14:15], v5, s16, v[0:1]
	s_cmp_lg_u32 s12, 0
	v_mov_b32_e32 v1, v6
	s_cbranch_scc1 .LBB5_202
; %bb.203:
	v_mov_b32_e32 v2, v1
.LBB5_204:
	s_cbranch_execnz .LBB5_207
.LBB5_205:
	v_mul_hi_u32 v0, s25, v24
	v_add_u32_e32 v0, v24, v0
	v_lshrrev_b32_e32 v1, s26, v0
	v_mul_lo_u32 v0, v1, s24
	v_sub_u32_e32 v0, v24, v0
	v_mul_lo_u32 v2, v0, s29
	s_andn2_b64 vcc, exec, s[44:45]
	v_mul_lo_u32 v0, v0, s28
	s_cbranch_vccnz .LBB5_207
; %bb.206:
	v_mul_hi_u32 v3, s42, v1
	v_add_u32_e32 v3, v1, v3
	v_lshrrev_b32_e32 v3, s43, v3
	v_mul_lo_u32 v3, v3, s27
	v_sub_u32_e32 v3, v1, v3
	v_mad_u64_u32 v[0:1], s[8:9], v3, s30, v[0:1]
	v_mad_u64_u32 v[2:3], s[8:9], v3, s31, v[2:3]
.LBB5_207:
	global_load_ushort v1, v2, s[2:3]
	v_add_u32_e32 v24, 0x80, v24
	s_waitcnt vmcnt(0)
	v_and_b32_e32 v1, 0xffff8000, v1
	v_or_b32_e32 v1, v1, v4
	global_store_short v0, v1, s[0:1]
	s_or_b64 exec, exec, s[50:51]
	v_cmp_gt_i32_e32 vcc, s59, v24
	s_and_saveexec_b64 s[50:51], vcc
	s_cbranch_execnz .LBB5_192
.LBB5_208:
	s_or_b64 exec, exec, s[50:51]
	v_cmp_gt_i32_e32 vcc, s59, v24
	s_and_saveexec_b64 s[50:51], vcc
	s_cbranch_execz .LBB5_225
.LBB5_209:
	s_andn2_b64 vcc, exec, s[6:7]
	s_cbranch_vccnz .LBB5_215
; %bb.210:
	s_mov_b32 s52, 0
	s_andn2_b64 vcc, exec, s[48:49]
	v_mov_b32_e32 v2, 0
	v_mov_b32_e32 v0, 0
	s_cbranch_vccnz .LBB5_233
; %bb.211:
	s_add_i32 s61, s60, 1
	s_cmp_eq_u32 s58, 2
	s_cbranch_scc1 .LBB5_228
; %bb.212:
	s_and_b32 s52, s61, 28
	s_mov_b32 s53, 0
	v_mov_b32_e32 v0, 0
	s_mov_b64 s[54:55], s[34:35]
	s_mov_b64 s[56:57], s[46:47]
	v_mov_b32_e32 v3, v24
	v_mov_b32_e32 v2, 0
.LBB5_213:                              ; =>This Inner Loop Header: Depth=1
	s_load_dwordx8 s[16:23], s[54:55], 0x4
	s_load_dwordx4 s[36:39], s[54:55], 0x24
	s_load_dwordx8 s[8:15], s[56:57], 0x0
	s_add_u32 s54, s54, 48
	s_addc_u32 s55, s55, 0
	s_waitcnt lgkmcnt(0)
	v_mul_hi_u32 v1, s17, v3
	v_add_u32_e32 v1, v3, v1
	v_lshrrev_b32_e32 v1, s18, v1
	v_mul_lo_u32 v5, v1, s16
	v_mul_hi_u32 v6, s20, v1
	v_sub_u32_e32 v3, v3, v5
	v_add_u32_e32 v5, v1, v6
	v_lshrrev_b32_e32 v5, s21, v5
	v_mul_lo_u32 v7, v5, s19
	v_mul_hi_u32 v8, s23, v5
	v_sub_u32_e32 v1, v1, v7
	v_add_u32_e32 v7, v5, v8
	v_mul_lo_u32 v6, v3, s9
	v_mul_lo_u32 v3, v3, s8
	;; [unrolled: 1-line block ×4, first 2 shown]
	v_lshrrev_b32_e32 v7, s36, v7
	v_add3_u32 v0, v3, v0, v1
	v_mul_hi_u32 v3, s38, v7
	v_add_u32_e32 v3, v7, v3
	v_lshrrev_b32_e32 v3, s39, v3
	s_add_i32 s53, s53, 4
	v_add3_u32 v1, v6, v2, v8
	v_mul_lo_u32 v2, v7, s22
	v_mul_lo_u32 v6, v3, s37
	s_add_u32 s56, s56, 32
	v_sub_u32_e32 v2, v5, v2
	v_sub_u32_e32 v6, v7, v6
	s_addc_u32 s57, s57, 0
	v_mul_lo_u32 v5, v2, s12
	v_mul_lo_u32 v2, v2, s13
	;; [unrolled: 1-line block ×4, first 2 shown]
	s_cmp_eq_u32 s52, s53
	v_add3_u32 v2, v2, v1, v6
	v_add3_u32 v0, v5, v0, v7
	s_cbranch_scc0 .LBB5_213
; %bb.214:
	v_mov_b32_e32 v1, v2
	s_branch .LBB5_229
.LBB5_215:
                                        ; implicit-def: $vgpr2
                                        ; implicit-def: $vgpr0
	s_branch .LBB5_234
.LBB5_216:
	s_mov_b32 s53, s52
	v_pk_mov_b32 v[0:1], s[52:53], s[52:53] op_sel:[0,1]
                                        ; implicit-def: $vgpr2
	v_mov_b32_e32 v3, v24
.LBB5_217:
	s_and_b32 s12, s61, 3
	s_cmp_eq_u32 s12, 0
	s_cbranch_scc1 .LBB5_221
; %bb.218:
	s_lshl_b32 s8, s52, 3
	s_add_u32 s8, s8, s34
	s_addc_u32 s9, s35, 0
	s_add_u32 s8, s8, 0xc4
	s_addc_u32 s9, s9, 0
	s_mul_i32 s10, s52, 12
	s_add_u32 s10, s34, s10
	s_addc_u32 s11, s35, 0
.LBB5_219:                              ; =>This Inner Loop Header: Depth=1
	s_load_dwordx2 s[14:15], s[10:11], 0x4
	s_load_dword s13, s[10:11], 0xc
	s_load_dwordx2 s[16:17], s[8:9], 0x0
	v_mov_b32_e32 v2, v1
	s_add_u32 s10, s10, 12
	s_waitcnt lgkmcnt(0)
	v_mul_hi_u32 v1, s15, v3
	v_add_u32_e32 v1, v3, v1
	v_lshrrev_b32_e32 v1, s13, v1
	s_addc_u32 s11, s11, 0
	v_mul_lo_u32 v5, v1, s14
	s_add_u32 s8, s8, 8
	v_sub_u32_e32 v5, v3, v5
	v_mov_b32_e32 v3, v1
	s_addc_u32 s9, s9, 0
	s_add_i32 s12, s12, -1
	v_mad_u64_u32 v[6:7], s[14:15], v5, s17, v[2:3]
	v_mad_u64_u32 v[0:1], s[14:15], v5, s16, v[0:1]
	s_cmp_lg_u32 s12, 0
	v_mov_b32_e32 v1, v6
	s_cbranch_scc1 .LBB5_219
; %bb.220:
	v_mov_b32_e32 v2, v1
.LBB5_221:
	s_cbranch_execnz .LBB5_224
.LBB5_222:
	v_mul_hi_u32 v0, s25, v24
	v_add_u32_e32 v0, v24, v0
	v_lshrrev_b32_e32 v1, s26, v0
	v_mul_lo_u32 v0, v1, s24
	v_sub_u32_e32 v0, v24, v0
	v_mul_lo_u32 v2, v0, s29
	s_andn2_b64 vcc, exec, s[44:45]
	v_mul_lo_u32 v0, v0, s28
	s_cbranch_vccnz .LBB5_224
; %bb.223:
	v_mul_hi_u32 v3, s42, v1
	v_add_u32_e32 v3, v1, v3
	v_lshrrev_b32_e32 v3, s43, v3
	v_mul_lo_u32 v3, v3, s27
	v_sub_u32_e32 v3, v1, v3
	v_mad_u64_u32 v[0:1], s[8:9], v3, s30, v[0:1]
	v_mad_u64_u32 v[2:3], s[8:9], v3, s31, v[2:3]
.LBB5_224:
	global_load_ushort v1, v2, s[2:3]
	v_add_u32_e32 v24, 0x80, v24
	s_waitcnt vmcnt(0)
	v_and_b32_e32 v1, 0xffff8000, v1
	v_or_b32_e32 v1, v1, v4
	global_store_short v0, v1, s[0:1]
	s_or_b64 exec, exec, s[50:51]
	v_cmp_gt_i32_e32 vcc, s59, v24
	s_and_saveexec_b64 s[50:51], vcc
	s_cbranch_execnz .LBB5_209
.LBB5_225:
	s_or_b64 exec, exec, s[50:51]
	v_cmp_gt_i32_e32 vcc, s59, v24
	s_and_saveexec_b64 s[50:51], vcc
	s_cbranch_execnz .LBB5_237
.LBB5_226:
	s_or_b64 exec, exec, s[50:51]
                                        ; implicit-def: $vgpr31
                                        ; implicit-def: $vgpr24
	s_andn2_saveexec_b64 s[0:1], s[40:41]
	s_cbranch_execnz .LBB5_9
.LBB5_227:
	s_endpgm
.LBB5_228:
	s_mov_b32 s53, s52
	v_pk_mov_b32 v[0:1], s[52:53], s[52:53] op_sel:[0,1]
                                        ; implicit-def: $vgpr2
	v_mov_b32_e32 v3, v24
.LBB5_229:
	s_and_b32 s12, s61, 3
	s_cmp_eq_u32 s12, 0
	s_cbranch_scc1 .LBB5_233
; %bb.230:
	s_lshl_b32 s8, s52, 3
	s_add_u32 s8, s8, s34
	s_addc_u32 s9, s35, 0
	s_add_u32 s8, s8, 0xc4
	s_addc_u32 s9, s9, 0
	s_mul_i32 s10, s52, 12
	s_add_u32 s10, s34, s10
	s_addc_u32 s11, s35, 0
.LBB5_231:                              ; =>This Inner Loop Header: Depth=1
	s_load_dwordx2 s[14:15], s[10:11], 0x4
	s_load_dword s13, s[10:11], 0xc
	s_load_dwordx2 s[16:17], s[8:9], 0x0
	v_mov_b32_e32 v2, v1
	s_add_u32 s10, s10, 12
	s_waitcnt lgkmcnt(0)
	v_mul_hi_u32 v1, s15, v3
	v_add_u32_e32 v1, v3, v1
	v_lshrrev_b32_e32 v1, s13, v1
	s_addc_u32 s11, s11, 0
	v_mul_lo_u32 v5, v1, s14
	s_add_u32 s8, s8, 8
	v_sub_u32_e32 v5, v3, v5
	v_mov_b32_e32 v3, v1
	s_addc_u32 s9, s9, 0
	s_add_i32 s12, s12, -1
	v_mad_u64_u32 v[6:7], s[14:15], v5, s17, v[2:3]
	v_mad_u64_u32 v[0:1], s[14:15], v5, s16, v[0:1]
	s_cmp_lg_u32 s12, 0
	v_mov_b32_e32 v1, v6
	s_cbranch_scc1 .LBB5_231
; %bb.232:
	v_mov_b32_e32 v2, v1
.LBB5_233:
	s_cbranch_execnz .LBB5_236
.LBB5_234:
	v_mul_hi_u32 v0, s25, v24
	v_add_u32_e32 v0, v24, v0
	v_lshrrev_b32_e32 v1, s26, v0
	v_mul_lo_u32 v0, v1, s24
	v_sub_u32_e32 v0, v24, v0
	v_mul_lo_u32 v2, v0, s29
	s_andn2_b64 vcc, exec, s[44:45]
	v_mul_lo_u32 v0, v0, s28
	s_cbranch_vccnz .LBB5_236
; %bb.235:
	v_mul_hi_u32 v3, s42, v1
	v_add_u32_e32 v3, v1, v3
	v_lshrrev_b32_e32 v3, s43, v3
	v_mul_lo_u32 v3, v3, s27
	v_sub_u32_e32 v3, v1, v3
	v_mad_u64_u32 v[0:1], s[8:9], v3, s30, v[0:1]
	v_mad_u64_u32 v[2:3], s[8:9], v3, s31, v[2:3]
.LBB5_236:
	global_load_ushort v1, v2, s[2:3]
	v_add_u32_e32 v24, 0x80, v24
	s_waitcnt vmcnt(0)
	v_and_b32_e32 v1, 0xffff8000, v1
	v_or_b32_e32 v1, v1, v4
	global_store_short v0, v1, s[0:1]
	s_or_b64 exec, exec, s[50:51]
	v_cmp_gt_i32_e32 vcc, s59, v24
	s_and_saveexec_b64 s[50:51], vcc
	s_cbranch_execz .LBB5_226
.LBB5_237:
	s_andn2_b64 vcc, exec, s[6:7]
	s_cbranch_vccnz .LBB5_243
; %bb.238:
	s_mov_b32 s52, 0
	s_andn2_b64 vcc, exec, s[48:49]
	v_mov_b32_e32 v2, 0
	v_mov_b32_e32 v0, 0
	s_cbranch_vccnz .LBB5_249
; %bb.239:
	s_add_i32 s60, s60, 1
	s_cmp_eq_u32 s58, 2
	s_cbranch_scc1 .LBB5_244
; %bb.240:
	s_and_b32 s52, s60, 28
	s_mov_b32 s53, 0
	v_mov_b32_e32 v0, 0
	s_mov_b64 s[48:49], s[34:35]
	v_mov_b32_e32 v3, v24
	v_mov_b32_e32 v2, 0
.LBB5_241:                              ; =>This Inner Loop Header: Depth=1
	s_load_dwordx8 s[16:23], s[48:49], 0x4
	s_load_dwordx4 s[36:39], s[48:49], 0x24
	s_load_dwordx8 s[8:15], s[46:47], 0x0
	s_add_u32 s48, s48, 48
	s_addc_u32 s49, s49, 0
	s_waitcnt lgkmcnt(0)
	v_mul_hi_u32 v1, s17, v3
	v_add_u32_e32 v1, v3, v1
	v_lshrrev_b32_e32 v1, s18, v1
	v_mul_lo_u32 v5, v1, s16
	v_mul_hi_u32 v6, s20, v1
	v_sub_u32_e32 v3, v3, v5
	v_add_u32_e32 v5, v1, v6
	v_lshrrev_b32_e32 v5, s21, v5
	v_mul_lo_u32 v7, v5, s19
	v_mul_hi_u32 v8, s23, v5
	v_sub_u32_e32 v1, v1, v7
	v_add_u32_e32 v7, v5, v8
	v_mul_lo_u32 v6, v3, s9
	v_mul_lo_u32 v3, v3, s8
	;; [unrolled: 1-line block ×4, first 2 shown]
	v_lshrrev_b32_e32 v7, s36, v7
	v_add3_u32 v0, v3, v0, v1
	v_mul_hi_u32 v3, s38, v7
	v_add_u32_e32 v3, v7, v3
	v_lshrrev_b32_e32 v3, s39, v3
	s_add_i32 s53, s53, 4
	v_add3_u32 v1, v6, v2, v8
	v_mul_lo_u32 v2, v7, s22
	v_mul_lo_u32 v6, v3, s37
	s_add_u32 s46, s46, 32
	v_sub_u32_e32 v2, v5, v2
	v_sub_u32_e32 v6, v7, v6
	s_addc_u32 s47, s47, 0
	v_mul_lo_u32 v5, v2, s12
	v_mul_lo_u32 v2, v2, s13
	;; [unrolled: 1-line block ×4, first 2 shown]
	s_cmp_eq_u32 s52, s53
	v_add3_u32 v2, v2, v1, v6
	v_add3_u32 v0, v5, v0, v7
	s_cbranch_scc0 .LBB5_241
; %bb.242:
	v_mov_b32_e32 v1, v2
	s_branch .LBB5_245
.LBB5_243:
                                        ; implicit-def: $vgpr2
                                        ; implicit-def: $vgpr0
	s_branch .LBB5_250
.LBB5_244:
	s_mov_b32 s53, s52
	v_pk_mov_b32 v[0:1], s[52:53], s[52:53] op_sel:[0,1]
                                        ; implicit-def: $vgpr2
	v_mov_b32_e32 v3, v24
.LBB5_245:
	s_and_b32 s12, s60, 3
	s_cmp_eq_u32 s12, 0
	s_cbranch_scc1 .LBB5_249
; %bb.246:
	s_lshl_b32 s8, s52, 3
	s_add_u32 s8, s8, s34
	s_addc_u32 s9, s35, 0
	s_add_u32 s8, s8, 0xc4
	s_addc_u32 s9, s9, 0
	s_mul_i32 s10, s52, 12
	s_add_u32 s10, s34, s10
	s_addc_u32 s11, s35, 0
.LBB5_247:                              ; =>This Inner Loop Header: Depth=1
	s_load_dwordx2 s[14:15], s[10:11], 0x4
	s_load_dword s13, s[10:11], 0xc
	s_load_dwordx2 s[16:17], s[8:9], 0x0
	v_mov_b32_e32 v2, v1
	s_add_u32 s10, s10, 12
	s_waitcnt lgkmcnt(0)
	v_mul_hi_u32 v1, s15, v3
	v_add_u32_e32 v1, v3, v1
	v_lshrrev_b32_e32 v1, s13, v1
	s_addc_u32 s11, s11, 0
	v_mul_lo_u32 v5, v1, s14
	s_add_u32 s8, s8, 8
	v_sub_u32_e32 v5, v3, v5
	v_mov_b32_e32 v3, v1
	s_addc_u32 s9, s9, 0
	s_add_i32 s12, s12, -1
	v_mad_u64_u32 v[6:7], s[14:15], v5, s17, v[2:3]
	v_mad_u64_u32 v[0:1], s[14:15], v5, s16, v[0:1]
	s_cmp_lg_u32 s12, 0
	v_mov_b32_e32 v1, v6
	s_cbranch_scc1 .LBB5_247
; %bb.248:
	v_mov_b32_e32 v2, v1
.LBB5_249:
	s_cbranch_execnz .LBB5_252
.LBB5_250:
	v_mul_hi_u32 v0, s25, v24
	v_add_u32_e32 v0, v24, v0
	v_lshrrev_b32_e32 v1, s26, v0
	v_mul_lo_u32 v0, v1, s24
	v_sub_u32_e32 v0, v24, v0
	v_mul_lo_u32 v2, v0, s29
	s_andn2_b64 vcc, exec, s[44:45]
	v_mul_lo_u32 v0, v0, s28
	s_cbranch_vccnz .LBB5_252
; %bb.251:
	v_mul_hi_u32 v3, s42, v1
	v_add_u32_e32 v3, v1, v3
	v_lshrrev_b32_e32 v3, s43, v3
	v_mul_lo_u32 v3, v3, s27
	v_sub_u32_e32 v3, v1, v3
	v_mad_u64_u32 v[0:1], s[8:9], v3, s30, v[0:1]
	v_mad_u64_u32 v[2:3], s[8:9], v3, s31, v[2:3]
.LBB5_252:
	global_load_ushort v1, v2, s[2:3]
	s_waitcnt vmcnt(0)
	v_and_b32_e32 v1, 0xffff8000, v1
	v_or_b32_e32 v1, v1, v4
	global_store_short v0, v1, s[0:1]
	s_or_b64 exec, exec, s[50:51]
                                        ; implicit-def: $vgpr31
                                        ; implicit-def: $vgpr24
	s_andn2_saveexec_b64 s[0:1], s[40:41]
	s_cbranch_execz .LBB5_227
	s_branch .LBB5_9
	.section	.rodata,"a",@progbits
	.p2align	6, 0x0
	.amdhsa_kernel _ZN2at6native32elementwise_kernel_manual_unrollILi128ELi8EZNS0_22gpu_kernel_impl_nocastINS0_13AUnaryFunctorIN3c104HalfES5_S5_ZNS0_20copysign_kernel_cudaERNS_18TensorIteratorBaseEEUlS5_S5_E_EEEEvS7_RKT_EUlibE_EEviT1_
		.amdhsa_group_segment_fixed_size 0
		.amdhsa_private_segment_fixed_size 0
		.amdhsa_kernarg_size 360
		.amdhsa_user_sgpr_count 6
		.amdhsa_user_sgpr_private_segment_buffer 1
		.amdhsa_user_sgpr_dispatch_ptr 0
		.amdhsa_user_sgpr_queue_ptr 0
		.amdhsa_user_sgpr_kernarg_segment_ptr 1
		.amdhsa_user_sgpr_dispatch_id 0
		.amdhsa_user_sgpr_flat_scratch_init 0
		.amdhsa_user_sgpr_kernarg_preload_length 0
		.amdhsa_user_sgpr_kernarg_preload_offset 0
		.amdhsa_user_sgpr_private_segment_size 0
		.amdhsa_uses_dynamic_stack 0
		.amdhsa_system_sgpr_private_segment_wavefront_offset 0
		.amdhsa_system_sgpr_workgroup_id_x 1
		.amdhsa_system_sgpr_workgroup_id_y 0
		.amdhsa_system_sgpr_workgroup_id_z 0
		.amdhsa_system_sgpr_workgroup_info 0
		.amdhsa_system_vgpr_workitem_id 0
		.amdhsa_next_free_vgpr 34
		.amdhsa_next_free_sgpr 62
		.amdhsa_accum_offset 36
		.amdhsa_reserve_vcc 1
		.amdhsa_reserve_flat_scratch 0
		.amdhsa_float_round_mode_32 0
		.amdhsa_float_round_mode_16_64 0
		.amdhsa_float_denorm_mode_32 3
		.amdhsa_float_denorm_mode_16_64 3
		.amdhsa_dx10_clamp 1
		.amdhsa_ieee_mode 1
		.amdhsa_fp16_overflow 0
		.amdhsa_tg_split 0
		.amdhsa_exception_fp_ieee_invalid_op 0
		.amdhsa_exception_fp_denorm_src 0
		.amdhsa_exception_fp_ieee_div_zero 0
		.amdhsa_exception_fp_ieee_overflow 0
		.amdhsa_exception_fp_ieee_underflow 0
		.amdhsa_exception_fp_ieee_inexact 0
		.amdhsa_exception_int_div_zero 0
	.end_amdhsa_kernel
	.section	.text._ZN2at6native32elementwise_kernel_manual_unrollILi128ELi8EZNS0_22gpu_kernel_impl_nocastINS0_13AUnaryFunctorIN3c104HalfES5_S5_ZNS0_20copysign_kernel_cudaERNS_18TensorIteratorBaseEEUlS5_S5_E_EEEEvS7_RKT_EUlibE_EEviT1_,"axG",@progbits,_ZN2at6native32elementwise_kernel_manual_unrollILi128ELi8EZNS0_22gpu_kernel_impl_nocastINS0_13AUnaryFunctorIN3c104HalfES5_S5_ZNS0_20copysign_kernel_cudaERNS_18TensorIteratorBaseEEUlS5_S5_E_EEEEvS7_RKT_EUlibE_EEviT1_,comdat
.Lfunc_end5:
	.size	_ZN2at6native32elementwise_kernel_manual_unrollILi128ELi8EZNS0_22gpu_kernel_impl_nocastINS0_13AUnaryFunctorIN3c104HalfES5_S5_ZNS0_20copysign_kernel_cudaERNS_18TensorIteratorBaseEEUlS5_S5_E_EEEEvS7_RKT_EUlibE_EEviT1_, .Lfunc_end5-_ZN2at6native32elementwise_kernel_manual_unrollILi128ELi8EZNS0_22gpu_kernel_impl_nocastINS0_13AUnaryFunctorIN3c104HalfES5_S5_ZNS0_20copysign_kernel_cudaERNS_18TensorIteratorBaseEEUlS5_S5_E_EEEEvS7_RKT_EUlibE_EEviT1_
                                        ; -- End function
	.section	.AMDGPU.csdata,"",@progbits
; Kernel info:
; codeLenInByte = 11636
; NumSgprs: 66
; NumVgprs: 34
; NumAgprs: 0
; TotalNumVgprs: 34
; ScratchSize: 0
; MemoryBound: 0
; FloatMode: 240
; IeeeMode: 1
; LDSByteSize: 0 bytes/workgroup (compile time only)
; SGPRBlocks: 8
; VGPRBlocks: 4
; NumSGPRsForWavesPerEU: 66
; NumVGPRsForWavesPerEU: 34
; AccumOffset: 36
; Occupancy: 8
; WaveLimiterHint : 1
; COMPUTE_PGM_RSRC2:SCRATCH_EN: 0
; COMPUTE_PGM_RSRC2:USER_SGPR: 6
; COMPUTE_PGM_RSRC2:TRAP_HANDLER: 0
; COMPUTE_PGM_RSRC2:TGID_X_EN: 1
; COMPUTE_PGM_RSRC2:TGID_Y_EN: 0
; COMPUTE_PGM_RSRC2:TGID_Z_EN: 0
; COMPUTE_PGM_RSRC2:TIDIG_COMP_CNT: 0
; COMPUTE_PGM_RSRC3_GFX90A:ACCUM_OFFSET: 8
; COMPUTE_PGM_RSRC3_GFX90A:TG_SPLIT: 0
	.section	.text._ZN2at6native32elementwise_kernel_manual_unrollILi128ELi4EZNS0_15gpu_kernel_implINS0_13AUnaryFunctorIN3c104HalfES5_S5_ZNS0_20copysign_kernel_cudaERNS_18TensorIteratorBaseEEUlS5_S5_E_EEEEvS7_RKT_EUlibE_EEviT1_,"axG",@progbits,_ZN2at6native32elementwise_kernel_manual_unrollILi128ELi4EZNS0_15gpu_kernel_implINS0_13AUnaryFunctorIN3c104HalfES5_S5_ZNS0_20copysign_kernel_cudaERNS_18TensorIteratorBaseEEUlS5_S5_E_EEEEvS7_RKT_EUlibE_EEviT1_,comdat
	.globl	_ZN2at6native32elementwise_kernel_manual_unrollILi128ELi4EZNS0_15gpu_kernel_implINS0_13AUnaryFunctorIN3c104HalfES5_S5_ZNS0_20copysign_kernel_cudaERNS_18TensorIteratorBaseEEUlS5_S5_E_EEEEvS7_RKT_EUlibE_EEviT1_ ; -- Begin function _ZN2at6native32elementwise_kernel_manual_unrollILi128ELi4EZNS0_15gpu_kernel_implINS0_13AUnaryFunctorIN3c104HalfES5_S5_ZNS0_20copysign_kernel_cudaERNS_18TensorIteratorBaseEEUlS5_S5_E_EEEEvS7_RKT_EUlibE_EEviT1_
	.p2align	8
	.type	_ZN2at6native32elementwise_kernel_manual_unrollILi128ELi4EZNS0_15gpu_kernel_implINS0_13AUnaryFunctorIN3c104HalfES5_S5_ZNS0_20copysign_kernel_cudaERNS_18TensorIteratorBaseEEUlS5_S5_E_EEEEvS7_RKT_EUlibE_EEviT1_,@function
_ZN2at6native32elementwise_kernel_manual_unrollILi128ELi4EZNS0_15gpu_kernel_implINS0_13AUnaryFunctorIN3c104HalfES5_S5_ZNS0_20copysign_kernel_cudaERNS_18TensorIteratorBaseEEUlS5_S5_E_EEEEvS7_RKT_EUlibE_EEviT1_: ; @_ZN2at6native32elementwise_kernel_manual_unrollILi128ELi4EZNS0_15gpu_kernel_implINS0_13AUnaryFunctorIN3c104HalfES5_S5_ZNS0_20copysign_kernel_cudaERNS_18TensorIteratorBaseEEUlS5_S5_E_EEEEvS7_RKT_EUlibE_EEviT1_
; %bb.0:
	s_load_dwordx8 s[8:15], s[4:5], 0x8
	s_load_dword s33, s[4:5], 0x0
	v_lshl_or_b32 v2, s6, 9, v0
	v_or_b32_e32 v0, 0x180, v2
	s_mov_b64 s[2:3], 0
	s_waitcnt lgkmcnt(0)
	s_lshr_b32 s14, s14, 16
	v_lshrrev_b16_e64 v3, 8, s15
	v_cmp_le_i32_e32 vcc, s33, v0
	s_mov_b64 s[6:7], 0
	s_and_saveexec_b64 s[0:1], vcc
	s_xor_b64 s[4:5], exec, s[0:1]
	s_cbranch_execz .LBB6_1027
; %bb.1:
	v_mov_b32_e32 v0, 0x7fff
	v_and_b32_e32 v5, s14, v0
	v_cmp_ne_u16_e32 vcc, 0, v5
	v_cndmask_b32_e64 v4, 0, 1, vcc
	v_cmp_gt_i32_e32 vcc, s33, v2
	s_mov_b64 s[20:21], -1
	s_mov_b64 s[22:23], 0
	s_mov_b64 s[16:17], 0
	s_and_saveexec_b64 s[18:19], vcc
	s_cbranch_execz .LBB6_252
; %bb.2:
	v_mul_lo_u32 v0, v2, s13
	v_ashrrev_i32_e32 v1, 31, v0
	v_mov_b32_e32 v6, s11
	v_add_co_u32_e32 v0, vcc, s10, v0
	v_addc_co_u32_e32 v1, vcc, v6, v1, vcc
	v_cmp_gt_i16_e32 vcc, 11, v3
	s_cbranch_vccnz .LBB6_9
; %bb.3:
	v_cmp_lt_i16_e32 vcc, 25, v3
	s_cbranch_vccz .LBB6_18
; %bb.4:
	v_cmp_lt_i16_e32 vcc, 28, v3
	s_cbranch_vccz .LBB6_22
	;; [unrolled: 3-line block ×4, first 2 shown]
; %bb.7:
	v_cmp_eq_u16_e32 vcc, 46, v3
	s_cbranch_vccz .LBB6_28
; %bb.8:
	global_load_dword v6, v[0:1], off
	s_mov_b64 s[0:1], -1
	s_waitcnt vmcnt(0)
	v_lshlrev_b32_e32 v6, 16, v6
	v_cvt_f16_f32_e32 v6, v6
	s_branch .LBB6_30
.LBB6_9:
                                        ; implicit-def: $vgpr6
	s_mov_b64 s[0:1], 0
	s_cbranch_execnz .LBB6_203
.LBB6_10:
	s_andn2_b64 vcc, exec, s[0:1]
	s_cbranch_vccnz .LBB6_250
.LBB6_11:
	s_waitcnt vmcnt(0)
	v_and_b32_e32 v0, 0xffff8000, v6
	v_or_b32_e32 v6, v0, v5
	v_mul_lo_u32 v0, v2, s12
	v_ashrrev_i32_e32 v1, 31, v0
	v_mov_b32_e32 v7, s9
	v_add_co_u32_e32 v0, vcc, s8, v0
	v_addc_co_u32_e32 v1, vcc, v7, v1, vcc
	v_mov_b32_e32 v7, 11
	v_cmp_lt_i16_sdwa s[0:1], s15, v7 src0_sel:BYTE_0 src1_sel:DWORD
	s_and_b64 vcc, exec, s[0:1]
	s_cbranch_vccnz .LBB6_19
; %bb.12:
	v_mov_b32_e32 v7, 25
	v_cmp_gt_i16_sdwa s[0:1], s15, v7 src0_sel:BYTE_0 src1_sel:DWORD
	s_and_b64 vcc, exec, s[0:1]
	s_cbranch_vccz .LBB6_23
; %bb.13:
	v_mov_b32_e32 v7, 28
	v_cmp_gt_i16_sdwa s[0:1], s15, v7 src0_sel:BYTE_0 src1_sel:DWORD
	s_and_b64 vcc, exec, s[0:1]
	s_cbranch_vccz .LBB6_25
	;; [unrolled: 5-line block ×4, first 2 shown]
; %bb.16:
	v_mov_b32_e32 v7, 46
	v_cmp_eq_u16_sdwa s[6:7], s15, v7 src0_sel:BYTE_0 src1_sel:DWORD
	s_mov_b64 s[20:21], 0
	s_mov_b64 s[0:1], -1
	s_and_b64 vcc, exec, s[6:7]
	s_mov_b64 s[6:7], 0
	s_cbranch_vccz .LBB6_34
; %bb.17:
	v_cvt_f32_f16_e32 v7, v6
	s_movk_i32 s0, 0x7fff
	v_mov_b32_e32 v8, 0x7fc0
	v_cmp_o_f16_e32 vcc, v6, v6
	v_bfe_u32 v9, v7, 16, 1
	v_add3_u32 v7, v7, v9, s0
	v_lshrrev_b32_e32 v7, 16, v7
	v_cndmask_b32_e32 v7, v8, v7, vcc
	global_store_dword v[0:1], v7, off
	s_mov_b64 s[6:7], -1
	s_mov_b64 s[0:1], 0
	s_branch .LBB6_34
.LBB6_18:
	s_mov_b64 s[0:1], 0
                                        ; implicit-def: $vgpr6
	s_cbranch_execnz .LBB6_168
	s_branch .LBB6_202
.LBB6_19:
	s_mov_b64 s[0:1], 0
	s_mov_b64 s[6:7], 0
	s_cbranch_execnz .LBB6_103
.LBB6_20:
	s_andn2_b64 vcc, exec, s[6:7]
	s_cbranch_vccnz .LBB6_141
.LBB6_21:
	v_add_u32_e32 v2, 0x80, v2
	s_mov_b64 s[20:21], -1
	s_branch .LBB6_251
.LBB6_22:
	s_mov_b64 s[6:7], -1
	s_mov_b64 s[0:1], 0
                                        ; implicit-def: $vgpr6
	s_branch .LBB6_149
.LBB6_23:
	s_mov_b64 s[20:21], -1
	s_mov_b64 s[0:1], 0
	s_mov_b64 s[6:7], 0
	s_branch .LBB6_61
.LBB6_24:
	s_mov_b64 s[6:7], -1
	s_mov_b64 s[0:1], 0
                                        ; implicit-def: $vgpr6
	s_branch .LBB6_144
.LBB6_25:
	s_mov_b64 s[20:21], -1
	s_mov_b64 s[0:1], 0
	s_mov_b64 s[6:7], 0
	s_branch .LBB6_44
.LBB6_26:
	s_mov_b64 s[6:7], -1
	s_branch .LBB6_29
.LBB6_27:
	s_mov_b64 s[20:21], -1
	s_mov_b64 s[0:1], 0
	s_mov_b64 s[6:7], 0
	s_branch .LBB6_40
.LBB6_28:
	s_mov_b64 s[16:17], -1
.LBB6_29:
	s_mov_b64 s[0:1], 0
                                        ; implicit-def: $vgpr6
.LBB6_30:
	s_and_b64 vcc, exec, s[6:7]
	s_cbranch_vccz .LBB6_143
; %bb.31:
	v_cmp_eq_u16_e32 vcc, 44, v3
	s_cbranch_vccz .LBB6_142
; %bb.32:
	global_load_ubyte v6, v[0:1], off
	s_movk_i32 s6, 0xff
	v_mov_b32_e32 v8, 0x7e00
	s_mov_b64 s[0:1], -1
	s_mov_b64 s[16:17], 0
	s_waitcnt vmcnt(0)
	v_lshlrev_b32_e32 v7, 23, v6
	v_cvt_f16_f32_e32 v7, v7
	v_cmp_ne_u32_e32 vcc, s6, v6
	v_cndmask_b32_e32 v7, v8, v7, vcc
	v_cmp_ne_u32_e32 vcc, 0, v6
	v_cndmask_b32_e32 v6, 0, v7, vcc
	s_branch .LBB6_143
.LBB6_33:
	s_mov_b64 s[20:21], -1
	s_mov_b64 s[0:1], 0
	s_mov_b64 s[6:7], 0
.LBB6_34:
	s_and_b64 vcc, exec, s[20:21]
	s_cbranch_vccz .LBB6_39
; %bb.35:
	v_mov_b32_e32 v7, 44
	v_cmp_eq_u16_sdwa s[20:21], s15, v7 src0_sel:BYTE_0 src1_sel:DWORD
	s_mov_b64 s[0:1], -1
	s_and_b64 vcc, exec, s[20:21]
	s_cbranch_vccz .LBB6_39
; %bb.36:
	v_cvt_f32_f16_e32 v7, v6
	s_movk_i32 s0, 0xff
	v_mov_b32_e32 v9, 0xff
	v_bfe_u32 v8, v7, 23, 8
	v_cmp_ne_u32_e32 vcc, s0, v8
	s_and_saveexec_b64 s[6:7], vcc
; %bb.37:
	s_mov_b32 s0, 0x3fffff
	v_lshrrev_b32_e32 v9, 23, v7
	v_and_b32_e32 v10, 0x400000, v7
	v_and_or_b32 v7, v7, s0, v8
	v_cmp_ne_u32_e32 vcc, 0, v10
	v_cmp_ne_u32_e64 s[0:1], 0, v7
	s_and_b64 s[0:1], vcc, s[0:1]
	v_cndmask_b32_e64 v7, 0, 1, s[0:1]
	v_add_u32_e32 v9, v9, v7
; %bb.38:
	s_or_b64 exec, exec, s[6:7]
	s_mov_b64 s[6:7], -1
	s_mov_b64 s[0:1], 0
	global_store_byte v[0:1], v9, off
.LBB6_39:
	s_mov_b64 s[20:21], 0
.LBB6_40:
	s_and_b64 vcc, exec, s[20:21]
	s_cbranch_vccz .LBB6_43
; %bb.41:
	v_mov_b32_e32 v7, 29
	v_cmp_eq_u16_sdwa s[20:21], s15, v7 src0_sel:BYTE_0 src1_sel:DWORD
	s_mov_b64 s[0:1], -1
	s_and_b64 vcc, exec, s[20:21]
	s_cbranch_vccz .LBB6_43
; %bb.42:
	v_cvt_f32_f16_e32 v7, v6
	v_mov_b32_e32 v9, 0
	s_mov_b64 s[6:7], -1
	s_mov_b64 s[0:1], 0
	v_cvt_u32_f32_e32 v8, v7
	s_mov_b64 s[20:21], 0
	global_store_dwordx2 v[0:1], v[8:9], off
	s_branch .LBB6_44
.LBB6_43:
	s_mov_b64 s[20:21], 0
.LBB6_44:
	s_and_b64 vcc, exec, s[20:21]
	s_cbranch_vccz .LBB6_60
; %bb.45:
	v_mov_b32_e32 v7, 27
	v_cmp_lt_i16_sdwa s[20:21], s15, v7 src0_sel:BYTE_0 src1_sel:DWORD
	s_mov_b64 s[6:7], -1
	s_and_b64 vcc, exec, s[20:21]
	s_cbranch_vccnz .LBB6_51
; %bb.46:
	v_cmp_gt_i16_sdwa s[20:21], s15, v7 src0_sel:BYTE_0 src1_sel:DWORD
	s_and_b64 vcc, exec, s[20:21]
	s_cbranch_vccz .LBB6_48
; %bb.47:
	v_cvt_f32_f16_e32 v7, v6
	s_mov_b64 s[6:7], 0
	v_cvt_u32_f32_e32 v7, v7
	global_store_dword v[0:1], v7, off
.LBB6_48:
	s_andn2_b64 vcc, exec, s[6:7]
	s_cbranch_vccnz .LBB6_50
; %bb.49:
	v_cvt_u16_f16_e32 v7, v6
	global_store_short v[0:1], v7, off
.LBB6_50:
	s_mov_b64 s[6:7], 0
.LBB6_51:
	s_andn2_b64 vcc, exec, s[6:7]
	s_cbranch_vccnz .LBB6_59
; %bb.52:
	v_cvt_f32_f16_e32 v7, v6
	s_mov_b32 s6, 0x43800000
	v_mov_b32_e32 v9, 0x80
	v_and_b32_e32 v8, 0x7fffffff, v7
	v_cmp_gt_u32_e32 vcc, s6, v8
	s_and_saveexec_b64 s[6:7], vcc
	s_cbranch_execz .LBB6_58
; %bb.53:
	s_mov_b32 s20, 0x3bffffff
	v_cmp_lt_u32_e32 vcc, s20, v8
	s_mov_b64 s[20:21], 0
                                        ; implicit-def: $vgpr8
	s_and_saveexec_b64 s[24:25], vcc
	s_xor_b64 s[24:25], exec, s[24:25]
	s_cbranch_execz .LBB6_279
; %bb.54:
	v_bfe_u32 v8, v7, 20, 1
	s_mov_b32 s26, 0x487ffff
	v_add3_u32 v8, v7, v8, s26
	s_mov_b64 s[20:21], exec
	v_lshrrev_b32_e32 v8, 20, v8
	s_or_saveexec_b64 s[24:25], s[24:25]
                                        ; implicit-def: $sgpr26
	s_xor_b64 exec, exec, s[24:25]
	s_cbranch_execnz .LBB6_280
.LBB6_55:
	s_or_b64 exec, exec, s[24:25]
	v_mov_b32_e32 v9, s26
	s_and_saveexec_b64 s[24:25], s[20:21]
.LBB6_56:
	v_lshrrev_b32_e32 v7, 24, v7
	s_movk_i32 s20, 0x80
	v_and_or_b32 v9, v7, s20, v8
.LBB6_57:
	s_or_b64 exec, exec, s[24:25]
.LBB6_58:
	s_or_b64 exec, exec, s[6:7]
	global_store_byte v[0:1], v9, off
.LBB6_59:
	s_mov_b64 s[6:7], -1
.LBB6_60:
	s_mov_b64 s[20:21], 0
.LBB6_61:
	s_and_b64 vcc, exec, s[20:21]
	s_cbranch_vccz .LBB6_102
; %bb.62:
	v_mov_b32_e32 v7, 22
	v_cmp_gt_i16_sdwa s[24:25], s15, v7 src0_sel:BYTE_0 src1_sel:DWORD
	s_mov_b64 s[20:21], -1
	s_and_b64 vcc, exec, s[24:25]
	s_cbranch_vccz .LBB6_94
; %bb.63:
	v_mov_b32_e32 v7, 24
	v_cmp_lt_i16_sdwa s[20:21], s15, v7 src0_sel:BYTE_0 src1_sel:DWORD
	s_mov_b64 s[6:7], -1
	s_and_b64 vcc, exec, s[20:21]
	s_cbranch_vccnz .LBB6_83
; %bb.64:
	v_cmp_gt_i16_sdwa s[20:21], s15, v7 src0_sel:BYTE_0 src1_sel:DWORD
	s_and_b64 vcc, exec, s[20:21]
	s_cbranch_vccz .LBB6_72
; %bb.65:
	v_cvt_f32_f16_e32 v7, v6
	s_mov_b32 s6, 0x47800000
	v_mov_b32_e32 v9, 0x80
	v_and_b32_e32 v8, 0x7fffffff, v7
	v_cmp_gt_u32_e32 vcc, s6, v8
	s_and_saveexec_b64 s[6:7], vcc
	s_cbranch_execz .LBB6_71
; %bb.66:
	s_mov_b32 s20, 0x37ffffff
	v_cmp_lt_u32_e32 vcc, s20, v8
	s_mov_b64 s[20:21], 0
                                        ; implicit-def: $vgpr8
	s_and_saveexec_b64 s[24:25], vcc
	s_xor_b64 s[24:25], exec, s[24:25]
	s_cbranch_execz .LBB6_283
; %bb.67:
	v_bfe_u32 v8, v7, 21, 1
	s_mov_b32 s26, 0x88fffff
	v_add3_u32 v8, v7, v8, s26
	s_mov_b64 s[20:21], exec
	v_lshrrev_b32_e32 v8, 21, v8
	s_or_saveexec_b64 s[24:25], s[24:25]
                                        ; implicit-def: $sgpr26
	s_xor_b64 exec, exec, s[24:25]
	s_cbranch_execnz .LBB6_284
.LBB6_68:
	s_or_b64 exec, exec, s[24:25]
	v_mov_b32_e32 v9, s26
	s_and_saveexec_b64 s[24:25], s[20:21]
.LBB6_69:
	v_lshrrev_b32_e32 v7, 24, v7
	s_movk_i32 s20, 0x80
	v_and_or_b32 v9, v7, s20, v8
.LBB6_70:
	s_or_b64 exec, exec, s[24:25]
.LBB6_71:
	s_or_b64 exec, exec, s[6:7]
	s_mov_b64 s[6:7], 0
	global_store_byte v[0:1], v9, off
.LBB6_72:
	s_and_b64 vcc, exec, s[6:7]
	s_cbranch_vccz .LBB6_82
; %bb.73:
	v_cvt_f32_f16_e32 v7, v6
	s_mov_b32 s6, 0x43f00000
                                        ; implicit-def: $vgpr8
	v_and_b32_e32 v9, 0x7fffffff, v7
	v_cmp_gt_u32_e32 vcc, s6, v9
	s_and_saveexec_b64 s[6:7], vcc
	s_xor_b64 s[6:7], exec, s[6:7]
	s_cbranch_execz .LBB6_79
; %bb.74:
	s_mov_b32 s20, 0x3c7fffff
	v_cmp_lt_u32_e32 vcc, s20, v9
                                        ; implicit-def: $vgpr8
	s_and_saveexec_b64 s[20:21], vcc
	s_xor_b64 s[20:21], exec, s[20:21]
; %bb.75:
	v_bfe_u32 v8, v7, 20, 1
	s_mov_b32 s24, 0x407ffff
	v_add3_u32 v8, v7, v8, s24
	v_lshrrev_b32_e32 v9, 20, v8
	v_and_b32_e32 v8, 0xff00000, v8
	s_mov_b32 s24, 0x7f00000
	v_mov_b32_e32 v10, 0x7e
	v_cmp_ne_u32_e32 vcc, s24, v8
	v_cndmask_b32_e32 v8, v10, v9, vcc
; %bb.76:
	s_andn2_saveexec_b64 s[20:21], s[20:21]
; %bb.77:
	s_mov_b32 s24, 0x46800000
	v_add_f32_e64 v8, |v7|, s24
; %bb.78:
	s_or_b64 exec, exec, s[20:21]
                                        ; implicit-def: $vgpr9
.LBB6_79:
	s_andn2_saveexec_b64 s[6:7], s[6:7]
; %bb.80:
	s_mov_b32 s20, 0x7f800000
	v_mov_b32_e32 v8, 0x7e
	v_mov_b32_e32 v10, 0x7f
	v_cmp_lt_u32_e32 vcc, s20, v9
	v_cndmask_b32_e32 v8, v8, v10, vcc
; %bb.81:
	s_or_b64 exec, exec, s[6:7]
	v_lshrrev_b32_e32 v7, 24, v7
	s_movk_i32 s6, 0x80
	v_and_or_b32 v7, v7, s6, v8
	global_store_byte v[0:1], v7, off
.LBB6_82:
	s_mov_b64 s[6:7], 0
.LBB6_83:
	s_andn2_b64 vcc, exec, s[6:7]
	s_cbranch_vccnz .LBB6_93
; %bb.84:
	v_cvt_f32_f16_e32 v7, v6
	s_mov_b32 s6, 0x47800000
                                        ; implicit-def: $vgpr8
	v_and_b32_e32 v9, 0x7fffffff, v7
	v_cmp_gt_u32_e32 vcc, s6, v9
	s_and_saveexec_b64 s[6:7], vcc
	s_xor_b64 s[6:7], exec, s[6:7]
	s_cbranch_execz .LBB6_90
; %bb.85:
	s_mov_b32 s20, 0x387fffff
	v_cmp_lt_u32_e32 vcc, s20, v9
                                        ; implicit-def: $vgpr8
	s_and_saveexec_b64 s[20:21], vcc
	s_xor_b64 s[20:21], exec, s[20:21]
; %bb.86:
	v_bfe_u32 v8, v7, 21, 1
	s_mov_b32 s24, 0x80fffff
	v_add3_u32 v8, v7, v8, s24
	v_lshrrev_b32_e32 v8, 21, v8
; %bb.87:
	s_andn2_saveexec_b64 s[20:21], s[20:21]
; %bb.88:
	s_mov_b32 s24, 0x43000000
	v_add_f32_e64 v8, |v7|, s24
; %bb.89:
	s_or_b64 exec, exec, s[20:21]
                                        ; implicit-def: $vgpr9
.LBB6_90:
	s_andn2_saveexec_b64 s[6:7], s[6:7]
; %bb.91:
	s_mov_b32 s20, 0x7f800000
	v_mov_b32_e32 v8, 0x7c
	v_mov_b32_e32 v10, 0x7f
	v_cmp_lt_u32_e32 vcc, s20, v9
	v_cndmask_b32_e32 v8, v8, v10, vcc
; %bb.92:
	s_or_b64 exec, exec, s[6:7]
	v_lshrrev_b32_e32 v7, 24, v7
	s_movk_i32 s6, 0x80
	v_and_or_b32 v7, v7, s6, v8
	global_store_byte v[0:1], v7, off
.LBB6_93:
	s_mov_b64 s[20:21], 0
	s_mov_b64 s[6:7], -1
.LBB6_94:
	s_andn2_b64 vcc, exec, s[20:21]
	s_cbranch_vccnz .LBB6_102
; %bb.95:
	v_mov_b32_e32 v7, 14
	v_cmp_gt_i16_sdwa s[24:25], s15, v7 src0_sel:BYTE_0 src1_sel:DWORD
	s_mov_b64 s[20:21], -1
	s_and_b64 vcc, exec, s[24:25]
	s_cbranch_vccz .LBB6_99
; %bb.96:
	v_mov_b32_e32 v7, 15
	v_cmp_eq_u16_sdwa s[20:21], s15, v7 src0_sel:BYTE_0 src1_sel:DWORD
	s_mov_b64 s[0:1], -1
	s_and_b64 vcc, exec, s[20:21]
	s_cbranch_vccz .LBB6_98
; %bb.97:
	v_cvt_f32_f16_e32 v7, v6
	s_movk_i32 s0, 0x7fff
	v_mov_b32_e32 v8, 0x7fc0
	v_cmp_o_f16_e32 vcc, v6, v6
	v_bfe_u32 v9, v7, 16, 1
	v_add3_u32 v7, v7, v9, s0
	v_lshrrev_b32_e32 v7, 16, v7
	v_cndmask_b32_e32 v7, v8, v7, vcc
	global_store_short v[0:1], v7, off
	s_mov_b64 s[6:7], -1
	s_mov_b64 s[0:1], 0
.LBB6_98:
	s_mov_b64 s[20:21], 0
.LBB6_99:
	s_and_b64 vcc, exec, s[20:21]
	s_cbranch_vccz .LBB6_102
; %bb.100:
	v_mov_b32_e32 v7, 11
	v_cmp_eq_u16_sdwa s[20:21], s15, v7 src0_sel:BYTE_0 src1_sel:DWORD
	s_mov_b64 s[0:1], -1
	s_and_b64 vcc, exec, s[20:21]
	s_cbranch_vccz .LBB6_102
; %bb.101:
	s_mov_b64 s[6:7], -1
	s_mov_b64 s[0:1], 0
	global_store_byte v[0:1], v4, off
.LBB6_102:
	s_branch .LBB6_20
.LBB6_103:
	v_mov_b32_e32 v7, 5
	v_cmp_lt_i16_sdwa s[20:21], s15, v7 src0_sel:BYTE_0 src1_sel:DWORD
	s_mov_b64 s[6:7], -1
	s_and_b64 vcc, exec, s[20:21]
	s_cbranch_vccnz .LBB6_124
; %bb.104:
	v_mov_b32_e32 v7, 8
	v_cmp_lt_i16_sdwa s[20:21], s15, v7 src0_sel:BYTE_0 src1_sel:DWORD
	s_and_b64 vcc, exec, s[20:21]
	s_cbranch_vccnz .LBB6_114
; %bb.105:
	v_mov_b32_e32 v7, 9
	v_cmp_lt_i16_sdwa s[20:21], s15, v7 src0_sel:BYTE_0 src1_sel:DWORD
	s_and_b64 vcc, exec, s[20:21]
	s_cbranch_vccnz .LBB6_111
; %bb.106:
	v_cmp_gt_i16_sdwa s[20:21], s15, v7 src0_sel:BYTE_0 src1_sel:DWORD
	s_and_b64 vcc, exec, s[20:21]
	s_cbranch_vccz .LBB6_108
; %bb.107:
	v_cvt_f32_f16_e32 v7, v6
	v_mov_b32_e32 v10, 0
	v_mov_b32_e32 v11, v10
	s_mov_b64 s[6:7], 0
	v_cvt_f64_f32_e32 v[8:9], v7
	global_store_dwordx4 v[0:1], v[8:11], off
.LBB6_108:
	s_andn2_b64 vcc, exec, s[6:7]
	s_cbranch_vccnz .LBB6_110
; %bb.109:
	v_cvt_f32_f16_e32 v8, v6
	v_mov_b32_e32 v9, 0
	global_store_dwordx2 v[0:1], v[8:9], off
.LBB6_110:
	s_mov_b64 s[6:7], 0
.LBB6_111:
	s_andn2_b64 vcc, exec, s[6:7]
	s_cbranch_vccnz .LBB6_113
; %bb.112:
	v_and_b32_e32 v7, 0xffff, v6
	global_store_dword v[0:1], v7, off
.LBB6_113:
	s_mov_b64 s[6:7], 0
.LBB6_114:
	s_andn2_b64 vcc, exec, s[6:7]
	s_cbranch_vccnz .LBB6_123
; %bb.115:
	v_mov_b32_e32 v7, 6
	v_cmp_lt_i16_sdwa s[20:21], s15, v7 src0_sel:BYTE_0 src1_sel:DWORD
	s_mov_b64 s[6:7], -1
	s_and_b64 vcc, exec, s[20:21]
	s_cbranch_vccnz .LBB6_121
; %bb.116:
	v_cmp_gt_i16_sdwa s[20:21], s15, v7 src0_sel:BYTE_0 src1_sel:DWORD
	s_and_b64 vcc, exec, s[20:21]
	s_cbranch_vccz .LBB6_118
; %bb.117:
	v_cvt_f32_f16_e32 v7, v6
	s_mov_b64 s[6:7], 0
	v_cvt_f64_f32_e32 v[8:9], v7
	global_store_dwordx2 v[0:1], v[8:9], off
.LBB6_118:
	s_andn2_b64 vcc, exec, s[6:7]
	s_cbranch_vccnz .LBB6_120
; %bb.119:
	v_cvt_f32_f16_e32 v7, v6
	global_store_dword v[0:1], v7, off
.LBB6_120:
	s_mov_b64 s[6:7], 0
.LBB6_121:
	s_andn2_b64 vcc, exec, s[6:7]
	s_cbranch_vccnz .LBB6_123
; %bb.122:
	global_store_short v[0:1], v6, off
.LBB6_123:
	s_mov_b64 s[6:7], 0
.LBB6_124:
	s_andn2_b64 vcc, exec, s[6:7]
	s_cbranch_vccnz .LBB6_140
; %bb.125:
	v_mov_b32_e32 v7, 2
	v_cmp_lt_i16_sdwa s[20:21], s15, v7 src0_sel:BYTE_0 src1_sel:DWORD
	s_mov_b64 s[6:7], -1
	s_and_b64 vcc, exec, s[20:21]
	s_cbranch_vccnz .LBB6_135
; %bb.126:
	v_mov_b32_e32 v7, 3
	v_cmp_lt_i16_sdwa s[20:21], s15, v7 src0_sel:BYTE_0 src1_sel:DWORD
	s_and_b64 vcc, exec, s[20:21]
	s_cbranch_vccnz .LBB6_132
; %bb.127:
	v_cmp_gt_i16_sdwa s[20:21], s15, v7 src0_sel:BYTE_0 src1_sel:DWORD
	s_and_b64 vcc, exec, s[20:21]
	s_cbranch_vccz .LBB6_129
; %bb.128:
	v_cvt_f32_f16_e32 v7, v6
	s_mov_b64 s[6:7], 0
	v_cvt_i32_f32_e32 v8, v7
	v_ashrrev_i32_e32 v9, 31, v8
	global_store_dwordx2 v[0:1], v[8:9], off
.LBB6_129:
	s_andn2_b64 vcc, exec, s[6:7]
	s_cbranch_vccnz .LBB6_131
; %bb.130:
	v_cvt_f32_f16_e32 v7, v6
	v_cvt_i32_f32_e32 v7, v7
	global_store_dword v[0:1], v7, off
.LBB6_131:
	s_mov_b64 s[6:7], 0
.LBB6_132:
	s_andn2_b64 vcc, exec, s[6:7]
	s_cbranch_vccnz .LBB6_134
; %bb.133:
	v_cvt_i16_f16_e32 v7, v6
	global_store_short v[0:1], v7, off
.LBB6_134:
	s_mov_b64 s[6:7], 0
.LBB6_135:
	s_andn2_b64 vcc, exec, s[6:7]
	s_cbranch_vccnz .LBB6_140
; %bb.136:
	v_mov_b32_e32 v7, 0
	v_cmp_gt_i16_sdwa s[20:21], s15, v7 src0_sel:BYTE_0 src1_sel:DWORD
	s_mov_b64 s[6:7], -1
	s_and_b64 vcc, exec, s[20:21]
	s_cbranch_vccz .LBB6_138
; %bb.137:
	v_cvt_i16_f16_e32 v7, v6
	global_store_byte v[0:1], v7, off
	s_mov_b64 s[6:7], 0
.LBB6_138:
	s_andn2_b64 vcc, exec, s[6:7]
	s_cbranch_vccnz .LBB6_140
; %bb.139:
	v_cvt_f32_f16_e32 v6, v6
	v_cvt_i32_f32_e32 v6, v6
	global_store_byte v[0:1], v6, off
.LBB6_140:
	s_branch .LBB6_21
.LBB6_141:
	s_mov_b64 s[20:21], 0
                                        ; implicit-def: $vgpr2
	s_branch .LBB6_251
.LBB6_142:
	s_mov_b64 s[16:17], -1
                                        ; implicit-def: $vgpr6
.LBB6_143:
	s_mov_b64 s[6:7], 0
.LBB6_144:
	s_and_b64 vcc, exec, s[6:7]
	s_cbranch_vccz .LBB6_148
; %bb.145:
	v_cmp_eq_u16_e32 vcc, 29, v3
	s_cbranch_vccz .LBB6_147
; %bb.146:
	global_load_dwordx2 v[6:7], v[0:1], off
	s_mov_b64 s[0:1], -1
	s_mov_b64 s[16:17], 0
	s_mov_b64 s[6:7], 0
	s_waitcnt vmcnt(0)
	v_ffbh_u32_e32 v8, v7
	v_min_u32_e32 v8, 32, v8
	v_lshlrev_b64 v[6:7], v8, v[6:7]
	v_min_u32_e32 v6, 1, v6
	v_or_b32_e32 v6, v7, v6
	v_cvt_f32_u32_e32 v6, v6
	v_sub_u32_e32 v7, 32, v8
	v_ldexp_f32 v6, v6, v7
	v_cvt_f16_f32_e32 v6, v6
	s_branch .LBB6_149
.LBB6_147:
	s_mov_b64 s[16:17], -1
                                        ; implicit-def: $vgpr6
.LBB6_148:
	s_mov_b64 s[6:7], 0
.LBB6_149:
	s_and_b64 vcc, exec, s[6:7]
	s_cbranch_vccz .LBB6_167
; %bb.150:
	v_cmp_gt_i16_e32 vcc, 27, v3
	s_cbranch_vccnz .LBB6_153
; %bb.151:
	v_cmp_lt_i16_e32 vcc, 27, v3
	s_cbranch_vccz .LBB6_154
; %bb.152:
	global_load_dword v6, v[0:1], off
	s_mov_b64 s[0:1], 0
	s_waitcnt vmcnt(0)
	v_cvt_f32_u32_e32 v6, v6
	v_cvt_f16_f32_e32 v6, v6
	s_branch .LBB6_155
.LBB6_153:
	s_mov_b64 s[0:1], -1
                                        ; implicit-def: $vgpr6
	s_branch .LBB6_158
.LBB6_154:
	s_mov_b64 s[0:1], -1
                                        ; implicit-def: $vgpr6
.LBB6_155:
	s_andn2_b64 vcc, exec, s[0:1]
	s_cbranch_vccnz .LBB6_157
; %bb.156:
	global_load_ushort v6, v[0:1], off
	s_waitcnt vmcnt(0)
	v_cvt_f16_u16_e32 v6, v6
.LBB6_157:
	s_mov_b64 s[0:1], 0
.LBB6_158:
	s_andn2_b64 vcc, exec, s[0:1]
	s_cbranch_vccnz .LBB6_166
; %bb.159:
	global_load_ubyte v7, v[0:1], off
	s_movk_i32 s0, 0x7f
                                        ; implicit-def: $sgpr24
	s_waitcnt vmcnt(0)
	v_cmp_lt_i16_e32 vcc, s0, v7
	s_mov_b64 s[0:1], 0
	s_and_saveexec_b64 s[6:7], vcc
	s_xor_b64 s[6:7], exec, s[6:7]
	s_cbranch_execz .LBB6_179
; %bb.160:
	s_movk_i32 s0, 0x80
	v_cmp_eq_u16_e32 vcc, s0, v7
	s_mov_b64 s[0:1], -1
                                        ; implicit-def: $sgpr24
	s_and_saveexec_b64 s[20:21], vcc
; %bb.161:
	s_movk_i32 s24, 0x7e00
	s_xor_b64 s[0:1], exec, -1
; %bb.162:
	s_or_b64 exec, exec, s[20:21]
	s_and_b64 s[0:1], s[0:1], exec
	s_or_saveexec_b64 s[6:7], s[6:7]
	v_mov_b32_e32 v6, s24
	s_xor_b64 exec, exec, s[6:7]
	s_cbranch_execnz .LBB6_180
.LBB6_163:
	s_or_b64 exec, exec, s[6:7]
	s_and_saveexec_b64 s[6:7], s[0:1]
	s_cbranch_execz .LBB6_165
.LBB6_164:
	v_lshlrev_b32_e32 v6, 24, v7
	v_and_b32_e32 v7, 0xffff, v7
	v_and_b32_e32 v8, 7, v7
	v_ffbh_u32_e32 v10, v8
	v_min_u32_e32 v10, 32, v10
	v_subrev_u32_e32 v11, 28, v10
	v_bfe_u32 v9, v7, 3, 4
	v_lshlrev_b32_e32 v7, v11, v7
	v_sub_u32_e32 v10, 29, v10
	v_and_b32_e32 v7, 7, v7
	v_cmp_eq_u32_e32 vcc, 0, v9
	v_cndmask_b32_e32 v9, v9, v10, vcc
	v_cndmask_b32_e32 v7, v8, v7, vcc
	v_mov_b32_e32 v8, 0x3b800000
	v_lshlrev_b32_e32 v7, 20, v7
	v_and_b32_e32 v6, 0x80000000, v6
	v_lshl_add_u32 v8, v9, 23, v8
	v_or3_b32 v6, v6, v8, v7
	v_cvt_f16_f32_e32 v6, v6
.LBB6_165:
	s_or_b64 exec, exec, s[6:7]
.LBB6_166:
	s_mov_b64 s[0:1], -1
.LBB6_167:
	s_branch .LBB6_202
.LBB6_168:
	v_cmp_lt_i16_e32 vcc, 22, v3
	s_cbranch_vccz .LBB6_178
; %bb.169:
	v_cmp_gt_i16_e32 vcc, 24, v3
	s_cbranch_vccnz .LBB6_181
; %bb.170:
	v_cmp_lt_i16_e32 vcc, 24, v3
	s_cbranch_vccz .LBB6_182
; %bb.171:
	global_load_ubyte v7, v[0:1], off
	s_movk_i32 s0, 0x7f
                                        ; implicit-def: $sgpr24
	s_waitcnt vmcnt(0)
	v_cmp_lt_i16_e32 vcc, s0, v7
	s_mov_b64 s[0:1], 0
	s_and_saveexec_b64 s[6:7], vcc
	s_xor_b64 s[6:7], exec, s[6:7]
	s_cbranch_execz .LBB6_194
; %bb.172:
	s_movk_i32 s0, 0x80
	v_cmp_eq_u16_e32 vcc, s0, v7
	s_mov_b64 s[0:1], -1
                                        ; implicit-def: $sgpr24
	s_and_saveexec_b64 s[20:21], vcc
; %bb.173:
	s_movk_i32 s24, 0x7e00
	s_xor_b64 s[0:1], exec, -1
; %bb.174:
	s_or_b64 exec, exec, s[20:21]
	s_and_b64 s[0:1], s[0:1], exec
	s_or_saveexec_b64 s[6:7], s[6:7]
	v_mov_b32_e32 v6, s24
	s_xor_b64 exec, exec, s[6:7]
	s_cbranch_execnz .LBB6_195
.LBB6_175:
	s_or_b64 exec, exec, s[6:7]
	s_and_saveexec_b64 s[6:7], s[0:1]
	s_cbranch_execz .LBB6_177
.LBB6_176:
	v_lshlrev_b32_e32 v6, 24, v7
	v_and_b32_e32 v7, 0xffff, v7
	v_and_b32_e32 v8, 3, v7
	v_ffbh_u32_e32 v10, v8
	v_min_u32_e32 v10, 32, v10
	v_subrev_u32_e32 v11, 29, v10
	v_bfe_u32 v9, v7, 2, 5
	v_lshlrev_b32_e32 v7, v11, v7
	v_sub_u32_e32 v10, 30, v10
	v_and_b32_e32 v7, 3, v7
	v_cmp_eq_u32_e32 vcc, 0, v9
	v_cndmask_b32_e32 v9, v9, v10, vcc
	v_cndmask_b32_e32 v7, v8, v7, vcc
	v_mov_b32_e32 v8, 0x37800000
	v_lshlrev_b32_e32 v7, 21, v7
	v_and_b32_e32 v6, 0x80000000, v6
	v_lshl_add_u32 v8, v9, 23, v8
	v_or3_b32 v6, v6, v8, v7
	v_cvt_f16_f32_e32 v6, v6
.LBB6_177:
	s_or_b64 exec, exec, s[6:7]
	s_mov_b64 s[0:1], 0
	s_branch .LBB6_183
.LBB6_178:
	s_mov_b64 s[6:7], -1
                                        ; implicit-def: $vgpr6
	s_branch .LBB6_189
.LBB6_179:
	s_or_saveexec_b64 s[6:7], s[6:7]
	v_mov_b32_e32 v6, s24
	s_xor_b64 exec, exec, s[6:7]
	s_cbranch_execz .LBB6_163
.LBB6_180:
	v_cmp_ne_u16_e32 vcc, 0, v7
	s_andn2_b64 s[0:1], s[0:1], exec
	s_and_b64 s[20:21], vcc, exec
	s_or_b64 s[0:1], s[0:1], s[20:21]
	v_mov_b32_e32 v6, v7
	s_or_b64 exec, exec, s[6:7]
	s_and_saveexec_b64 s[6:7], s[0:1]
	s_cbranch_execnz .LBB6_164
	s_branch .LBB6_165
.LBB6_181:
	s_mov_b64 s[0:1], -1
                                        ; implicit-def: $vgpr6
	s_branch .LBB6_186
.LBB6_182:
	s_mov_b64 s[0:1], -1
                                        ; implicit-def: $vgpr6
.LBB6_183:
	s_and_b64 vcc, exec, s[0:1]
	s_cbranch_vccz .LBB6_185
; %bb.184:
	global_load_ubyte v6, v[0:1], off
	s_mov_b32 s0, 0x7f800000
	s_waitcnt vmcnt(0)
	v_lshlrev_b32_e32 v6, 24, v6
	v_and_b32_e32 v7, 0x7f000000, v6
	v_ffbh_u32_e32 v8, v7
	v_min_u32_e32 v8, 32, v8
	v_sub_u32_e64 v8, v8, 4 clamp
	v_lshlrev_b32_e32 v10, v8, v7
	v_lshlrev_b32_e32 v8, 23, v8
	v_lshrrev_b32_e32 v10, 4, v10
	v_add_u32_e32 v9, 0x1000000, v7
	v_sub_u32_e32 v8, v10, v8
	v_ashrrev_i32_e32 v9, 8, v9
	v_add_u32_e32 v8, 0x3c000000, v8
	v_and_or_b32 v8, v9, s0, v8
	v_cmp_ne_u32_e32 vcc, 0, v7
	v_cndmask_b32_e32 v7, 0, v8, vcc
	s_brev_b32 s0, 1
	v_and_or_b32 v6, v6, s0, v7
	v_cvt_f16_f32_e32 v6, v6
.LBB6_185:
	s_mov_b64 s[0:1], 0
.LBB6_186:
	s_andn2_b64 vcc, exec, s[0:1]
	s_cbranch_vccnz .LBB6_188
; %bb.187:
	global_load_ubyte v6, v[0:1], off
	s_movk_i32 s0, 0x7f00
	s_brev_b32 s1, 16
	s_waitcnt vmcnt(0)
	v_lshlrev_b16_e32 v7, 8, v6
	v_lshlrev_b32_e32 v6, 25, v6
	v_lshrrev_b32_e32 v8, 4, v6
	v_and_or_b32 v9, v7, s0, 0.5
	v_or_b32_e32 v8, 0x70000000, v8
	v_add_f32_e32 v9, -0.5, v9
	v_mul_f32_e32 v8, 0x7800000, v8
	v_cmp_gt_u32_e32 vcc, s1, v6
	v_bfe_i32 v7, v7, 0, 16
	v_cndmask_b32_e32 v6, v8, v9, vcc
	s_brev_b32 s0, 1
	v_and_or_b32 v6, v7, s0, v6
	v_cvt_f16_f32_e32 v6, v6
.LBB6_188:
	s_mov_b64 s[6:7], 0
	s_mov_b64 s[0:1], -1
.LBB6_189:
	s_andn2_b64 vcc, exec, s[6:7]
	s_cbranch_vccnz .LBB6_202
; %bb.190:
	v_cmp_lt_i16_e32 vcc, 14, v3
	s_cbranch_vccz .LBB6_193
; %bb.191:
	v_cmp_eq_u16_e32 vcc, 15, v3
	s_cbranch_vccz .LBB6_196
; %bb.192:
	global_load_ushort v6, v[0:1], off
	s_mov_b64 s[0:1], -1
	s_mov_b64 s[16:17], 0
	s_waitcnt vmcnt(0)
	v_lshlrev_b32_e32 v6, 16, v6
	v_cvt_f16_f32_e32 v6, v6
	s_branch .LBB6_197
.LBB6_193:
	s_mov_b64 s[6:7], -1
                                        ; implicit-def: $vgpr6
	s_branch .LBB6_198
.LBB6_194:
	s_or_saveexec_b64 s[6:7], s[6:7]
	v_mov_b32_e32 v6, s24
	s_xor_b64 exec, exec, s[6:7]
	s_cbranch_execz .LBB6_175
.LBB6_195:
	v_cmp_ne_u16_e32 vcc, 0, v7
	s_andn2_b64 s[0:1], s[0:1], exec
	s_and_b64 s[20:21], vcc, exec
	s_or_b64 s[0:1], s[0:1], s[20:21]
	v_mov_b32_e32 v6, v7
	s_or_b64 exec, exec, s[6:7]
	s_and_saveexec_b64 s[6:7], s[0:1]
	s_cbranch_execnz .LBB6_176
	s_branch .LBB6_177
.LBB6_196:
	s_mov_b64 s[16:17], -1
                                        ; implicit-def: $vgpr6
.LBB6_197:
	s_mov_b64 s[6:7], 0
.LBB6_198:
	s_and_b64 vcc, exec, s[6:7]
	s_cbranch_vccz .LBB6_202
; %bb.199:
	v_cmp_eq_u16_e32 vcc, 11, v3
	s_cbranch_vccz .LBB6_201
; %bb.200:
	global_load_ubyte v6, v[0:1], off
	v_mov_b32_e32 v7, 0x3c00
	s_mov_b64 s[0:1], -1
	s_mov_b64 s[16:17], 0
	s_waitcnt vmcnt(0)
	v_cmp_ne_u16_e32 vcc, 0, v6
	v_cndmask_b32_e32 v6, 0, v7, vcc
	s_branch .LBB6_202
.LBB6_201:
	s_mov_b64 s[16:17], -1
                                        ; implicit-def: $vgpr6
.LBB6_202:
	s_branch .LBB6_10
.LBB6_203:
	v_cmp_gt_i16_e32 vcc, 5, v3
	s_cbranch_vccnz .LBB6_208
; %bb.204:
	v_cmp_gt_i16_e32 vcc, 8, v3
	s_cbranch_vccnz .LBB6_209
; %bb.205:
	;; [unrolled: 3-line block ×3, first 2 shown]
	v_cmp_lt_i16_e32 vcc, 9, v3
	s_cbranch_vccz .LBB6_211
; %bb.207:
	global_load_dwordx2 v[6:7], v[0:1], off
	s_mov_b64 s[0:1], 0
	s_waitcnt vmcnt(0)
	v_cvt_f32_f64_e32 v6, v[6:7]
	v_cvt_f16_f32_e32 v6, v6
	s_branch .LBB6_212
.LBB6_208:
                                        ; implicit-def: $vgpr6
	s_branch .LBB6_230
.LBB6_209:
	s_mov_b64 s[0:1], -1
                                        ; implicit-def: $vgpr6
	s_branch .LBB6_218
.LBB6_210:
	s_mov_b64 s[0:1], -1
                                        ; implicit-def: $vgpr6
	s_branch .LBB6_215
.LBB6_211:
	s_mov_b64 s[0:1], -1
                                        ; implicit-def: $vgpr6
.LBB6_212:
	s_andn2_b64 vcc, exec, s[0:1]
	s_cbranch_vccnz .LBB6_214
; %bb.213:
	global_load_dword v6, v[0:1], off
	s_waitcnt vmcnt(0)
	v_cvt_f16_f32_e32 v6, v6
.LBB6_214:
	s_mov_b64 s[0:1], 0
.LBB6_215:
	s_andn2_b64 vcc, exec, s[0:1]
	s_cbranch_vccnz .LBB6_217
; %bb.216:
	global_load_dword v6, v[0:1], off
.LBB6_217:
	s_mov_b64 s[0:1], 0
.LBB6_218:
	s_andn2_b64 vcc, exec, s[0:1]
	s_cbranch_vccnz .LBB6_229
; %bb.219:
	v_cmp_gt_i16_e32 vcc, 6, v3
	s_cbranch_vccnz .LBB6_222
; %bb.220:
	v_cmp_lt_i16_e32 vcc, 6, v3
	s_cbranch_vccz .LBB6_223
; %bb.221:
	global_load_dwordx2 v[6:7], v[0:1], off
	s_mov_b64 s[0:1], 0
	s_waitcnt vmcnt(0)
	v_cvt_f32_f64_e32 v6, v[6:7]
	v_cvt_f16_f32_e32 v6, v6
	s_branch .LBB6_224
.LBB6_222:
	s_mov_b64 s[0:1], -1
                                        ; implicit-def: $vgpr6
	s_branch .LBB6_227
.LBB6_223:
	s_mov_b64 s[0:1], -1
                                        ; implicit-def: $vgpr6
.LBB6_224:
	s_andn2_b64 vcc, exec, s[0:1]
	s_cbranch_vccnz .LBB6_226
; %bb.225:
	global_load_dword v6, v[0:1], off
	s_waitcnt vmcnt(0)
	v_cvt_f16_f32_e32 v6, v6
.LBB6_226:
	s_mov_b64 s[0:1], 0
.LBB6_227:
	s_andn2_b64 vcc, exec, s[0:1]
	s_cbranch_vccnz .LBB6_229
; %bb.228:
	global_load_ushort v6, v[0:1], off
.LBB6_229:
	s_cbranch_execnz .LBB6_249
.LBB6_230:
	v_cmp_gt_i16_e32 vcc, 2, v3
	s_cbranch_vccnz .LBB6_234
; %bb.231:
	v_cmp_gt_i16_e32 vcc, 3, v3
	s_cbranch_vccnz .LBB6_235
; %bb.232:
	v_cmp_lt_i16_e32 vcc, 3, v3
	s_cbranch_vccz .LBB6_236
; %bb.233:
	global_load_dwordx2 v[6:7], v[0:1], off
	s_mov_b64 s[0:1], 0
	s_waitcnt vmcnt(0)
	v_xor_b32_e32 v9, v6, v7
	v_ffbh_i32_e32 v8, v7
	v_ashrrev_i32_e32 v9, 31, v9
	v_add_u32_e32 v8, -1, v8
	v_add_u32_e32 v9, 32, v9
	v_min_u32_e32 v8, v8, v9
	v_lshlrev_b64 v[6:7], v8, v[6:7]
	v_min_u32_e32 v6, 1, v6
	v_or_b32_e32 v6, v7, v6
	v_cvt_f32_i32_e32 v6, v6
	v_sub_u32_e32 v7, 32, v8
	v_ldexp_f32 v6, v6, v7
	v_cvt_f16_f32_e32 v6, v6
	s_branch .LBB6_237
.LBB6_234:
	s_mov_b64 s[0:1], -1
                                        ; implicit-def: $vgpr6
	s_branch .LBB6_243
.LBB6_235:
	s_mov_b64 s[0:1], -1
                                        ; implicit-def: $vgpr6
	s_branch .LBB6_240
.LBB6_236:
	s_mov_b64 s[0:1], -1
                                        ; implicit-def: $vgpr6
.LBB6_237:
	s_andn2_b64 vcc, exec, s[0:1]
	s_cbranch_vccnz .LBB6_239
; %bb.238:
	global_load_dword v6, v[0:1], off
	s_waitcnt vmcnt(0)
	v_cvt_f32_i32_e32 v6, v6
	v_cvt_f16_f32_e32 v6, v6
.LBB6_239:
	s_mov_b64 s[0:1], 0
.LBB6_240:
	s_andn2_b64 vcc, exec, s[0:1]
	s_cbranch_vccnz .LBB6_242
; %bb.241:
	global_load_ushort v6, v[0:1], off
	s_waitcnt vmcnt(0)
	v_cvt_f16_i16_e32 v6, v6
.LBB6_242:
	s_mov_b64 s[0:1], 0
.LBB6_243:
	s_andn2_b64 vcc, exec, s[0:1]
	s_cbranch_vccnz .LBB6_249
; %bb.244:
	v_cmp_lt_i16_e32 vcc, 0, v3
	s_cbranch_vccz .LBB6_246
; %bb.245:
	global_load_sbyte v6, v[0:1], off
	s_mov_b64 s[0:1], 0
	s_waitcnt vmcnt(0)
	v_cvt_f16_i16_e32 v6, v6
	s_branch .LBB6_247
.LBB6_246:
	s_mov_b64 s[0:1], -1
                                        ; implicit-def: $vgpr6
.LBB6_247:
	s_andn2_b64 vcc, exec, s[0:1]
	s_cbranch_vccnz .LBB6_249
; %bb.248:
	global_load_ubyte v0, v[0:1], off
	s_waitcnt vmcnt(0)
	v_cvt_f16_u16_e32 v6, v0
.LBB6_249:
	s_branch .LBB6_11
.LBB6_250:
	s_mov_b64 s[0:1], 0
                                        ; implicit-def: $vgpr2
	s_mov_b64 s[20:21], 0
.LBB6_251:
	s_and_b64 s[6:7], s[0:1], exec
	s_and_b64 s[16:17], s[16:17], exec
	s_orn2_b64 s[20:21], s[20:21], exec
.LBB6_252:
	s_or_b64 exec, exec, s[18:19]
	s_mov_b64 s[24:25], 0
	s_mov_b64 s[0:1], 0
                                        ; implicit-def: $vgpr0_vgpr1
                                        ; implicit-def: $vgpr7
	s_and_saveexec_b64 s[18:19], s[20:21]
	s_cbranch_execz .LBB6_261
; %bb.253:
	v_cmp_gt_i32_e32 vcc, s33, v2
	s_mov_b64 s[0:1], -1
	s_mov_b64 s[20:21], s[16:17]
	s_mov_b64 s[22:23], s[6:7]
	s_and_saveexec_b64 s[24:25], vcc
	s_cbranch_execz .LBB6_513
; %bb.254:
	v_mul_lo_u32 v0, v2, s13
	v_ashrrev_i32_e32 v1, 31, v0
	s_waitcnt vmcnt(0)
	v_mov_b32_e32 v6, s11
	v_add_co_u32_e32 v0, vcc, s10, v0
	v_addc_co_u32_e32 v1, vcc, v6, v1, vcc
	v_cmp_gt_i16_e32 vcc, 11, v3
	s_cbranch_vccnz .LBB6_264
; %bb.255:
	v_cmp_lt_i16_e32 vcc, 25, v3
	s_cbranch_vccz .LBB6_273
; %bb.256:
	v_cmp_lt_i16_e32 vcc, 28, v3
	s_cbranch_vccz .LBB6_275
	;; [unrolled: 3-line block ×4, first 2 shown]
; %bb.259:
	v_cmp_eq_u16_e32 vcc, 46, v3
	s_mov_b64 s[22:23], 0
	s_cbranch_vccz .LBB6_285
; %bb.260:
	global_load_dword v6, v[0:1], off
	s_mov_b64 s[20:21], 0
	s_waitcnt vmcnt(0)
	v_lshlrev_b32_e32 v6, 16, v6
	v_cvt_f16_f32_e32 v6, v6
	s_branch .LBB6_286
.LBB6_261:
	s_or_b64 exec, exec, s[18:19]
	s_mov_b64 s[18:19], 0
	s_and_saveexec_b64 s[20:21], s[16:17]
	s_cbranch_execnz .LBB6_859
.LBB6_262:
	s_or_b64 exec, exec, s[20:21]
	s_and_saveexec_b64 s[16:17], s[22:23]
	s_xor_b64 s[16:17], exec, s[16:17]
	s_cbranch_execz .LBB6_860
.LBB6_263:
	global_load_ubyte v6, v[0:1], off
	v_mov_b32_e32 v7, 0x3c00
	s_or_b64 s[0:1], s[0:1], exec
	s_waitcnt vmcnt(0)
	v_cmp_ne_u16_e32 vcc, 0, v6
	v_cndmask_b32_e32 v7, 0, v7, vcc
	s_or_b64 exec, exec, s[16:17]
	s_and_saveexec_b64 s[16:17], s[24:25]
	s_cbranch_execz .LBB6_906
	s_branch .LBB6_861
.LBB6_264:
	s_mov_b64 s[0:1], 0
                                        ; implicit-def: $vgpr6
	s_mov_b64 s[20:21], s[16:17]
	s_cbranch_execnz .LBB6_463
.LBB6_265:
	s_andn2_b64 vcc, exec, s[0:1]
	s_cbranch_vccnz .LBB6_511
.LBB6_266:
	s_waitcnt vmcnt(0)
	v_and_b32_e32 v0, 0xffff8000, v6
	v_or_b32_e32 v6, v0, v5
	v_mul_lo_u32 v0, v2, s12
	v_ashrrev_i32_e32 v1, 31, v0
	v_mov_b32_e32 v7, s9
	v_add_co_u32_e32 v0, vcc, s8, v0
	v_addc_co_u32_e32 v1, vcc, v7, v1, vcc
	v_mov_b32_e32 v7, 11
	v_cmp_lt_i16_sdwa s[0:1], s15, v7 src0_sel:BYTE_0 src1_sel:DWORD
	s_and_b64 vcc, exec, s[0:1]
	s_cbranch_vccnz .LBB6_274
; %bb.267:
	v_mov_b32_e32 v7, 25
	v_cmp_gt_i16_sdwa s[0:1], s15, v7 src0_sel:BYTE_0 src1_sel:DWORD
	s_and_b64 vcc, exec, s[0:1]
	s_cbranch_vccz .LBB6_276
; %bb.268:
	v_mov_b32_e32 v7, 28
	v_cmp_gt_i16_sdwa s[0:1], s15, v7 src0_sel:BYTE_0 src1_sel:DWORD
	s_and_b64 vcc, exec, s[0:1]
	s_cbranch_vccz .LBB6_278
	;; [unrolled: 5-line block ×4, first 2 shown]
; %bb.271:
	v_mov_b32_e32 v7, 46
	v_cmp_eq_u16_sdwa s[22:23], s15, v7 src0_sel:BYTE_0 src1_sel:DWORD
	s_mov_b64 s[26:27], 0
	s_mov_b64 s[0:1], -1
	s_and_b64 vcc, exec, s[22:23]
	s_mov_b64 s[22:23], 0
	s_cbranch_vccz .LBB6_290
; %bb.272:
	v_cvt_f32_f16_e32 v7, v6
	s_movk_i32 s0, 0x7fff
	v_mov_b32_e32 v8, 0x7fc0
	v_cmp_o_f16_e32 vcc, v6, v6
	v_bfe_u32 v9, v7, 16, 1
	v_add3_u32 v7, v7, v9, s0
	v_lshrrev_b32_e32 v7, 16, v7
	v_cndmask_b32_e32 v7, v8, v7, vcc
	global_store_dword v[0:1], v7, off
	s_mov_b64 s[22:23], -1
	s_mov_b64 s[0:1], 0
	s_branch .LBB6_290
.LBB6_273:
	s_mov_b64 s[22:23], -1
	s_mov_b64 s[0:1], 0
	s_mov_b64 s[20:21], s[16:17]
                                        ; implicit-def: $vgpr6
	s_branch .LBB6_427
.LBB6_274:
	s_mov_b64 s[26:27], -1
	s_mov_b64 s[22:23], 0
	s_mov_b64 s[0:1], s[6:7]
	s_branch .LBB6_359
.LBB6_275:
	s_mov_b64 s[22:23], -1
	s_mov_b64 s[0:1], 0
	s_mov_b64 s[20:21], s[16:17]
                                        ; implicit-def: $vgpr6
	s_branch .LBB6_408
.LBB6_276:
	s_mov_b64 s[26:27], -1
	s_mov_b64 s[22:23], 0
	s_mov_b64 s[0:1], s[6:7]
	s_branch .LBB6_317
.LBB6_277:
	s_mov_b64 s[22:23], -1
	s_mov_b64 s[0:1], 0
	s_mov_b64 s[20:21], s[16:17]
                                        ; implicit-def: $vgpr6
	s_branch .LBB6_403
.LBB6_278:
	s_mov_b64 s[26:27], -1
	s_mov_b64 s[22:23], 0
	s_mov_b64 s[0:1], s[6:7]
	s_branch .LBB6_300
.LBB6_279:
	s_or_saveexec_b64 s[24:25], s[24:25]
                                        ; implicit-def: $sgpr26
	s_xor_b64 exec, exec, s[24:25]
	s_cbranch_execz .LBB6_55
.LBB6_280:
	s_mov_b32 s26, 0x46000000
	v_add_f32_e64 v8, |v7|, s26
	v_and_b32_e32 v8, 0xff, v8
	v_cmp_ne_u32_e32 vcc, 0, v8
	s_andn2_b64 s[20:21], s[20:21], exec
	s_and_b64 s[28:29], vcc, exec
	s_mov_b32 s26, 0
	s_or_b64 s[20:21], s[20:21], s[28:29]
	s_or_b64 exec, exec, s[24:25]
	v_mov_b32_e32 v9, s26
	s_and_saveexec_b64 s[24:25], s[20:21]
	s_cbranch_execnz .LBB6_56
	s_branch .LBB6_57
.LBB6_281:
	s_mov_b64 s[22:23], -1
	s_mov_b64 s[0:1], 0
	s_mov_b64 s[20:21], s[16:17]
                                        ; implicit-def: $vgpr6
	s_branch .LBB6_286
.LBB6_282:
	s_mov_b64 s[26:27], -1
	s_mov_b64 s[22:23], 0
	s_mov_b64 s[0:1], s[6:7]
	s_branch .LBB6_296
.LBB6_283:
	s_or_saveexec_b64 s[24:25], s[24:25]
                                        ; implicit-def: $sgpr26
	s_xor_b64 exec, exec, s[24:25]
	s_cbranch_execz .LBB6_68
.LBB6_284:
	s_mov_b32 s26, 0x42800000
	v_add_f32_e64 v8, |v7|, s26
	v_and_b32_e32 v8, 0xff, v8
	v_cmp_ne_u32_e32 vcc, 0, v8
	s_andn2_b64 s[20:21], s[20:21], exec
	s_and_b64 s[28:29], vcc, exec
	s_mov_b32 s26, 0
	s_or_b64 s[20:21], s[20:21], s[28:29]
	s_or_b64 exec, exec, s[24:25]
	v_mov_b32_e32 v9, s26
	s_and_saveexec_b64 s[24:25], s[20:21]
	s_cbranch_execnz .LBB6_69
	s_branch .LBB6_70
.LBB6_285:
	s_mov_b64 s[20:21], -1
                                        ; implicit-def: $vgpr6
	s_mov_b64 s[0:1], 0
.LBB6_286:
	s_and_b64 vcc, exec, s[22:23]
	s_cbranch_vccz .LBB6_402
; %bb.287:
	v_cmp_eq_u16_e32 vcc, 44, v3
	s_cbranch_vccz .LBB6_401
; %bb.288:
	global_load_ubyte v6, v[0:1], off
	s_movk_i32 s20, 0xff
	v_mov_b32_e32 v8, 0x7e00
	s_mov_b64 s[0:1], -1
	s_waitcnt vmcnt(0)
	v_lshlrev_b32_e32 v7, 23, v6
	v_cvt_f16_f32_e32 v7, v7
	v_cmp_ne_u32_e32 vcc, s20, v6
	s_mov_b64 s[20:21], 0
	v_cndmask_b32_e32 v7, v8, v7, vcc
	v_cmp_ne_u32_e32 vcc, 0, v6
	v_cndmask_b32_e32 v6, 0, v7, vcc
	s_branch .LBB6_402
.LBB6_289:
	s_mov_b64 s[26:27], -1
	s_mov_b64 s[22:23], 0
	s_mov_b64 s[0:1], s[6:7]
.LBB6_290:
	s_and_b64 vcc, exec, s[26:27]
	s_cbranch_vccz .LBB6_295
; %bb.291:
	v_mov_b32_e32 v7, 44
	v_cmp_eq_u16_sdwa s[26:27], s15, v7 src0_sel:BYTE_0 src1_sel:DWORD
	s_mov_b64 s[0:1], -1
	s_and_b64 vcc, exec, s[26:27]
	s_cbranch_vccz .LBB6_295
; %bb.292:
	v_cvt_f32_f16_e32 v7, v6
	s_movk_i32 s0, 0xff
	v_mov_b32_e32 v9, 0xff
	v_bfe_u32 v8, v7, 23, 8
	v_cmp_ne_u32_e32 vcc, s0, v8
	s_and_saveexec_b64 s[22:23], vcc
; %bb.293:
	s_mov_b32 s0, 0x3fffff
	v_lshrrev_b32_e32 v9, 23, v7
	v_and_b32_e32 v10, 0x400000, v7
	v_and_or_b32 v7, v7, s0, v8
	v_cmp_ne_u32_e32 vcc, 0, v10
	v_cmp_ne_u32_e64 s[0:1], 0, v7
	s_and_b64 s[0:1], vcc, s[0:1]
	v_cndmask_b32_e64 v7, 0, 1, s[0:1]
	v_add_u32_e32 v9, v9, v7
; %bb.294:
	s_or_b64 exec, exec, s[22:23]
	s_mov_b64 s[22:23], -1
	s_mov_b64 s[0:1], 0
	global_store_byte v[0:1], v9, off
.LBB6_295:
	s_mov_b64 s[26:27], 0
.LBB6_296:
	s_and_b64 vcc, exec, s[26:27]
	s_cbranch_vccz .LBB6_299
; %bb.297:
	v_mov_b32_e32 v7, 29
	v_cmp_eq_u16_sdwa s[26:27], s15, v7 src0_sel:BYTE_0 src1_sel:DWORD
	s_mov_b64 s[0:1], -1
	s_and_b64 vcc, exec, s[26:27]
	s_cbranch_vccz .LBB6_299
; %bb.298:
	v_cvt_f32_f16_e32 v7, v6
	v_mov_b32_e32 v9, 0
	s_mov_b64 s[22:23], -1
	s_mov_b64 s[0:1], 0
	v_cvt_u32_f32_e32 v8, v7
	s_mov_b64 s[26:27], 0
	global_store_dwordx2 v[0:1], v[8:9], off
	s_branch .LBB6_300
.LBB6_299:
	s_mov_b64 s[26:27], 0
.LBB6_300:
	s_and_b64 vcc, exec, s[26:27]
	s_cbranch_vccz .LBB6_316
; %bb.301:
	v_mov_b32_e32 v7, 27
	v_cmp_lt_i16_sdwa s[26:27], s15, v7 src0_sel:BYTE_0 src1_sel:DWORD
	s_mov_b64 s[22:23], -1
	s_and_b64 vcc, exec, s[26:27]
	s_cbranch_vccnz .LBB6_307
; %bb.302:
	v_cmp_gt_i16_sdwa s[26:27], s15, v7 src0_sel:BYTE_0 src1_sel:DWORD
	s_and_b64 vcc, exec, s[26:27]
	s_cbranch_vccz .LBB6_304
; %bb.303:
	v_cvt_f32_f16_e32 v7, v6
	s_mov_b64 s[22:23], 0
	v_cvt_u32_f32_e32 v7, v7
	global_store_dword v[0:1], v7, off
.LBB6_304:
	s_andn2_b64 vcc, exec, s[22:23]
	s_cbranch_vccnz .LBB6_306
; %bb.305:
	v_cvt_u16_f16_e32 v7, v6
	global_store_short v[0:1], v7, off
.LBB6_306:
	s_mov_b64 s[22:23], 0
.LBB6_307:
	s_andn2_b64 vcc, exec, s[22:23]
	s_cbranch_vccnz .LBB6_315
; %bb.308:
	v_cvt_f32_f16_e32 v7, v6
	s_mov_b32 s22, 0x43800000
	v_mov_b32_e32 v9, 0x80
	v_and_b32_e32 v8, 0x7fffffff, v7
	v_cmp_gt_u32_e32 vcc, s22, v8
	s_and_saveexec_b64 s[22:23], vcc
	s_cbranch_execz .LBB6_314
; %bb.309:
	s_mov_b32 s26, 0x3bffffff
	v_cmp_lt_u32_e32 vcc, s26, v8
	s_mov_b64 s[26:27], 0
                                        ; implicit-def: $vgpr8
	s_and_saveexec_b64 s[28:29], vcc
	s_xor_b64 s[28:29], exec, s[28:29]
	s_cbranch_execz .LBB6_526
; %bb.310:
	v_bfe_u32 v8, v7, 20, 1
	s_mov_b32 s30, 0x487ffff
	v_add3_u32 v8, v7, v8, s30
	s_mov_b64 s[26:27], exec
	v_lshrrev_b32_e32 v8, 20, v8
	s_or_saveexec_b64 s[28:29], s[28:29]
                                        ; implicit-def: $sgpr30
	s_xor_b64 exec, exec, s[28:29]
	s_cbranch_execnz .LBB6_527
.LBB6_311:
	s_or_b64 exec, exec, s[28:29]
	v_mov_b32_e32 v9, s30
	s_and_saveexec_b64 s[28:29], s[26:27]
.LBB6_312:
	v_lshrrev_b32_e32 v7, 24, v7
	s_movk_i32 s26, 0x80
	v_and_or_b32 v9, v7, s26, v8
.LBB6_313:
	s_or_b64 exec, exec, s[28:29]
.LBB6_314:
	s_or_b64 exec, exec, s[22:23]
	global_store_byte v[0:1], v9, off
.LBB6_315:
	s_mov_b64 s[22:23], -1
.LBB6_316:
	s_mov_b64 s[26:27], 0
.LBB6_317:
	s_and_b64 vcc, exec, s[26:27]
	s_cbranch_vccz .LBB6_358
; %bb.318:
	v_mov_b32_e32 v7, 22
	v_cmp_gt_i16_sdwa s[28:29], s15, v7 src0_sel:BYTE_0 src1_sel:DWORD
	s_mov_b64 s[26:27], -1
	s_and_b64 vcc, exec, s[28:29]
	s_cbranch_vccz .LBB6_350
; %bb.319:
	v_mov_b32_e32 v7, 24
	v_cmp_lt_i16_sdwa s[26:27], s15, v7 src0_sel:BYTE_0 src1_sel:DWORD
	s_mov_b64 s[22:23], -1
	s_and_b64 vcc, exec, s[26:27]
	s_cbranch_vccnz .LBB6_339
; %bb.320:
	v_cmp_gt_i16_sdwa s[26:27], s15, v7 src0_sel:BYTE_0 src1_sel:DWORD
	s_and_b64 vcc, exec, s[26:27]
	s_cbranch_vccz .LBB6_328
; %bb.321:
	v_cvt_f32_f16_e32 v7, v6
	s_mov_b32 s22, 0x47800000
	v_mov_b32_e32 v9, 0x80
	v_and_b32_e32 v8, 0x7fffffff, v7
	v_cmp_gt_u32_e32 vcc, s22, v8
	s_and_saveexec_b64 s[22:23], vcc
	s_cbranch_execz .LBB6_327
; %bb.322:
	s_mov_b32 s26, 0x37ffffff
	v_cmp_lt_u32_e32 vcc, s26, v8
	s_mov_b64 s[26:27], 0
                                        ; implicit-def: $vgpr8
	s_and_saveexec_b64 s[28:29], vcc
	s_xor_b64 s[28:29], exec, s[28:29]
	s_cbranch_execz .LBB6_529
; %bb.323:
	v_bfe_u32 v8, v7, 21, 1
	s_mov_b32 s30, 0x88fffff
	v_add3_u32 v8, v7, v8, s30
	s_mov_b64 s[26:27], exec
	v_lshrrev_b32_e32 v8, 21, v8
	s_or_saveexec_b64 s[28:29], s[28:29]
                                        ; implicit-def: $sgpr30
	s_xor_b64 exec, exec, s[28:29]
	s_cbranch_execnz .LBB6_530
.LBB6_324:
	s_or_b64 exec, exec, s[28:29]
	v_mov_b32_e32 v9, s30
	s_and_saveexec_b64 s[28:29], s[26:27]
.LBB6_325:
	v_lshrrev_b32_e32 v7, 24, v7
	s_movk_i32 s26, 0x80
	v_and_or_b32 v9, v7, s26, v8
.LBB6_326:
	s_or_b64 exec, exec, s[28:29]
.LBB6_327:
	s_or_b64 exec, exec, s[22:23]
	s_mov_b64 s[22:23], 0
	global_store_byte v[0:1], v9, off
.LBB6_328:
	s_and_b64 vcc, exec, s[22:23]
	s_cbranch_vccz .LBB6_338
; %bb.329:
	v_cvt_f32_f16_e32 v7, v6
	s_mov_b32 s22, 0x43f00000
                                        ; implicit-def: $vgpr8
	v_and_b32_e32 v9, 0x7fffffff, v7
	v_cmp_gt_u32_e32 vcc, s22, v9
	s_and_saveexec_b64 s[22:23], vcc
	s_xor_b64 s[22:23], exec, s[22:23]
	s_cbranch_execz .LBB6_335
; %bb.330:
	s_mov_b32 s26, 0x3c7fffff
	v_cmp_lt_u32_e32 vcc, s26, v9
                                        ; implicit-def: $vgpr8
	s_and_saveexec_b64 s[26:27], vcc
	s_xor_b64 s[26:27], exec, s[26:27]
; %bb.331:
	v_bfe_u32 v8, v7, 20, 1
	s_mov_b32 s28, 0x407ffff
	v_add3_u32 v8, v7, v8, s28
	v_lshrrev_b32_e32 v9, 20, v8
	v_and_b32_e32 v8, 0xff00000, v8
	s_mov_b32 s28, 0x7f00000
	v_mov_b32_e32 v10, 0x7e
	v_cmp_ne_u32_e32 vcc, s28, v8
	v_cndmask_b32_e32 v8, v10, v9, vcc
; %bb.332:
	s_andn2_saveexec_b64 s[26:27], s[26:27]
; %bb.333:
	s_mov_b32 s28, 0x46800000
	v_add_f32_e64 v8, |v7|, s28
; %bb.334:
	s_or_b64 exec, exec, s[26:27]
                                        ; implicit-def: $vgpr9
.LBB6_335:
	s_andn2_saveexec_b64 s[22:23], s[22:23]
; %bb.336:
	s_mov_b32 s26, 0x7f800000
	v_mov_b32_e32 v8, 0x7e
	v_mov_b32_e32 v10, 0x7f
	v_cmp_lt_u32_e32 vcc, s26, v9
	v_cndmask_b32_e32 v8, v8, v10, vcc
; %bb.337:
	s_or_b64 exec, exec, s[22:23]
	v_lshrrev_b32_e32 v7, 24, v7
	s_movk_i32 s22, 0x80
	v_and_or_b32 v7, v7, s22, v8
	global_store_byte v[0:1], v7, off
.LBB6_338:
	s_mov_b64 s[22:23], 0
.LBB6_339:
	s_andn2_b64 vcc, exec, s[22:23]
	s_cbranch_vccnz .LBB6_349
; %bb.340:
	v_cvt_f32_f16_e32 v7, v6
	s_mov_b32 s22, 0x47800000
                                        ; implicit-def: $vgpr8
	v_and_b32_e32 v9, 0x7fffffff, v7
	v_cmp_gt_u32_e32 vcc, s22, v9
	s_and_saveexec_b64 s[22:23], vcc
	s_xor_b64 s[22:23], exec, s[22:23]
	s_cbranch_execz .LBB6_346
; %bb.341:
	s_mov_b32 s26, 0x387fffff
	v_cmp_lt_u32_e32 vcc, s26, v9
                                        ; implicit-def: $vgpr8
	s_and_saveexec_b64 s[26:27], vcc
	s_xor_b64 s[26:27], exec, s[26:27]
; %bb.342:
	v_bfe_u32 v8, v7, 21, 1
	s_mov_b32 s28, 0x80fffff
	v_add3_u32 v8, v7, v8, s28
	v_lshrrev_b32_e32 v8, 21, v8
; %bb.343:
	s_andn2_saveexec_b64 s[26:27], s[26:27]
; %bb.344:
	s_mov_b32 s28, 0x43000000
	v_add_f32_e64 v8, |v7|, s28
; %bb.345:
	s_or_b64 exec, exec, s[26:27]
                                        ; implicit-def: $vgpr9
.LBB6_346:
	s_andn2_saveexec_b64 s[22:23], s[22:23]
; %bb.347:
	s_mov_b32 s26, 0x7f800000
	v_mov_b32_e32 v8, 0x7c
	v_mov_b32_e32 v10, 0x7f
	v_cmp_lt_u32_e32 vcc, s26, v9
	v_cndmask_b32_e32 v8, v8, v10, vcc
; %bb.348:
	s_or_b64 exec, exec, s[22:23]
	v_lshrrev_b32_e32 v7, 24, v7
	s_movk_i32 s22, 0x80
	v_and_or_b32 v7, v7, s22, v8
	global_store_byte v[0:1], v7, off
.LBB6_349:
	s_mov_b64 s[26:27], 0
	s_mov_b64 s[22:23], -1
.LBB6_350:
	s_andn2_b64 vcc, exec, s[26:27]
	s_cbranch_vccnz .LBB6_358
; %bb.351:
	v_mov_b32_e32 v7, 14
	v_cmp_gt_i16_sdwa s[28:29], s15, v7 src0_sel:BYTE_0 src1_sel:DWORD
	s_mov_b64 s[26:27], -1
	s_and_b64 vcc, exec, s[28:29]
	s_cbranch_vccz .LBB6_355
; %bb.352:
	v_mov_b32_e32 v7, 15
	v_cmp_eq_u16_sdwa s[26:27], s15, v7 src0_sel:BYTE_0 src1_sel:DWORD
	s_mov_b64 s[0:1], -1
	s_and_b64 vcc, exec, s[26:27]
	s_cbranch_vccz .LBB6_354
; %bb.353:
	v_cvt_f32_f16_e32 v7, v6
	s_movk_i32 s0, 0x7fff
	v_mov_b32_e32 v8, 0x7fc0
	v_cmp_o_f16_e32 vcc, v6, v6
	v_bfe_u32 v9, v7, 16, 1
	v_add3_u32 v7, v7, v9, s0
	v_lshrrev_b32_e32 v7, 16, v7
	v_cndmask_b32_e32 v7, v8, v7, vcc
	global_store_short v[0:1], v7, off
	s_mov_b64 s[22:23], -1
	s_mov_b64 s[0:1], 0
.LBB6_354:
	s_mov_b64 s[26:27], 0
.LBB6_355:
	s_and_b64 vcc, exec, s[26:27]
	s_cbranch_vccz .LBB6_358
; %bb.356:
	v_mov_b32_e32 v7, 11
	v_cmp_eq_u16_sdwa s[26:27], s15, v7 src0_sel:BYTE_0 src1_sel:DWORD
	s_mov_b64 s[0:1], -1
	s_and_b64 vcc, exec, s[26:27]
	s_cbranch_vccz .LBB6_358
; %bb.357:
	s_mov_b64 s[22:23], -1
	s_mov_b64 s[0:1], 0
	global_store_byte v[0:1], v4, off
.LBB6_358:
	s_mov_b64 s[26:27], 0
.LBB6_359:
	s_and_b64 vcc, exec, s[26:27]
	s_cbranch_vccz .LBB6_398
; %bb.360:
	v_mov_b32_e32 v7, 5
	v_cmp_lt_i16_sdwa s[26:27], s15, v7 src0_sel:BYTE_0 src1_sel:DWORD
	s_mov_b64 s[22:23], -1
	s_and_b64 vcc, exec, s[26:27]
	s_cbranch_vccnz .LBB6_381
; %bb.361:
	v_mov_b32_e32 v7, 8
	v_cmp_lt_i16_sdwa s[26:27], s15, v7 src0_sel:BYTE_0 src1_sel:DWORD
	s_and_b64 vcc, exec, s[26:27]
	s_cbranch_vccnz .LBB6_371
; %bb.362:
	v_mov_b32_e32 v7, 9
	v_cmp_lt_i16_sdwa s[26:27], s15, v7 src0_sel:BYTE_0 src1_sel:DWORD
	s_and_b64 vcc, exec, s[26:27]
	s_cbranch_vccnz .LBB6_368
; %bb.363:
	v_cmp_gt_i16_sdwa s[26:27], s15, v7 src0_sel:BYTE_0 src1_sel:DWORD
	s_and_b64 vcc, exec, s[26:27]
	s_cbranch_vccz .LBB6_365
; %bb.364:
	v_cvt_f32_f16_e32 v7, v6
	v_mov_b32_e32 v10, 0
	v_mov_b32_e32 v11, v10
	s_mov_b64 s[22:23], 0
	v_cvt_f64_f32_e32 v[8:9], v7
	global_store_dwordx4 v[0:1], v[8:11], off
.LBB6_365:
	s_andn2_b64 vcc, exec, s[22:23]
	s_cbranch_vccnz .LBB6_367
; %bb.366:
	v_cvt_f32_f16_e32 v8, v6
	v_mov_b32_e32 v9, 0
	global_store_dwordx2 v[0:1], v[8:9], off
.LBB6_367:
	s_mov_b64 s[22:23], 0
.LBB6_368:
	s_andn2_b64 vcc, exec, s[22:23]
	s_cbranch_vccnz .LBB6_370
; %bb.369:
	v_and_b32_e32 v7, 0xffff, v6
	global_store_dword v[0:1], v7, off
.LBB6_370:
	s_mov_b64 s[22:23], 0
.LBB6_371:
	s_andn2_b64 vcc, exec, s[22:23]
	s_cbranch_vccnz .LBB6_380
; %bb.372:
	v_mov_b32_e32 v7, 6
	v_cmp_lt_i16_sdwa s[26:27], s15, v7 src0_sel:BYTE_0 src1_sel:DWORD
	s_mov_b64 s[22:23], -1
	s_and_b64 vcc, exec, s[26:27]
	s_cbranch_vccnz .LBB6_378
; %bb.373:
	v_cmp_gt_i16_sdwa s[26:27], s15, v7 src0_sel:BYTE_0 src1_sel:DWORD
	s_and_b64 vcc, exec, s[26:27]
	s_cbranch_vccz .LBB6_375
; %bb.374:
	v_cvt_f32_f16_e32 v7, v6
	s_mov_b64 s[22:23], 0
	v_cvt_f64_f32_e32 v[8:9], v7
	global_store_dwordx2 v[0:1], v[8:9], off
.LBB6_375:
	s_andn2_b64 vcc, exec, s[22:23]
	s_cbranch_vccnz .LBB6_377
; %bb.376:
	v_cvt_f32_f16_e32 v7, v6
	global_store_dword v[0:1], v7, off
.LBB6_377:
	s_mov_b64 s[22:23], 0
.LBB6_378:
	s_andn2_b64 vcc, exec, s[22:23]
	s_cbranch_vccnz .LBB6_380
; %bb.379:
	global_store_short v[0:1], v6, off
.LBB6_380:
	s_mov_b64 s[22:23], 0
.LBB6_381:
	s_andn2_b64 vcc, exec, s[22:23]
	s_cbranch_vccnz .LBB6_397
; %bb.382:
	v_mov_b32_e32 v7, 2
	v_cmp_lt_i16_sdwa s[26:27], s15, v7 src0_sel:BYTE_0 src1_sel:DWORD
	s_mov_b64 s[22:23], -1
	s_and_b64 vcc, exec, s[26:27]
	s_cbranch_vccnz .LBB6_392
; %bb.383:
	v_mov_b32_e32 v7, 3
	v_cmp_lt_i16_sdwa s[26:27], s15, v7 src0_sel:BYTE_0 src1_sel:DWORD
	s_and_b64 vcc, exec, s[26:27]
	s_cbranch_vccnz .LBB6_389
; %bb.384:
	v_cmp_gt_i16_sdwa s[26:27], s15, v7 src0_sel:BYTE_0 src1_sel:DWORD
	s_and_b64 vcc, exec, s[26:27]
	s_cbranch_vccz .LBB6_386
; %bb.385:
	v_cvt_f32_f16_e32 v7, v6
	s_mov_b64 s[22:23], 0
	v_cvt_i32_f32_e32 v8, v7
	v_ashrrev_i32_e32 v9, 31, v8
	global_store_dwordx2 v[0:1], v[8:9], off
.LBB6_386:
	s_andn2_b64 vcc, exec, s[22:23]
	s_cbranch_vccnz .LBB6_388
; %bb.387:
	v_cvt_f32_f16_e32 v7, v6
	v_cvt_i32_f32_e32 v7, v7
	global_store_dword v[0:1], v7, off
.LBB6_388:
	s_mov_b64 s[22:23], 0
.LBB6_389:
	s_andn2_b64 vcc, exec, s[22:23]
	s_cbranch_vccnz .LBB6_391
; %bb.390:
	v_cvt_i16_f16_e32 v7, v6
	global_store_short v[0:1], v7, off
.LBB6_391:
	s_mov_b64 s[22:23], 0
.LBB6_392:
	s_andn2_b64 vcc, exec, s[22:23]
	s_cbranch_vccnz .LBB6_397
; %bb.393:
	v_mov_b32_e32 v7, 0
	v_cmp_gt_i16_sdwa s[26:27], s15, v7 src0_sel:BYTE_0 src1_sel:DWORD
	s_mov_b64 s[22:23], -1
	s_and_b64 vcc, exec, s[26:27]
	s_cbranch_vccz .LBB6_395
; %bb.394:
	v_cvt_i16_f16_e32 v7, v6
	s_mov_b64 s[22:23], 0
	global_store_byte v[0:1], v7, off
.LBB6_395:
	s_andn2_b64 vcc, exec, s[22:23]
	s_cbranch_vccnz .LBB6_397
; %bb.396:
	v_cvt_f32_f16_e32 v6, v6
	v_cvt_i32_f32_e32 v6, v6
	global_store_byte v[0:1], v6, off
.LBB6_397:
	s_mov_b64 s[22:23], -1
.LBB6_398:
	s_andn2_b64 vcc, exec, s[22:23]
	s_cbranch_vccnz .LBB6_400
; %bb.399:
	v_add_u32_e32 v2, 0x80, v2
	s_mov_b64 s[26:27], -1
	s_branch .LBB6_512
.LBB6_400:
	s_mov_b64 s[26:27], 0
                                        ; implicit-def: $vgpr2
	s_branch .LBB6_512
.LBB6_401:
	s_mov_b64 s[20:21], -1
                                        ; implicit-def: $vgpr6
.LBB6_402:
	s_mov_b64 s[22:23], 0
.LBB6_403:
	s_and_b64 vcc, exec, s[22:23]
	s_cbranch_vccz .LBB6_407
; %bb.404:
	v_cmp_eq_u16_e32 vcc, 29, v3
	s_cbranch_vccz .LBB6_406
; %bb.405:
	global_load_dwordx2 v[6:7], v[0:1], off
	s_mov_b64 s[0:1], -1
	s_mov_b64 s[20:21], 0
	s_mov_b64 s[22:23], 0
	s_waitcnt vmcnt(0)
	v_ffbh_u32_e32 v8, v7
	v_min_u32_e32 v8, 32, v8
	v_lshlrev_b64 v[6:7], v8, v[6:7]
	v_min_u32_e32 v6, 1, v6
	v_or_b32_e32 v6, v7, v6
	v_cvt_f32_u32_e32 v6, v6
	v_sub_u32_e32 v7, 32, v8
	v_ldexp_f32 v6, v6, v7
	v_cvt_f16_f32_e32 v6, v6
	s_branch .LBB6_408
.LBB6_406:
	s_mov_b64 s[20:21], -1
                                        ; implicit-def: $vgpr6
.LBB6_407:
	s_mov_b64 s[22:23], 0
.LBB6_408:
	s_and_b64 vcc, exec, s[22:23]
	s_cbranch_vccz .LBB6_426
; %bb.409:
	v_cmp_gt_i16_e32 vcc, 27, v3
	s_cbranch_vccnz .LBB6_412
; %bb.410:
	v_cmp_lt_i16_e32 vcc, 27, v3
	s_cbranch_vccz .LBB6_413
; %bb.411:
	global_load_dword v6, v[0:1], off
	s_mov_b64 s[0:1], 0
	s_waitcnt vmcnt(0)
	v_cvt_f32_u32_e32 v6, v6
	v_cvt_f16_f32_e32 v6, v6
	s_branch .LBB6_414
.LBB6_412:
	s_mov_b64 s[0:1], -1
                                        ; implicit-def: $vgpr6
	s_branch .LBB6_417
.LBB6_413:
	s_mov_b64 s[0:1], -1
                                        ; implicit-def: $vgpr6
.LBB6_414:
	s_andn2_b64 vcc, exec, s[0:1]
	s_cbranch_vccnz .LBB6_416
; %bb.415:
	global_load_ushort v6, v[0:1], off
	s_waitcnt vmcnt(0)
	v_cvt_f16_u16_e32 v6, v6
.LBB6_416:
	s_mov_b64 s[0:1], 0
.LBB6_417:
	s_andn2_b64 vcc, exec, s[0:1]
	s_cbranch_vccnz .LBB6_425
; %bb.418:
	global_load_ubyte v7, v[0:1], off
	s_movk_i32 s0, 0x7f
                                        ; implicit-def: $sgpr28
	s_waitcnt vmcnt(0)
	v_cmp_lt_i16_e32 vcc, s0, v7
	s_mov_b64 s[0:1], 0
	s_and_saveexec_b64 s[22:23], vcc
	s_xor_b64 s[22:23], exec, s[22:23]
	s_cbranch_execz .LBB6_439
; %bb.419:
	s_movk_i32 s0, 0x80
	v_cmp_eq_u16_e32 vcc, s0, v7
	s_mov_b64 s[0:1], -1
                                        ; implicit-def: $sgpr28
	s_and_saveexec_b64 s[26:27], vcc
; %bb.420:
	s_movk_i32 s28, 0x7e00
	s_xor_b64 s[0:1], exec, -1
; %bb.421:
	s_or_b64 exec, exec, s[26:27]
	s_and_b64 s[0:1], s[0:1], exec
	s_or_saveexec_b64 s[22:23], s[22:23]
	v_mov_b32_e32 v6, s28
	s_xor_b64 exec, exec, s[22:23]
	s_cbranch_execnz .LBB6_440
.LBB6_422:
	s_or_b64 exec, exec, s[22:23]
	s_and_saveexec_b64 s[22:23], s[0:1]
	s_cbranch_execz .LBB6_424
.LBB6_423:
	v_lshlrev_b32_e32 v6, 24, v7
	v_and_b32_e32 v7, 0xffff, v7
	v_and_b32_e32 v8, 7, v7
	v_ffbh_u32_e32 v10, v8
	v_min_u32_e32 v10, 32, v10
	v_subrev_u32_e32 v11, 28, v10
	v_bfe_u32 v9, v7, 3, 4
	v_lshlrev_b32_e32 v7, v11, v7
	v_sub_u32_e32 v10, 29, v10
	v_and_b32_e32 v7, 7, v7
	v_cmp_eq_u32_e32 vcc, 0, v9
	v_cndmask_b32_e32 v9, v9, v10, vcc
	v_cndmask_b32_e32 v7, v8, v7, vcc
	v_mov_b32_e32 v8, 0x3b800000
	v_lshlrev_b32_e32 v7, 20, v7
	v_and_b32_e32 v6, 0x80000000, v6
	v_lshl_add_u32 v8, v9, 23, v8
	v_or3_b32 v6, v6, v8, v7
	v_cvt_f16_f32_e32 v6, v6
.LBB6_424:
	s_or_b64 exec, exec, s[22:23]
.LBB6_425:
	s_mov_b64 s[0:1], -1
.LBB6_426:
	s_mov_b64 s[22:23], 0
.LBB6_427:
	s_and_b64 vcc, exec, s[22:23]
	s_cbranch_vccz .LBB6_462
; %bb.428:
	v_cmp_lt_i16_e32 vcc, 22, v3
	s_cbranch_vccz .LBB6_438
; %bb.429:
	v_cmp_gt_i16_e32 vcc, 24, v3
	s_cbranch_vccnz .LBB6_441
; %bb.430:
	v_cmp_lt_i16_e32 vcc, 24, v3
	s_cbranch_vccz .LBB6_442
; %bb.431:
	global_load_ubyte v7, v[0:1], off
	s_movk_i32 s0, 0x7f
                                        ; implicit-def: $sgpr28
	s_waitcnt vmcnt(0)
	v_cmp_lt_i16_e32 vcc, s0, v7
	s_mov_b64 s[0:1], 0
	s_and_saveexec_b64 s[22:23], vcc
	s_xor_b64 s[22:23], exec, s[22:23]
	s_cbranch_execz .LBB6_454
; %bb.432:
	s_movk_i32 s0, 0x80
	v_cmp_eq_u16_e32 vcc, s0, v7
	s_mov_b64 s[0:1], -1
                                        ; implicit-def: $sgpr28
	s_and_saveexec_b64 s[26:27], vcc
; %bb.433:
	s_movk_i32 s28, 0x7e00
	s_xor_b64 s[0:1], exec, -1
; %bb.434:
	s_or_b64 exec, exec, s[26:27]
	s_and_b64 s[0:1], s[0:1], exec
	s_or_saveexec_b64 s[22:23], s[22:23]
	v_mov_b32_e32 v6, s28
	s_xor_b64 exec, exec, s[22:23]
	s_cbranch_execnz .LBB6_455
.LBB6_435:
	s_or_b64 exec, exec, s[22:23]
	s_and_saveexec_b64 s[22:23], s[0:1]
	s_cbranch_execz .LBB6_437
.LBB6_436:
	v_lshlrev_b32_e32 v6, 24, v7
	v_and_b32_e32 v7, 0xffff, v7
	v_and_b32_e32 v8, 3, v7
	v_ffbh_u32_e32 v10, v8
	v_min_u32_e32 v10, 32, v10
	v_subrev_u32_e32 v11, 29, v10
	v_bfe_u32 v9, v7, 2, 5
	v_lshlrev_b32_e32 v7, v11, v7
	v_sub_u32_e32 v10, 30, v10
	v_and_b32_e32 v7, 3, v7
	v_cmp_eq_u32_e32 vcc, 0, v9
	v_cndmask_b32_e32 v9, v9, v10, vcc
	v_cndmask_b32_e32 v7, v8, v7, vcc
	v_mov_b32_e32 v8, 0x37800000
	v_lshlrev_b32_e32 v7, 21, v7
	v_and_b32_e32 v6, 0x80000000, v6
	v_lshl_add_u32 v8, v9, 23, v8
	v_or3_b32 v6, v6, v8, v7
	v_cvt_f16_f32_e32 v6, v6
.LBB6_437:
	s_or_b64 exec, exec, s[22:23]
	s_mov_b64 s[0:1], 0
	s_branch .LBB6_443
.LBB6_438:
	s_mov_b64 s[22:23], -1
                                        ; implicit-def: $vgpr6
	s_branch .LBB6_449
.LBB6_439:
	s_or_saveexec_b64 s[22:23], s[22:23]
	v_mov_b32_e32 v6, s28
	s_xor_b64 exec, exec, s[22:23]
	s_cbranch_execz .LBB6_422
.LBB6_440:
	v_cmp_ne_u16_e32 vcc, 0, v7
	s_andn2_b64 s[0:1], s[0:1], exec
	s_and_b64 s[26:27], vcc, exec
	s_or_b64 s[0:1], s[0:1], s[26:27]
	v_mov_b32_e32 v6, v7
	s_or_b64 exec, exec, s[22:23]
	s_and_saveexec_b64 s[22:23], s[0:1]
	s_cbranch_execnz .LBB6_423
	s_branch .LBB6_424
.LBB6_441:
	s_mov_b64 s[0:1], -1
                                        ; implicit-def: $vgpr6
	s_branch .LBB6_446
.LBB6_442:
	s_mov_b64 s[0:1], -1
                                        ; implicit-def: $vgpr6
.LBB6_443:
	s_and_b64 vcc, exec, s[0:1]
	s_cbranch_vccz .LBB6_445
; %bb.444:
	global_load_ubyte v6, v[0:1], off
	s_mov_b32 s0, 0x7f800000
	s_waitcnt vmcnt(0)
	v_lshlrev_b32_e32 v6, 24, v6
	v_and_b32_e32 v7, 0x7f000000, v6
	v_ffbh_u32_e32 v8, v7
	v_min_u32_e32 v8, 32, v8
	v_sub_u32_e64 v8, v8, 4 clamp
	v_lshlrev_b32_e32 v10, v8, v7
	v_lshlrev_b32_e32 v8, 23, v8
	v_lshrrev_b32_e32 v10, 4, v10
	v_add_u32_e32 v9, 0x1000000, v7
	v_sub_u32_e32 v8, v10, v8
	v_ashrrev_i32_e32 v9, 8, v9
	v_add_u32_e32 v8, 0x3c000000, v8
	v_and_or_b32 v8, v9, s0, v8
	v_cmp_ne_u32_e32 vcc, 0, v7
	v_cndmask_b32_e32 v7, 0, v8, vcc
	s_brev_b32 s0, 1
	v_and_or_b32 v6, v6, s0, v7
	v_cvt_f16_f32_e32 v6, v6
.LBB6_445:
	s_mov_b64 s[0:1], 0
.LBB6_446:
	s_andn2_b64 vcc, exec, s[0:1]
	s_cbranch_vccnz .LBB6_448
; %bb.447:
	global_load_ubyte v6, v[0:1], off
	s_movk_i32 s0, 0x7f00
	s_brev_b32 s1, 16
	s_waitcnt vmcnt(0)
	v_lshlrev_b16_e32 v7, 8, v6
	v_lshlrev_b32_e32 v6, 25, v6
	v_lshrrev_b32_e32 v8, 4, v6
	v_and_or_b32 v9, v7, s0, 0.5
	v_or_b32_e32 v8, 0x70000000, v8
	v_add_f32_e32 v9, -0.5, v9
	v_mul_f32_e32 v8, 0x7800000, v8
	v_cmp_gt_u32_e32 vcc, s1, v6
	v_bfe_i32 v7, v7, 0, 16
	v_cndmask_b32_e32 v6, v8, v9, vcc
	s_brev_b32 s0, 1
	v_and_or_b32 v6, v7, s0, v6
	v_cvt_f16_f32_e32 v6, v6
.LBB6_448:
	s_mov_b64 s[22:23], 0
	s_mov_b64 s[0:1], -1
.LBB6_449:
	s_andn2_b64 vcc, exec, s[22:23]
	s_cbranch_vccnz .LBB6_462
; %bb.450:
	v_cmp_lt_i16_e32 vcc, 14, v3
	s_cbranch_vccz .LBB6_453
; %bb.451:
	v_cmp_eq_u16_e32 vcc, 15, v3
	s_cbranch_vccz .LBB6_456
; %bb.452:
	global_load_ushort v6, v[0:1], off
	s_mov_b64 s[0:1], -1
	s_mov_b64 s[20:21], 0
	s_waitcnt vmcnt(0)
	v_lshlrev_b32_e32 v6, 16, v6
	v_cvt_f16_f32_e32 v6, v6
	s_branch .LBB6_457
.LBB6_453:
	s_mov_b64 s[22:23], -1
                                        ; implicit-def: $vgpr6
	s_branch .LBB6_458
.LBB6_454:
	s_or_saveexec_b64 s[22:23], s[22:23]
	v_mov_b32_e32 v6, s28
	s_xor_b64 exec, exec, s[22:23]
	s_cbranch_execz .LBB6_435
.LBB6_455:
	v_cmp_ne_u16_e32 vcc, 0, v7
	s_andn2_b64 s[0:1], s[0:1], exec
	s_and_b64 s[26:27], vcc, exec
	s_or_b64 s[0:1], s[0:1], s[26:27]
	v_mov_b32_e32 v6, v7
	s_or_b64 exec, exec, s[22:23]
	s_and_saveexec_b64 s[22:23], s[0:1]
	s_cbranch_execnz .LBB6_436
	s_branch .LBB6_437
.LBB6_456:
	s_mov_b64 s[20:21], -1
                                        ; implicit-def: $vgpr6
.LBB6_457:
	s_mov_b64 s[22:23], 0
.LBB6_458:
	s_and_b64 vcc, exec, s[22:23]
	s_cbranch_vccz .LBB6_462
; %bb.459:
	v_cmp_eq_u16_e32 vcc, 11, v3
	s_cbranch_vccz .LBB6_461
; %bb.460:
	global_load_ubyte v6, v[0:1], off
	v_mov_b32_e32 v7, 0x3c00
	s_mov_b64 s[0:1], -1
	s_mov_b64 s[20:21], 0
	s_waitcnt vmcnt(0)
	v_cmp_ne_u16_e32 vcc, 0, v6
	v_cndmask_b32_e32 v6, 0, v7, vcc
	s_branch .LBB6_462
.LBB6_461:
	s_mov_b64 s[20:21], -1
                                        ; implicit-def: $vgpr6
.LBB6_462:
	s_branch .LBB6_265
.LBB6_463:
	v_cmp_gt_i16_e32 vcc, 5, v3
	s_cbranch_vccnz .LBB6_468
; %bb.464:
	v_cmp_gt_i16_e32 vcc, 8, v3
	s_cbranch_vccnz .LBB6_469
; %bb.465:
	;; [unrolled: 3-line block ×3, first 2 shown]
	v_cmp_lt_i16_e32 vcc, 9, v3
	s_cbranch_vccz .LBB6_471
; %bb.467:
	global_load_dwordx2 v[6:7], v[0:1], off
	s_mov_b64 s[0:1], 0
	s_waitcnt vmcnt(0)
	v_cvt_f32_f64_e32 v6, v[6:7]
	v_cvt_f16_f32_e32 v6, v6
	s_branch .LBB6_472
.LBB6_468:
	s_mov_b64 s[0:1], -1
                                        ; implicit-def: $vgpr6
	s_branch .LBB6_490
.LBB6_469:
	s_mov_b64 s[0:1], -1
                                        ; implicit-def: $vgpr6
	s_branch .LBB6_478
.LBB6_470:
	s_mov_b64 s[0:1], -1
                                        ; implicit-def: $vgpr6
	s_branch .LBB6_475
.LBB6_471:
	s_mov_b64 s[0:1], -1
                                        ; implicit-def: $vgpr6
.LBB6_472:
	s_andn2_b64 vcc, exec, s[0:1]
	s_cbranch_vccnz .LBB6_474
; %bb.473:
	global_load_dword v6, v[0:1], off
	s_waitcnt vmcnt(0)
	v_cvt_f16_f32_e32 v6, v6
.LBB6_474:
	s_mov_b64 s[0:1], 0
.LBB6_475:
	s_andn2_b64 vcc, exec, s[0:1]
	s_cbranch_vccnz .LBB6_477
; %bb.476:
	global_load_dword v6, v[0:1], off
.LBB6_477:
	s_mov_b64 s[0:1], 0
.LBB6_478:
	s_andn2_b64 vcc, exec, s[0:1]
	s_cbranch_vccnz .LBB6_489
; %bb.479:
	v_cmp_gt_i16_e32 vcc, 6, v3
	s_cbranch_vccnz .LBB6_482
; %bb.480:
	v_cmp_lt_i16_e32 vcc, 6, v3
	s_cbranch_vccz .LBB6_483
; %bb.481:
	global_load_dwordx2 v[6:7], v[0:1], off
	s_mov_b64 s[0:1], 0
	s_waitcnt vmcnt(0)
	v_cvt_f32_f64_e32 v6, v[6:7]
	v_cvt_f16_f32_e32 v6, v6
	s_branch .LBB6_484
.LBB6_482:
	s_mov_b64 s[0:1], -1
                                        ; implicit-def: $vgpr6
	s_branch .LBB6_487
.LBB6_483:
	s_mov_b64 s[0:1], -1
                                        ; implicit-def: $vgpr6
.LBB6_484:
	s_andn2_b64 vcc, exec, s[0:1]
	s_cbranch_vccnz .LBB6_486
; %bb.485:
	global_load_dword v6, v[0:1], off
	s_waitcnt vmcnt(0)
	v_cvt_f16_f32_e32 v6, v6
.LBB6_486:
	s_mov_b64 s[0:1], 0
.LBB6_487:
	s_andn2_b64 vcc, exec, s[0:1]
	s_cbranch_vccnz .LBB6_489
; %bb.488:
	global_load_ushort v6, v[0:1], off
.LBB6_489:
	s_mov_b64 s[0:1], 0
.LBB6_490:
	s_andn2_b64 vcc, exec, s[0:1]
	s_cbranch_vccnz .LBB6_510
; %bb.491:
	v_cmp_gt_i16_e32 vcc, 2, v3
	s_cbranch_vccnz .LBB6_495
; %bb.492:
	v_cmp_gt_i16_e32 vcc, 3, v3
	s_cbranch_vccnz .LBB6_496
; %bb.493:
	v_cmp_lt_i16_e32 vcc, 3, v3
	s_cbranch_vccz .LBB6_497
; %bb.494:
	global_load_dwordx2 v[6:7], v[0:1], off
	s_mov_b64 s[0:1], 0
	s_waitcnt vmcnt(0)
	v_xor_b32_e32 v9, v6, v7
	v_ffbh_i32_e32 v8, v7
	v_ashrrev_i32_e32 v9, 31, v9
	v_add_u32_e32 v8, -1, v8
	v_add_u32_e32 v9, 32, v9
	v_min_u32_e32 v8, v8, v9
	v_lshlrev_b64 v[6:7], v8, v[6:7]
	v_min_u32_e32 v6, 1, v6
	v_or_b32_e32 v6, v7, v6
	v_cvt_f32_i32_e32 v6, v6
	v_sub_u32_e32 v7, 32, v8
	v_ldexp_f32 v6, v6, v7
	v_cvt_f16_f32_e32 v6, v6
	s_branch .LBB6_498
.LBB6_495:
	s_mov_b64 s[0:1], -1
                                        ; implicit-def: $vgpr6
	s_branch .LBB6_504
.LBB6_496:
	s_mov_b64 s[0:1], -1
                                        ; implicit-def: $vgpr6
	s_branch .LBB6_501
.LBB6_497:
	s_mov_b64 s[0:1], -1
                                        ; implicit-def: $vgpr6
.LBB6_498:
	s_andn2_b64 vcc, exec, s[0:1]
	s_cbranch_vccnz .LBB6_500
; %bb.499:
	global_load_dword v6, v[0:1], off
	s_waitcnt vmcnt(0)
	v_cvt_f32_i32_e32 v6, v6
	v_cvt_f16_f32_e32 v6, v6
.LBB6_500:
	s_mov_b64 s[0:1], 0
.LBB6_501:
	s_andn2_b64 vcc, exec, s[0:1]
	s_cbranch_vccnz .LBB6_503
; %bb.502:
	global_load_ushort v6, v[0:1], off
	s_waitcnt vmcnt(0)
	v_cvt_f16_i16_e32 v6, v6
.LBB6_503:
	s_mov_b64 s[0:1], 0
.LBB6_504:
	s_andn2_b64 vcc, exec, s[0:1]
	s_cbranch_vccnz .LBB6_510
; %bb.505:
	v_cmp_lt_i16_e32 vcc, 0, v3
	s_cbranch_vccz .LBB6_507
; %bb.506:
	global_load_sbyte v6, v[0:1], off
	s_mov_b64 s[0:1], 0
	s_waitcnt vmcnt(0)
	v_cvt_f16_i16_e32 v6, v6
	s_branch .LBB6_508
.LBB6_507:
	s_mov_b64 s[0:1], -1
                                        ; implicit-def: $vgpr6
.LBB6_508:
	s_andn2_b64 vcc, exec, s[0:1]
	s_cbranch_vccnz .LBB6_510
; %bb.509:
	global_load_ubyte v0, v[0:1], off
	s_waitcnt vmcnt(0)
	v_cvt_f16_u16_e32 v6, v0
.LBB6_510:
	s_branch .LBB6_266
.LBB6_511:
	s_mov_b64 s[26:27], 0
                                        ; implicit-def: $vgpr2
	s_mov_b64 s[0:1], s[6:7]
.LBB6_512:
	s_andn2_b64 s[22:23], s[6:7], exec
	s_and_b64 s[0:1], s[0:1], exec
	s_or_b64 s[22:23], s[22:23], s[0:1]
	s_andn2_b64 s[0:1], s[16:17], exec
	s_and_b64 s[20:21], s[20:21], exec
	s_or_b64 s[20:21], s[0:1], s[20:21]
	s_orn2_b64 s[0:1], s[26:27], exec
.LBB6_513:
	s_or_b64 exec, exec, s[24:25]
	s_mov_b64 s[26:27], 0
	s_mov_b64 s[28:29], 0
	;; [unrolled: 1-line block ×3, first 2 shown]
                                        ; implicit-def: $vgpr0_vgpr1
                                        ; implicit-def: $vgpr7
	s_and_saveexec_b64 s[24:25], s[0:1]
	s_cbranch_execz .LBB6_858
; %bb.514:
	v_cmp_gt_i32_e32 vcc, s33, v2
	s_mov_b64 s[36:37], -1
	s_mov_b64 s[0:1], s[20:21]
	s_mov_b64 s[30:31], s[22:23]
	s_and_saveexec_b64 s[26:27], vcc
	s_cbranch_execz .LBB6_772
; %bb.515:
	v_mul_lo_u32 v0, v2, s13
	v_ashrrev_i32_e32 v1, 31, v0
	s_waitcnt vmcnt(0)
	v_mov_b32_e32 v6, s11
	v_add_co_u32_e32 v0, vcc, s10, v0
	v_addc_co_u32_e32 v1, vcc, v6, v1, vcc
	v_cmp_gt_i16_e32 vcc, 11, v3
	s_cbranch_vccnz .LBB6_522
; %bb.516:
	v_cmp_lt_i16_e32 vcc, 25, v3
	s_cbranch_vccz .LBB6_523
; %bb.517:
	v_cmp_lt_i16_e32 vcc, 28, v3
	s_cbranch_vccz .LBB6_524
	;; [unrolled: 3-line block ×4, first 2 shown]
; %bb.520:
	v_cmp_eq_u16_e32 vcc, 46, v3
	s_mov_b64 s[30:31], 0
	s_cbranch_vccz .LBB6_531
; %bb.521:
	global_load_dword v6, v[0:1], off
	s_mov_b64 s[0:1], -1
	s_waitcnt vmcnt(0)
	v_lshlrev_b32_e32 v6, 16, v6
	v_cvt_f16_f32_e32 v6, v6
	s_branch .LBB6_532
.LBB6_522:
	s_mov_b64 s[30:31], -1
	s_mov_b64 s[0:1], 0
                                        ; implicit-def: $vgpr6
	s_mov_b64 s[28:29], s[20:21]
	s_branch .LBB6_597
.LBB6_523:
	s_mov_b64 s[30:31], -1
	s_mov_b64 s[0:1], 0
	s_mov_b64 s[28:29], s[20:21]
                                        ; implicit-def: $vgpr6
	s_branch .LBB6_561
.LBB6_524:
	s_mov_b64 s[30:31], -1
	s_mov_b64 s[0:1], 0
	s_mov_b64 s[28:29], s[20:21]
                                        ; implicit-def: $vgpr6
	s_branch .LBB6_542
.LBB6_525:
	s_mov_b64 s[30:31], -1
	s_mov_b64 s[0:1], 0
	s_mov_b64 s[28:29], s[20:21]
                                        ; implicit-def: $vgpr6
	s_branch .LBB6_537
.LBB6_526:
	s_or_saveexec_b64 s[28:29], s[28:29]
                                        ; implicit-def: $sgpr30
	s_xor_b64 exec, exec, s[28:29]
	s_cbranch_execz .LBB6_311
.LBB6_527:
	s_mov_b32 s30, 0x46000000
	v_add_f32_e64 v8, |v7|, s30
	v_and_b32_e32 v8, 0xff, v8
	v_cmp_ne_u32_e32 vcc, 0, v8
	s_andn2_b64 s[26:27], s[26:27], exec
	s_and_b64 s[34:35], vcc, exec
	s_mov_b32 s30, 0
	s_or_b64 s[26:27], s[26:27], s[34:35]
	s_or_b64 exec, exec, s[28:29]
	v_mov_b32_e32 v9, s30
	s_and_saveexec_b64 s[28:29], s[26:27]
	s_cbranch_execnz .LBB6_312
	s_branch .LBB6_313
.LBB6_528:
	s_mov_b64 s[30:31], -1
	s_mov_b64 s[0:1], 0
	s_mov_b64 s[28:29], s[20:21]
                                        ; implicit-def: $vgpr6
	s_branch .LBB6_532
.LBB6_529:
	s_or_saveexec_b64 s[28:29], s[28:29]
                                        ; implicit-def: $sgpr30
	s_xor_b64 exec, exec, s[28:29]
	s_cbranch_execz .LBB6_324
.LBB6_530:
	s_mov_b32 s30, 0x42800000
	v_add_f32_e64 v8, |v7|, s30
	v_and_b32_e32 v8, 0xff, v8
	v_cmp_ne_u32_e32 vcc, 0, v8
	s_andn2_b64 s[26:27], s[26:27], exec
	s_and_b64 s[34:35], vcc, exec
	s_mov_b32 s30, 0
	s_or_b64 s[26:27], s[26:27], s[34:35]
	s_or_b64 exec, exec, s[28:29]
	v_mov_b32_e32 v9, s30
	s_and_saveexec_b64 s[28:29], s[26:27]
	s_cbranch_execnz .LBB6_325
	s_branch .LBB6_326
.LBB6_531:
	s_mov_b64 s[28:29], -1
                                        ; implicit-def: $vgpr6
	s_mov_b64 s[0:1], 0
.LBB6_532:
	s_and_b64 vcc, exec, s[30:31]
	s_cbranch_vccz .LBB6_536
; %bb.533:
	v_cmp_eq_u16_e32 vcc, 44, v3
	s_cbranch_vccz .LBB6_535
; %bb.534:
	global_load_ubyte v6, v[0:1], off
	s_movk_i32 s28, 0xff
	v_mov_b32_e32 v8, 0x7e00
	s_mov_b64 s[0:1], -1
	s_waitcnt vmcnt(0)
	v_lshlrev_b32_e32 v7, 23, v6
	v_cvt_f16_f32_e32 v7, v7
	v_cmp_ne_u32_e32 vcc, s28, v6
	s_mov_b64 s[28:29], 0
	v_cndmask_b32_e32 v7, v8, v7, vcc
	v_cmp_ne_u32_e32 vcc, 0, v6
	v_cndmask_b32_e32 v6, 0, v7, vcc
	s_branch .LBB6_536
.LBB6_535:
	s_mov_b64 s[28:29], -1
                                        ; implicit-def: $vgpr6
.LBB6_536:
	s_mov_b64 s[30:31], 0
.LBB6_537:
	s_and_b64 vcc, exec, s[30:31]
	s_cbranch_vccz .LBB6_541
; %bb.538:
	v_cmp_eq_u16_e32 vcc, 29, v3
	s_cbranch_vccz .LBB6_540
; %bb.539:
	global_load_dwordx2 v[6:7], v[0:1], off
	s_mov_b64 s[0:1], -1
	s_mov_b64 s[28:29], 0
	s_mov_b64 s[30:31], 0
	s_waitcnt vmcnt(0)
	v_ffbh_u32_e32 v8, v7
	v_min_u32_e32 v8, 32, v8
	v_lshlrev_b64 v[6:7], v8, v[6:7]
	v_min_u32_e32 v6, 1, v6
	v_or_b32_e32 v6, v7, v6
	v_cvt_f32_u32_e32 v6, v6
	v_sub_u32_e32 v7, 32, v8
	v_ldexp_f32 v6, v6, v7
	v_cvt_f16_f32_e32 v6, v6
	s_branch .LBB6_542
.LBB6_540:
	s_mov_b64 s[28:29], -1
                                        ; implicit-def: $vgpr6
.LBB6_541:
	s_mov_b64 s[30:31], 0
.LBB6_542:
	s_and_b64 vcc, exec, s[30:31]
	s_cbranch_vccz .LBB6_560
; %bb.543:
	v_cmp_gt_i16_e32 vcc, 27, v3
	s_cbranch_vccnz .LBB6_546
; %bb.544:
	v_cmp_lt_i16_e32 vcc, 27, v3
	s_cbranch_vccz .LBB6_547
; %bb.545:
	global_load_dword v6, v[0:1], off
	s_mov_b64 s[0:1], 0
	s_waitcnt vmcnt(0)
	v_cvt_f32_u32_e32 v6, v6
	v_cvt_f16_f32_e32 v6, v6
	s_branch .LBB6_548
.LBB6_546:
	s_mov_b64 s[0:1], -1
                                        ; implicit-def: $vgpr6
	s_branch .LBB6_551
.LBB6_547:
	s_mov_b64 s[0:1], -1
                                        ; implicit-def: $vgpr6
.LBB6_548:
	s_andn2_b64 vcc, exec, s[0:1]
	s_cbranch_vccnz .LBB6_550
; %bb.549:
	global_load_ushort v6, v[0:1], off
	s_waitcnt vmcnt(0)
	v_cvt_f16_u16_e32 v6, v6
.LBB6_550:
	s_mov_b64 s[0:1], 0
.LBB6_551:
	s_andn2_b64 vcc, exec, s[0:1]
	s_cbranch_vccnz .LBB6_559
; %bb.552:
	global_load_ubyte v7, v[0:1], off
	s_movk_i32 s0, 0x7f
                                        ; implicit-def: $sgpr36
	s_waitcnt vmcnt(0)
	v_cmp_lt_i16_e32 vcc, s0, v7
	s_mov_b64 s[0:1], 0
	s_and_saveexec_b64 s[30:31], vcc
	s_xor_b64 s[30:31], exec, s[30:31]
	s_cbranch_execz .LBB6_573
; %bb.553:
	s_movk_i32 s0, 0x80
	v_cmp_eq_u16_e32 vcc, s0, v7
	s_mov_b64 s[0:1], -1
                                        ; implicit-def: $sgpr36
	s_and_saveexec_b64 s[34:35], vcc
; %bb.554:
	s_movk_i32 s36, 0x7e00
	s_xor_b64 s[0:1], exec, -1
; %bb.555:
	s_or_b64 exec, exec, s[34:35]
	s_and_b64 s[0:1], s[0:1], exec
	s_or_saveexec_b64 s[30:31], s[30:31]
	v_mov_b32_e32 v6, s36
	s_xor_b64 exec, exec, s[30:31]
	s_cbranch_execnz .LBB6_574
.LBB6_556:
	s_or_b64 exec, exec, s[30:31]
	s_and_saveexec_b64 s[30:31], s[0:1]
	s_cbranch_execz .LBB6_558
.LBB6_557:
	v_lshlrev_b32_e32 v6, 24, v7
	v_and_b32_e32 v7, 0xffff, v7
	v_and_b32_e32 v8, 7, v7
	v_ffbh_u32_e32 v10, v8
	v_min_u32_e32 v10, 32, v10
	v_subrev_u32_e32 v11, 28, v10
	v_bfe_u32 v9, v7, 3, 4
	v_lshlrev_b32_e32 v7, v11, v7
	v_sub_u32_e32 v10, 29, v10
	v_and_b32_e32 v7, 7, v7
	v_cmp_eq_u32_e32 vcc, 0, v9
	v_cndmask_b32_e32 v9, v9, v10, vcc
	v_cndmask_b32_e32 v7, v8, v7, vcc
	v_mov_b32_e32 v8, 0x3b800000
	v_lshlrev_b32_e32 v7, 20, v7
	v_and_b32_e32 v6, 0x80000000, v6
	v_lshl_add_u32 v8, v9, 23, v8
	v_or3_b32 v6, v6, v8, v7
	v_cvt_f16_f32_e32 v6, v6
.LBB6_558:
	s_or_b64 exec, exec, s[30:31]
.LBB6_559:
	s_mov_b64 s[0:1], -1
.LBB6_560:
	s_mov_b64 s[30:31], 0
.LBB6_561:
	s_and_b64 vcc, exec, s[30:31]
	s_cbranch_vccz .LBB6_596
; %bb.562:
	v_cmp_lt_i16_e32 vcc, 22, v3
	s_cbranch_vccz .LBB6_572
; %bb.563:
	v_cmp_gt_i16_e32 vcc, 24, v3
	s_cbranch_vccnz .LBB6_575
; %bb.564:
	v_cmp_lt_i16_e32 vcc, 24, v3
	s_cbranch_vccz .LBB6_576
; %bb.565:
	global_load_ubyte v7, v[0:1], off
	s_movk_i32 s0, 0x7f
                                        ; implicit-def: $sgpr36
	s_waitcnt vmcnt(0)
	v_cmp_lt_i16_e32 vcc, s0, v7
	s_mov_b64 s[0:1], 0
	s_and_saveexec_b64 s[30:31], vcc
	s_xor_b64 s[30:31], exec, s[30:31]
	s_cbranch_execz .LBB6_588
; %bb.566:
	s_movk_i32 s0, 0x80
	v_cmp_eq_u16_e32 vcc, s0, v7
	s_mov_b64 s[0:1], -1
                                        ; implicit-def: $sgpr36
	s_and_saveexec_b64 s[34:35], vcc
; %bb.567:
	s_movk_i32 s36, 0x7e00
	s_xor_b64 s[0:1], exec, -1
; %bb.568:
	s_or_b64 exec, exec, s[34:35]
	s_and_b64 s[0:1], s[0:1], exec
	s_or_saveexec_b64 s[30:31], s[30:31]
	v_mov_b32_e32 v6, s36
	s_xor_b64 exec, exec, s[30:31]
	s_cbranch_execnz .LBB6_589
.LBB6_569:
	s_or_b64 exec, exec, s[30:31]
	s_and_saveexec_b64 s[30:31], s[0:1]
	s_cbranch_execz .LBB6_571
.LBB6_570:
	v_lshlrev_b32_e32 v6, 24, v7
	v_and_b32_e32 v7, 0xffff, v7
	v_and_b32_e32 v8, 3, v7
	v_ffbh_u32_e32 v10, v8
	v_min_u32_e32 v10, 32, v10
	v_subrev_u32_e32 v11, 29, v10
	v_bfe_u32 v9, v7, 2, 5
	v_lshlrev_b32_e32 v7, v11, v7
	v_sub_u32_e32 v10, 30, v10
	v_and_b32_e32 v7, 3, v7
	v_cmp_eq_u32_e32 vcc, 0, v9
	v_cndmask_b32_e32 v9, v9, v10, vcc
	v_cndmask_b32_e32 v7, v8, v7, vcc
	v_mov_b32_e32 v8, 0x37800000
	v_lshlrev_b32_e32 v7, 21, v7
	v_and_b32_e32 v6, 0x80000000, v6
	v_lshl_add_u32 v8, v9, 23, v8
	v_or3_b32 v6, v6, v8, v7
	v_cvt_f16_f32_e32 v6, v6
.LBB6_571:
	s_or_b64 exec, exec, s[30:31]
	s_mov_b64 s[0:1], 0
	s_branch .LBB6_577
.LBB6_572:
	s_mov_b64 s[30:31], -1
                                        ; implicit-def: $vgpr6
	s_branch .LBB6_583
.LBB6_573:
	s_or_saveexec_b64 s[30:31], s[30:31]
	v_mov_b32_e32 v6, s36
	s_xor_b64 exec, exec, s[30:31]
	s_cbranch_execz .LBB6_556
.LBB6_574:
	v_cmp_ne_u16_e32 vcc, 0, v7
	s_andn2_b64 s[0:1], s[0:1], exec
	s_and_b64 s[34:35], vcc, exec
	s_or_b64 s[0:1], s[0:1], s[34:35]
	v_mov_b32_e32 v6, v7
	s_or_b64 exec, exec, s[30:31]
	s_and_saveexec_b64 s[30:31], s[0:1]
	s_cbranch_execnz .LBB6_557
	s_branch .LBB6_558
.LBB6_575:
	s_mov_b64 s[0:1], -1
                                        ; implicit-def: $vgpr6
	s_branch .LBB6_580
.LBB6_576:
	s_mov_b64 s[0:1], -1
                                        ; implicit-def: $vgpr6
.LBB6_577:
	s_and_b64 vcc, exec, s[0:1]
	s_cbranch_vccz .LBB6_579
; %bb.578:
	global_load_ubyte v6, v[0:1], off
	s_mov_b32 s0, 0x7f800000
	s_waitcnt vmcnt(0)
	v_lshlrev_b32_e32 v6, 24, v6
	v_and_b32_e32 v7, 0x7f000000, v6
	v_ffbh_u32_e32 v8, v7
	v_min_u32_e32 v8, 32, v8
	v_sub_u32_e64 v8, v8, 4 clamp
	v_lshlrev_b32_e32 v10, v8, v7
	v_lshlrev_b32_e32 v8, 23, v8
	v_lshrrev_b32_e32 v10, 4, v10
	v_add_u32_e32 v9, 0x1000000, v7
	v_sub_u32_e32 v8, v10, v8
	v_ashrrev_i32_e32 v9, 8, v9
	v_add_u32_e32 v8, 0x3c000000, v8
	v_and_or_b32 v8, v9, s0, v8
	v_cmp_ne_u32_e32 vcc, 0, v7
	v_cndmask_b32_e32 v7, 0, v8, vcc
	s_brev_b32 s0, 1
	v_and_or_b32 v6, v6, s0, v7
	v_cvt_f16_f32_e32 v6, v6
.LBB6_579:
	s_mov_b64 s[0:1], 0
.LBB6_580:
	s_andn2_b64 vcc, exec, s[0:1]
	s_cbranch_vccnz .LBB6_582
; %bb.581:
	global_load_ubyte v6, v[0:1], off
	s_movk_i32 s0, 0x7f00
	s_brev_b32 s1, 16
	s_waitcnt vmcnt(0)
	v_lshlrev_b16_e32 v7, 8, v6
	v_lshlrev_b32_e32 v6, 25, v6
	v_lshrrev_b32_e32 v8, 4, v6
	v_and_or_b32 v9, v7, s0, 0.5
	v_or_b32_e32 v8, 0x70000000, v8
	v_add_f32_e32 v9, -0.5, v9
	v_mul_f32_e32 v8, 0x7800000, v8
	v_cmp_gt_u32_e32 vcc, s1, v6
	v_bfe_i32 v7, v7, 0, 16
	v_cndmask_b32_e32 v6, v8, v9, vcc
	s_brev_b32 s0, 1
	v_and_or_b32 v6, v7, s0, v6
	v_cvt_f16_f32_e32 v6, v6
.LBB6_582:
	s_mov_b64 s[30:31], 0
	s_mov_b64 s[0:1], -1
.LBB6_583:
	s_andn2_b64 vcc, exec, s[30:31]
	s_cbranch_vccnz .LBB6_596
; %bb.584:
	v_cmp_lt_i16_e32 vcc, 14, v3
	s_cbranch_vccz .LBB6_587
; %bb.585:
	v_cmp_eq_u16_e32 vcc, 15, v3
	s_cbranch_vccz .LBB6_590
; %bb.586:
	global_load_ushort v6, v[0:1], off
	s_mov_b64 s[0:1], -1
	s_mov_b64 s[28:29], 0
	s_waitcnt vmcnt(0)
	v_lshlrev_b32_e32 v6, 16, v6
	v_cvt_f16_f32_e32 v6, v6
	s_branch .LBB6_591
.LBB6_587:
	s_mov_b64 s[30:31], -1
                                        ; implicit-def: $vgpr6
	s_branch .LBB6_592
.LBB6_588:
	s_or_saveexec_b64 s[30:31], s[30:31]
	v_mov_b32_e32 v6, s36
	s_xor_b64 exec, exec, s[30:31]
	s_cbranch_execz .LBB6_569
.LBB6_589:
	v_cmp_ne_u16_e32 vcc, 0, v7
	s_andn2_b64 s[0:1], s[0:1], exec
	s_and_b64 s[34:35], vcc, exec
	s_or_b64 s[0:1], s[0:1], s[34:35]
	v_mov_b32_e32 v6, v7
	s_or_b64 exec, exec, s[30:31]
	s_and_saveexec_b64 s[30:31], s[0:1]
	s_cbranch_execnz .LBB6_570
	s_branch .LBB6_571
.LBB6_590:
	s_mov_b64 s[28:29], -1
                                        ; implicit-def: $vgpr6
.LBB6_591:
	s_mov_b64 s[30:31], 0
.LBB6_592:
	s_and_b64 vcc, exec, s[30:31]
	s_cbranch_vccz .LBB6_596
; %bb.593:
	v_cmp_eq_u16_e32 vcc, 11, v3
	s_cbranch_vccz .LBB6_595
; %bb.594:
	global_load_ubyte v6, v[0:1], off
	v_mov_b32_e32 v7, 0x3c00
	s_mov_b64 s[0:1], -1
	s_mov_b64 s[28:29], 0
	s_waitcnt vmcnt(0)
	v_cmp_ne_u16_e32 vcc, 0, v6
	v_cndmask_b32_e32 v6, 0, v7, vcc
	s_branch .LBB6_596
.LBB6_595:
	s_mov_b64 s[28:29], -1
                                        ; implicit-def: $vgpr6
.LBB6_596:
	s_mov_b64 s[30:31], 0
.LBB6_597:
	s_and_b64 vcc, exec, s[30:31]
	s_cbranch_vccz .LBB6_646
; %bb.598:
	v_cmp_gt_i16_e32 vcc, 5, v3
	s_cbranch_vccnz .LBB6_603
; %bb.599:
	v_cmp_gt_i16_e32 vcc, 8, v3
	s_cbranch_vccnz .LBB6_604
	;; [unrolled: 3-line block ×3, first 2 shown]
; %bb.601:
	v_cmp_lt_i16_e32 vcc, 9, v3
	s_cbranch_vccz .LBB6_606
; %bb.602:
	global_load_dwordx2 v[6:7], v[0:1], off
	s_mov_b64 s[0:1], 0
	s_waitcnt vmcnt(0)
	v_cvt_f32_f64_e32 v6, v[6:7]
	v_cvt_f16_f32_e32 v6, v6
	s_branch .LBB6_607
.LBB6_603:
	s_mov_b64 s[0:1], -1
                                        ; implicit-def: $vgpr6
	s_branch .LBB6_625
.LBB6_604:
	s_mov_b64 s[0:1], -1
                                        ; implicit-def: $vgpr6
	s_branch .LBB6_613
.LBB6_605:
	s_mov_b64 s[0:1], -1
                                        ; implicit-def: $vgpr6
	s_branch .LBB6_610
.LBB6_606:
	s_mov_b64 s[0:1], -1
                                        ; implicit-def: $vgpr6
.LBB6_607:
	s_andn2_b64 vcc, exec, s[0:1]
	s_cbranch_vccnz .LBB6_609
; %bb.608:
	global_load_dword v6, v[0:1], off
	s_waitcnt vmcnt(0)
	v_cvt_f16_f32_e32 v6, v6
.LBB6_609:
	s_mov_b64 s[0:1], 0
.LBB6_610:
	s_andn2_b64 vcc, exec, s[0:1]
	s_cbranch_vccnz .LBB6_612
; %bb.611:
	global_load_dword v6, v[0:1], off
.LBB6_612:
	s_mov_b64 s[0:1], 0
.LBB6_613:
	s_andn2_b64 vcc, exec, s[0:1]
	s_cbranch_vccnz .LBB6_624
; %bb.614:
	v_cmp_gt_i16_e32 vcc, 6, v3
	s_cbranch_vccnz .LBB6_617
; %bb.615:
	v_cmp_lt_i16_e32 vcc, 6, v3
	s_cbranch_vccz .LBB6_618
; %bb.616:
	global_load_dwordx2 v[6:7], v[0:1], off
	s_mov_b64 s[0:1], 0
	s_waitcnt vmcnt(0)
	v_cvt_f32_f64_e32 v6, v[6:7]
	v_cvt_f16_f32_e32 v6, v6
	s_branch .LBB6_619
.LBB6_617:
	s_mov_b64 s[0:1], -1
                                        ; implicit-def: $vgpr6
	s_branch .LBB6_622
.LBB6_618:
	s_mov_b64 s[0:1], -1
                                        ; implicit-def: $vgpr6
.LBB6_619:
	s_andn2_b64 vcc, exec, s[0:1]
	s_cbranch_vccnz .LBB6_621
; %bb.620:
	global_load_dword v6, v[0:1], off
	s_waitcnt vmcnt(0)
	v_cvt_f16_f32_e32 v6, v6
.LBB6_621:
	s_mov_b64 s[0:1], 0
.LBB6_622:
	s_andn2_b64 vcc, exec, s[0:1]
	s_cbranch_vccnz .LBB6_624
; %bb.623:
	global_load_ushort v6, v[0:1], off
.LBB6_624:
	s_mov_b64 s[0:1], 0
.LBB6_625:
	s_andn2_b64 vcc, exec, s[0:1]
	s_cbranch_vccnz .LBB6_645
; %bb.626:
	v_cmp_gt_i16_e32 vcc, 2, v3
	s_cbranch_vccnz .LBB6_630
; %bb.627:
	v_cmp_gt_i16_e32 vcc, 3, v3
	s_cbranch_vccnz .LBB6_631
; %bb.628:
	v_cmp_lt_i16_e32 vcc, 3, v3
	s_cbranch_vccz .LBB6_632
; %bb.629:
	global_load_dwordx2 v[6:7], v[0:1], off
	s_mov_b64 s[0:1], 0
	s_waitcnt vmcnt(0)
	v_xor_b32_e32 v9, v6, v7
	v_ffbh_i32_e32 v8, v7
	v_ashrrev_i32_e32 v9, 31, v9
	v_add_u32_e32 v8, -1, v8
	v_add_u32_e32 v9, 32, v9
	v_min_u32_e32 v8, v8, v9
	v_lshlrev_b64 v[6:7], v8, v[6:7]
	v_min_u32_e32 v6, 1, v6
	v_or_b32_e32 v6, v7, v6
	v_cvt_f32_i32_e32 v6, v6
	v_sub_u32_e32 v7, 32, v8
	v_ldexp_f32 v6, v6, v7
	v_cvt_f16_f32_e32 v6, v6
	s_branch .LBB6_633
.LBB6_630:
	s_mov_b64 s[0:1], -1
                                        ; implicit-def: $vgpr6
	s_branch .LBB6_639
.LBB6_631:
	s_mov_b64 s[0:1], -1
                                        ; implicit-def: $vgpr6
	s_branch .LBB6_636
.LBB6_632:
	s_mov_b64 s[0:1], -1
                                        ; implicit-def: $vgpr6
.LBB6_633:
	s_andn2_b64 vcc, exec, s[0:1]
	s_cbranch_vccnz .LBB6_635
; %bb.634:
	global_load_dword v6, v[0:1], off
	s_waitcnt vmcnt(0)
	v_cvt_f32_i32_e32 v6, v6
	v_cvt_f16_f32_e32 v6, v6
.LBB6_635:
	s_mov_b64 s[0:1], 0
.LBB6_636:
	s_andn2_b64 vcc, exec, s[0:1]
	s_cbranch_vccnz .LBB6_638
; %bb.637:
	global_load_ushort v6, v[0:1], off
	s_waitcnt vmcnt(0)
	v_cvt_f16_i16_e32 v6, v6
.LBB6_638:
	s_mov_b64 s[0:1], 0
.LBB6_639:
	s_andn2_b64 vcc, exec, s[0:1]
	s_cbranch_vccnz .LBB6_645
; %bb.640:
	v_cmp_lt_i16_e32 vcc, 0, v3
	s_cbranch_vccz .LBB6_642
; %bb.641:
	global_load_sbyte v6, v[0:1], off
	s_mov_b64 s[0:1], 0
	s_waitcnt vmcnt(0)
	v_cvt_f16_i16_e32 v6, v6
	s_branch .LBB6_643
.LBB6_642:
	s_mov_b64 s[0:1], -1
                                        ; implicit-def: $vgpr6
.LBB6_643:
	s_andn2_b64 vcc, exec, s[0:1]
	s_cbranch_vccnz .LBB6_645
; %bb.644:
	global_load_ubyte v0, v[0:1], off
	s_waitcnt vmcnt(0)
	v_cvt_f16_u16_e32 v6, v0
.LBB6_645:
	s_mov_b64 s[0:1], -1
.LBB6_646:
	s_andn2_b64 vcc, exec, s[0:1]
	s_cbranch_vccnz .LBB6_654
; %bb.647:
	s_waitcnt vmcnt(0)
	v_and_b32_e32 v0, 0xffff8000, v6
	v_or_b32_e32 v6, v0, v5
	v_mul_lo_u32 v0, v2, s12
	v_ashrrev_i32_e32 v1, 31, v0
	v_mov_b32_e32 v7, s9
	v_add_co_u32_e32 v0, vcc, s8, v0
	v_addc_co_u32_e32 v1, vcc, v7, v1, vcc
	v_mov_b32_e32 v7, 11
	v_cmp_lt_i16_sdwa s[0:1], s15, v7 src0_sel:BYTE_0 src1_sel:DWORD
	s_and_b64 vcc, exec, s[0:1]
	s_cbranch_vccnz .LBB6_655
; %bb.648:
	v_mov_b32_e32 v7, 25
	v_cmp_gt_i16_sdwa s[0:1], s15, v7 src0_sel:BYTE_0 src1_sel:DWORD
	s_and_b64 vcc, exec, s[0:1]
	s_cbranch_vccz .LBB6_656
; %bb.649:
	v_mov_b32_e32 v7, 28
	v_cmp_gt_i16_sdwa s[0:1], s15, v7 src0_sel:BYTE_0 src1_sel:DWORD
	s_and_b64 vcc, exec, s[0:1]
	s_cbranch_vccz .LBB6_657
	;; [unrolled: 5-line block ×4, first 2 shown]
; %bb.652:
	v_mov_b32_e32 v7, 46
	v_cmp_eq_u16_sdwa s[30:31], s15, v7 src0_sel:BYTE_0 src1_sel:DWORD
	s_mov_b64 s[34:35], 0
	s_mov_b64 s[0:1], -1
	s_and_b64 vcc, exec, s[30:31]
	s_mov_b64 s[30:31], 0
	s_cbranch_vccz .LBB6_660
; %bb.653:
	v_cvt_f32_f16_e32 v7, v6
	s_movk_i32 s0, 0x7fff
	v_mov_b32_e32 v8, 0x7fc0
	v_cmp_o_f16_e32 vcc, v6, v6
	v_bfe_u32 v9, v7, 16, 1
	v_add3_u32 v7, v7, v9, s0
	v_lshrrev_b32_e32 v7, 16, v7
	v_cndmask_b32_e32 v7, v8, v7, vcc
	global_store_dword v[0:1], v7, off
	s_mov_b64 s[30:31], -1
	s_mov_b64 s[0:1], 0
	s_branch .LBB6_660
.LBB6_654:
	s_mov_b64 s[34:35], 0
                                        ; implicit-def: $vgpr2
	s_mov_b64 s[0:1], s[22:23]
	s_branch .LBB6_771
.LBB6_655:
	s_mov_b64 s[34:35], -1
	s_mov_b64 s[30:31], 0
	s_mov_b64 s[0:1], s[22:23]
	s_branch .LBB6_729
.LBB6_656:
	s_mov_b64 s[34:35], -1
	s_mov_b64 s[30:31], 0
	s_mov_b64 s[0:1], s[22:23]
	s_branch .LBB6_687
.LBB6_657:
	s_mov_b64 s[34:35], -1
	s_mov_b64 s[30:31], 0
	s_mov_b64 s[0:1], s[22:23]
	s_branch .LBB6_670
.LBB6_658:
	s_mov_b64 s[34:35], -1
	s_mov_b64 s[30:31], 0
	s_mov_b64 s[0:1], s[22:23]
	s_branch .LBB6_666
.LBB6_659:
	s_mov_b64 s[34:35], -1
	s_mov_b64 s[30:31], 0
	s_mov_b64 s[0:1], s[22:23]
.LBB6_660:
	s_and_b64 vcc, exec, s[34:35]
	s_cbranch_vccz .LBB6_665
; %bb.661:
	v_mov_b32_e32 v7, 44
	v_cmp_eq_u16_sdwa s[34:35], s15, v7 src0_sel:BYTE_0 src1_sel:DWORD
	s_mov_b64 s[0:1], -1
	s_and_b64 vcc, exec, s[34:35]
	s_cbranch_vccz .LBB6_665
; %bb.662:
	v_cvt_f32_f16_e32 v7, v6
	s_movk_i32 s0, 0xff
	v_mov_b32_e32 v9, 0xff
	v_bfe_u32 v8, v7, 23, 8
	v_cmp_ne_u32_e32 vcc, s0, v8
	s_and_saveexec_b64 s[30:31], vcc
; %bb.663:
	s_mov_b32 s0, 0x3fffff
	v_lshrrev_b32_e32 v9, 23, v7
	v_and_b32_e32 v10, 0x400000, v7
	v_and_or_b32 v7, v7, s0, v8
	v_cmp_ne_u32_e32 vcc, 0, v10
	v_cmp_ne_u32_e64 s[0:1], 0, v7
	s_and_b64 s[0:1], vcc, s[0:1]
	v_cndmask_b32_e64 v7, 0, 1, s[0:1]
	v_add_u32_e32 v9, v9, v7
; %bb.664:
	s_or_b64 exec, exec, s[30:31]
	s_mov_b64 s[30:31], -1
	s_mov_b64 s[0:1], 0
	global_store_byte v[0:1], v9, off
.LBB6_665:
	s_mov_b64 s[34:35], 0
.LBB6_666:
	s_and_b64 vcc, exec, s[34:35]
	s_cbranch_vccz .LBB6_669
; %bb.667:
	v_mov_b32_e32 v7, 29
	v_cmp_eq_u16_sdwa s[34:35], s15, v7 src0_sel:BYTE_0 src1_sel:DWORD
	s_mov_b64 s[0:1], -1
	s_and_b64 vcc, exec, s[34:35]
	s_cbranch_vccz .LBB6_669
; %bb.668:
	v_cvt_f32_f16_e32 v7, v6
	v_mov_b32_e32 v9, 0
	s_mov_b64 s[30:31], -1
	s_mov_b64 s[0:1], 0
	v_cvt_u32_f32_e32 v8, v7
	s_mov_b64 s[34:35], 0
	global_store_dwordx2 v[0:1], v[8:9], off
	s_branch .LBB6_670
.LBB6_669:
	s_mov_b64 s[34:35], 0
.LBB6_670:
	s_and_b64 vcc, exec, s[34:35]
	s_cbranch_vccz .LBB6_686
; %bb.671:
	v_mov_b32_e32 v7, 27
	v_cmp_lt_i16_sdwa s[34:35], s15, v7 src0_sel:BYTE_0 src1_sel:DWORD
	s_mov_b64 s[30:31], -1
	s_and_b64 vcc, exec, s[34:35]
	s_cbranch_vccnz .LBB6_677
; %bb.672:
	v_cmp_gt_i16_sdwa s[34:35], s15, v7 src0_sel:BYTE_0 src1_sel:DWORD
	s_and_b64 vcc, exec, s[34:35]
	s_cbranch_vccz .LBB6_674
; %bb.673:
	v_cvt_f32_f16_e32 v7, v6
	s_mov_b64 s[30:31], 0
	v_cvt_u32_f32_e32 v7, v7
	global_store_dword v[0:1], v7, off
.LBB6_674:
	s_andn2_b64 vcc, exec, s[30:31]
	s_cbranch_vccnz .LBB6_676
; %bb.675:
	v_cvt_u16_f16_e32 v7, v6
	global_store_short v[0:1], v7, off
.LBB6_676:
	s_mov_b64 s[30:31], 0
.LBB6_677:
	s_andn2_b64 vcc, exec, s[30:31]
	s_cbranch_vccnz .LBB6_685
; %bb.678:
	v_cvt_f32_f16_e32 v7, v6
	s_mov_b32 s30, 0x43800000
	v_mov_b32_e32 v9, 0x80
	v_and_b32_e32 v8, 0x7fffffff, v7
	v_cmp_gt_u32_e32 vcc, s30, v8
	s_and_saveexec_b64 s[30:31], vcc
	s_cbranch_execz .LBB6_684
; %bb.679:
	s_mov_b32 s34, 0x3bffffff
	v_cmp_lt_u32_e32 vcc, s34, v8
	s_mov_b64 s[34:35], 0
                                        ; implicit-def: $vgpr8
	s_and_saveexec_b64 s[36:37], vcc
	s_xor_b64 s[36:37], exec, s[36:37]
	s_cbranch_execz .LBB6_785
; %bb.680:
	v_bfe_u32 v8, v7, 20, 1
	s_mov_b32 s38, 0x487ffff
	v_add3_u32 v8, v7, v8, s38
	s_mov_b64 s[34:35], exec
	v_lshrrev_b32_e32 v8, 20, v8
	s_or_saveexec_b64 s[36:37], s[36:37]
                                        ; implicit-def: $sgpr38
	s_xor_b64 exec, exec, s[36:37]
	s_cbranch_execnz .LBB6_786
.LBB6_681:
	s_or_b64 exec, exec, s[36:37]
	v_mov_b32_e32 v9, s38
	s_and_saveexec_b64 s[36:37], s[34:35]
.LBB6_682:
	v_lshrrev_b32_e32 v7, 24, v7
	s_movk_i32 s34, 0x80
	v_and_or_b32 v9, v7, s34, v8
.LBB6_683:
	s_or_b64 exec, exec, s[36:37]
.LBB6_684:
	s_or_b64 exec, exec, s[30:31]
	global_store_byte v[0:1], v9, off
.LBB6_685:
	s_mov_b64 s[30:31], -1
.LBB6_686:
	s_mov_b64 s[34:35], 0
.LBB6_687:
	s_and_b64 vcc, exec, s[34:35]
	s_cbranch_vccz .LBB6_728
; %bb.688:
	v_mov_b32_e32 v7, 22
	v_cmp_gt_i16_sdwa s[36:37], s15, v7 src0_sel:BYTE_0 src1_sel:DWORD
	s_mov_b64 s[34:35], -1
	s_and_b64 vcc, exec, s[36:37]
	s_cbranch_vccz .LBB6_720
; %bb.689:
	v_mov_b32_e32 v7, 24
	v_cmp_lt_i16_sdwa s[34:35], s15, v7 src0_sel:BYTE_0 src1_sel:DWORD
	s_mov_b64 s[30:31], -1
	s_and_b64 vcc, exec, s[34:35]
	s_cbranch_vccnz .LBB6_709
; %bb.690:
	v_cmp_gt_i16_sdwa s[34:35], s15, v7 src0_sel:BYTE_0 src1_sel:DWORD
	s_and_b64 vcc, exec, s[34:35]
	s_cbranch_vccz .LBB6_698
; %bb.691:
	v_cvt_f32_f16_e32 v7, v6
	s_mov_b32 s30, 0x47800000
	v_mov_b32_e32 v9, 0x80
	v_and_b32_e32 v8, 0x7fffffff, v7
	v_cmp_gt_u32_e32 vcc, s30, v8
	s_and_saveexec_b64 s[30:31], vcc
	s_cbranch_execz .LBB6_697
; %bb.692:
	s_mov_b32 s34, 0x37ffffff
	v_cmp_lt_u32_e32 vcc, s34, v8
	s_mov_b64 s[34:35], 0
                                        ; implicit-def: $vgpr8
	s_and_saveexec_b64 s[36:37], vcc
	s_xor_b64 s[36:37], exec, s[36:37]
	s_cbranch_execz .LBB6_788
; %bb.693:
	v_bfe_u32 v8, v7, 21, 1
	s_mov_b32 s38, 0x88fffff
	v_add3_u32 v8, v7, v8, s38
	s_mov_b64 s[34:35], exec
	v_lshrrev_b32_e32 v8, 21, v8
	s_or_saveexec_b64 s[36:37], s[36:37]
                                        ; implicit-def: $sgpr38
	s_xor_b64 exec, exec, s[36:37]
	s_cbranch_execnz .LBB6_789
.LBB6_694:
	s_or_b64 exec, exec, s[36:37]
	v_mov_b32_e32 v9, s38
	s_and_saveexec_b64 s[36:37], s[34:35]
.LBB6_695:
	v_lshrrev_b32_e32 v7, 24, v7
	s_movk_i32 s34, 0x80
	v_and_or_b32 v9, v7, s34, v8
.LBB6_696:
	s_or_b64 exec, exec, s[36:37]
.LBB6_697:
	s_or_b64 exec, exec, s[30:31]
	s_mov_b64 s[30:31], 0
	global_store_byte v[0:1], v9, off
.LBB6_698:
	s_and_b64 vcc, exec, s[30:31]
	s_cbranch_vccz .LBB6_708
; %bb.699:
	v_cvt_f32_f16_e32 v7, v6
	s_mov_b32 s30, 0x43f00000
                                        ; implicit-def: $vgpr8
	v_and_b32_e32 v9, 0x7fffffff, v7
	v_cmp_gt_u32_e32 vcc, s30, v9
	s_and_saveexec_b64 s[30:31], vcc
	s_xor_b64 s[30:31], exec, s[30:31]
	s_cbranch_execz .LBB6_705
; %bb.700:
	s_mov_b32 s34, 0x3c7fffff
	v_cmp_lt_u32_e32 vcc, s34, v9
                                        ; implicit-def: $vgpr8
	s_and_saveexec_b64 s[34:35], vcc
	s_xor_b64 s[34:35], exec, s[34:35]
; %bb.701:
	v_bfe_u32 v8, v7, 20, 1
	s_mov_b32 s36, 0x407ffff
	v_add3_u32 v8, v7, v8, s36
	v_lshrrev_b32_e32 v9, 20, v8
	v_and_b32_e32 v8, 0xff00000, v8
	s_mov_b32 s36, 0x7f00000
	v_mov_b32_e32 v10, 0x7e
	v_cmp_ne_u32_e32 vcc, s36, v8
	v_cndmask_b32_e32 v8, v10, v9, vcc
; %bb.702:
	s_andn2_saveexec_b64 s[34:35], s[34:35]
; %bb.703:
	s_mov_b32 s36, 0x46800000
	v_add_f32_e64 v8, |v7|, s36
; %bb.704:
	s_or_b64 exec, exec, s[34:35]
                                        ; implicit-def: $vgpr9
.LBB6_705:
	s_andn2_saveexec_b64 s[30:31], s[30:31]
; %bb.706:
	s_mov_b32 s34, 0x7f800000
	v_mov_b32_e32 v8, 0x7e
	v_mov_b32_e32 v10, 0x7f
	v_cmp_lt_u32_e32 vcc, s34, v9
	v_cndmask_b32_e32 v8, v8, v10, vcc
; %bb.707:
	s_or_b64 exec, exec, s[30:31]
	v_lshrrev_b32_e32 v7, 24, v7
	s_movk_i32 s30, 0x80
	v_and_or_b32 v7, v7, s30, v8
	global_store_byte v[0:1], v7, off
.LBB6_708:
	s_mov_b64 s[30:31], 0
.LBB6_709:
	s_andn2_b64 vcc, exec, s[30:31]
	s_cbranch_vccnz .LBB6_719
; %bb.710:
	v_cvt_f32_f16_e32 v7, v6
	s_mov_b32 s30, 0x47800000
                                        ; implicit-def: $vgpr8
	v_and_b32_e32 v9, 0x7fffffff, v7
	v_cmp_gt_u32_e32 vcc, s30, v9
	s_and_saveexec_b64 s[30:31], vcc
	s_xor_b64 s[30:31], exec, s[30:31]
	s_cbranch_execz .LBB6_716
; %bb.711:
	s_mov_b32 s34, 0x387fffff
	v_cmp_lt_u32_e32 vcc, s34, v9
                                        ; implicit-def: $vgpr8
	s_and_saveexec_b64 s[34:35], vcc
	s_xor_b64 s[34:35], exec, s[34:35]
; %bb.712:
	v_bfe_u32 v8, v7, 21, 1
	s_mov_b32 s36, 0x80fffff
	v_add3_u32 v8, v7, v8, s36
	v_lshrrev_b32_e32 v8, 21, v8
; %bb.713:
	s_andn2_saveexec_b64 s[34:35], s[34:35]
; %bb.714:
	s_mov_b32 s36, 0x43000000
	v_add_f32_e64 v8, |v7|, s36
; %bb.715:
	s_or_b64 exec, exec, s[34:35]
                                        ; implicit-def: $vgpr9
.LBB6_716:
	s_andn2_saveexec_b64 s[30:31], s[30:31]
; %bb.717:
	s_mov_b32 s34, 0x7f800000
	v_mov_b32_e32 v8, 0x7c
	v_mov_b32_e32 v10, 0x7f
	v_cmp_lt_u32_e32 vcc, s34, v9
	v_cndmask_b32_e32 v8, v8, v10, vcc
; %bb.718:
	s_or_b64 exec, exec, s[30:31]
	v_lshrrev_b32_e32 v7, 24, v7
	s_movk_i32 s30, 0x80
	v_and_or_b32 v7, v7, s30, v8
	global_store_byte v[0:1], v7, off
.LBB6_719:
	s_mov_b64 s[34:35], 0
	s_mov_b64 s[30:31], -1
.LBB6_720:
	s_andn2_b64 vcc, exec, s[34:35]
	s_cbranch_vccnz .LBB6_728
; %bb.721:
	v_mov_b32_e32 v7, 14
	v_cmp_gt_i16_sdwa s[36:37], s15, v7 src0_sel:BYTE_0 src1_sel:DWORD
	s_mov_b64 s[34:35], -1
	s_and_b64 vcc, exec, s[36:37]
	s_cbranch_vccz .LBB6_725
; %bb.722:
	v_mov_b32_e32 v7, 15
	v_cmp_eq_u16_sdwa s[34:35], s15, v7 src0_sel:BYTE_0 src1_sel:DWORD
	s_mov_b64 s[0:1], -1
	s_and_b64 vcc, exec, s[34:35]
	s_cbranch_vccz .LBB6_724
; %bb.723:
	v_cvt_f32_f16_e32 v7, v6
	s_movk_i32 s0, 0x7fff
	v_mov_b32_e32 v8, 0x7fc0
	v_cmp_o_f16_e32 vcc, v6, v6
	v_bfe_u32 v9, v7, 16, 1
	v_add3_u32 v7, v7, v9, s0
	v_lshrrev_b32_e32 v7, 16, v7
	v_cndmask_b32_e32 v7, v8, v7, vcc
	global_store_short v[0:1], v7, off
	s_mov_b64 s[30:31], -1
	s_mov_b64 s[0:1], 0
.LBB6_724:
	s_mov_b64 s[34:35], 0
.LBB6_725:
	s_and_b64 vcc, exec, s[34:35]
	s_cbranch_vccz .LBB6_728
; %bb.726:
	v_mov_b32_e32 v7, 11
	v_cmp_eq_u16_sdwa s[34:35], s15, v7 src0_sel:BYTE_0 src1_sel:DWORD
	s_mov_b64 s[0:1], -1
	s_and_b64 vcc, exec, s[34:35]
	s_cbranch_vccz .LBB6_728
; %bb.727:
	s_mov_b64 s[30:31], -1
	s_mov_b64 s[0:1], 0
	global_store_byte v[0:1], v4, off
.LBB6_728:
	s_mov_b64 s[34:35], 0
.LBB6_729:
	s_and_b64 vcc, exec, s[34:35]
	s_cbranch_vccz .LBB6_768
; %bb.730:
	v_mov_b32_e32 v7, 5
	v_cmp_lt_i16_sdwa s[34:35], s15, v7 src0_sel:BYTE_0 src1_sel:DWORD
	s_mov_b64 s[30:31], -1
	s_and_b64 vcc, exec, s[34:35]
	s_cbranch_vccnz .LBB6_751
; %bb.731:
	v_mov_b32_e32 v7, 8
	v_cmp_lt_i16_sdwa s[34:35], s15, v7 src0_sel:BYTE_0 src1_sel:DWORD
	s_and_b64 vcc, exec, s[34:35]
	s_cbranch_vccnz .LBB6_741
; %bb.732:
	v_mov_b32_e32 v7, 9
	v_cmp_lt_i16_sdwa s[34:35], s15, v7 src0_sel:BYTE_0 src1_sel:DWORD
	s_and_b64 vcc, exec, s[34:35]
	s_cbranch_vccnz .LBB6_738
; %bb.733:
	v_cmp_gt_i16_sdwa s[34:35], s15, v7 src0_sel:BYTE_0 src1_sel:DWORD
	s_and_b64 vcc, exec, s[34:35]
	s_cbranch_vccz .LBB6_735
; %bb.734:
	v_cvt_f32_f16_e32 v7, v6
	v_mov_b32_e32 v10, 0
	v_mov_b32_e32 v11, v10
	s_mov_b64 s[30:31], 0
	v_cvt_f64_f32_e32 v[8:9], v7
	global_store_dwordx4 v[0:1], v[8:11], off
.LBB6_735:
	s_andn2_b64 vcc, exec, s[30:31]
	s_cbranch_vccnz .LBB6_737
; %bb.736:
	v_cvt_f32_f16_e32 v8, v6
	v_mov_b32_e32 v9, 0
	global_store_dwordx2 v[0:1], v[8:9], off
.LBB6_737:
	s_mov_b64 s[30:31], 0
.LBB6_738:
	s_andn2_b64 vcc, exec, s[30:31]
	s_cbranch_vccnz .LBB6_740
; %bb.739:
	v_and_b32_e32 v7, 0xffff, v6
	global_store_dword v[0:1], v7, off
.LBB6_740:
	s_mov_b64 s[30:31], 0
.LBB6_741:
	s_andn2_b64 vcc, exec, s[30:31]
	s_cbranch_vccnz .LBB6_750
; %bb.742:
	v_mov_b32_e32 v7, 6
	v_cmp_lt_i16_sdwa s[34:35], s15, v7 src0_sel:BYTE_0 src1_sel:DWORD
	s_mov_b64 s[30:31], -1
	s_and_b64 vcc, exec, s[34:35]
	s_cbranch_vccnz .LBB6_748
; %bb.743:
	v_cmp_gt_i16_sdwa s[34:35], s15, v7 src0_sel:BYTE_0 src1_sel:DWORD
	s_and_b64 vcc, exec, s[34:35]
	s_cbranch_vccz .LBB6_745
; %bb.744:
	v_cvt_f32_f16_e32 v7, v6
	s_mov_b64 s[30:31], 0
	v_cvt_f64_f32_e32 v[8:9], v7
	global_store_dwordx2 v[0:1], v[8:9], off
.LBB6_745:
	s_andn2_b64 vcc, exec, s[30:31]
	s_cbranch_vccnz .LBB6_747
; %bb.746:
	v_cvt_f32_f16_e32 v7, v6
	global_store_dword v[0:1], v7, off
.LBB6_747:
	s_mov_b64 s[30:31], 0
.LBB6_748:
	s_andn2_b64 vcc, exec, s[30:31]
	s_cbranch_vccnz .LBB6_750
; %bb.749:
	global_store_short v[0:1], v6, off
.LBB6_750:
	s_mov_b64 s[30:31], 0
.LBB6_751:
	s_andn2_b64 vcc, exec, s[30:31]
	s_cbranch_vccnz .LBB6_767
; %bb.752:
	v_mov_b32_e32 v7, 2
	v_cmp_lt_i16_sdwa s[34:35], s15, v7 src0_sel:BYTE_0 src1_sel:DWORD
	s_mov_b64 s[30:31], -1
	s_and_b64 vcc, exec, s[34:35]
	s_cbranch_vccnz .LBB6_762
; %bb.753:
	v_mov_b32_e32 v7, 3
	v_cmp_lt_i16_sdwa s[34:35], s15, v7 src0_sel:BYTE_0 src1_sel:DWORD
	s_and_b64 vcc, exec, s[34:35]
	s_cbranch_vccnz .LBB6_759
; %bb.754:
	v_cmp_gt_i16_sdwa s[34:35], s15, v7 src0_sel:BYTE_0 src1_sel:DWORD
	s_and_b64 vcc, exec, s[34:35]
	s_cbranch_vccz .LBB6_756
; %bb.755:
	v_cvt_f32_f16_e32 v7, v6
	s_mov_b64 s[30:31], 0
	v_cvt_i32_f32_e32 v8, v7
	v_ashrrev_i32_e32 v9, 31, v8
	global_store_dwordx2 v[0:1], v[8:9], off
.LBB6_756:
	s_andn2_b64 vcc, exec, s[30:31]
	s_cbranch_vccnz .LBB6_758
; %bb.757:
	v_cvt_f32_f16_e32 v7, v6
	v_cvt_i32_f32_e32 v7, v7
	global_store_dword v[0:1], v7, off
.LBB6_758:
	s_mov_b64 s[30:31], 0
.LBB6_759:
	s_andn2_b64 vcc, exec, s[30:31]
	s_cbranch_vccnz .LBB6_761
; %bb.760:
	v_cvt_i16_f16_e32 v7, v6
	global_store_short v[0:1], v7, off
.LBB6_761:
	s_mov_b64 s[30:31], 0
.LBB6_762:
	s_andn2_b64 vcc, exec, s[30:31]
	s_cbranch_vccnz .LBB6_767
; %bb.763:
	v_mov_b32_e32 v7, 0
	v_cmp_gt_i16_sdwa s[34:35], s15, v7 src0_sel:BYTE_0 src1_sel:DWORD
	s_mov_b64 s[30:31], -1
	s_and_b64 vcc, exec, s[34:35]
	s_cbranch_vccz .LBB6_765
; %bb.764:
	v_cvt_i16_f16_e32 v7, v6
	s_mov_b64 s[30:31], 0
	global_store_byte v[0:1], v7, off
.LBB6_765:
	s_andn2_b64 vcc, exec, s[30:31]
	s_cbranch_vccnz .LBB6_767
; %bb.766:
	v_cvt_f32_f16_e32 v6, v6
	v_cvt_i32_f32_e32 v6, v6
	global_store_byte v[0:1], v6, off
.LBB6_767:
	s_mov_b64 s[30:31], -1
.LBB6_768:
	s_andn2_b64 vcc, exec, s[30:31]
	s_cbranch_vccnz .LBB6_770
; %bb.769:
	v_add_u32_e32 v2, 0x80, v2
	s_mov_b64 s[34:35], -1
	s_branch .LBB6_771
.LBB6_770:
	s_mov_b64 s[34:35], 0
                                        ; implicit-def: $vgpr2
.LBB6_771:
	s_andn2_b64 s[30:31], s[22:23], exec
	s_and_b64 s[0:1], s[0:1], exec
	s_or_b64 s[30:31], s[30:31], s[0:1]
	s_andn2_b64 s[0:1], s[20:21], exec
	s_and_b64 s[28:29], s[28:29], exec
	s_or_b64 s[0:1], s[0:1], s[28:29]
	s_orn2_b64 s[36:37], s[34:35], exec
.LBB6_772:
	s_or_b64 exec, exec, s[26:27]
	s_mov_b64 s[34:35], 0
	s_mov_b64 s[28:29], 0
	;; [unrolled: 1-line block ×3, first 2 shown]
                                        ; implicit-def: $vgpr0_vgpr1
                                        ; implicit-def: $vgpr7
	s_and_saveexec_b64 s[26:27], s[36:37]
	s_cbranch_execz .LBB6_857
; %bb.773:
	v_cmp_gt_i32_e32 vcc, s33, v2
	s_mov_b64 s[36:37], 0
	s_mov_b64 s[40:41], s[0:1]
	;; [unrolled: 1-line block ×3, first 2 shown]
                                        ; implicit-def: $vgpr0_vgpr1
                                        ; implicit-def: $vgpr7
	s_and_saveexec_b64 s[28:29], vcc
	s_cbranch_execz .LBB6_856
; %bb.774:
	v_mul_lo_u32 v0, v2, s13
	v_ashrrev_i32_e32 v1, 31, v0
	s_waitcnt vmcnt(0)
	v_mov_b32_e32 v6, s11
	v_add_co_u32_e32 v0, vcc, s10, v0
	v_addc_co_u32_e32 v1, vcc, v6, v1, vcc
	v_cmp_gt_i16_e32 vcc, 11, v3
	s_cbranch_vccnz .LBB6_781
; %bb.775:
	v_cmp_lt_i16_e32 vcc, 25, v3
	s_cbranch_vccz .LBB6_782
; %bb.776:
	v_cmp_lt_i16_e32 vcc, 28, v3
	s_cbranch_vccz .LBB6_783
	;; [unrolled: 3-line block ×4, first 2 shown]
; %bb.779:
	v_cmp_eq_u16_e32 vcc, 46, v3
	s_mov_b64 s[40:41], 0
	s_cbranch_vccz .LBB6_790
; %bb.780:
	global_load_dword v6, v[0:1], off
	s_mov_b64 s[38:39], -1
	s_waitcnt vmcnt(0)
	v_lshlrev_b32_e32 v6, 16, v6
	v_cvt_f16_f32_e32 v7, v6
	s_branch .LBB6_792
.LBB6_781:
	s_mov_b64 s[40:41], -1
                                        ; implicit-def: $vgpr7
	s_mov_b64 s[34:35], s[0:1]
	s_branch .LBB6_855
.LBB6_782:
	s_mov_b64 s[40:41], -1
	s_mov_b64 s[34:35], s[0:1]
                                        ; implicit-def: $vgpr7
	s_branch .LBB6_821
.LBB6_783:
	s_mov_b64 s[40:41], -1
	s_mov_b64 s[34:35], s[0:1]
                                        ; implicit-def: $vgpr7
	s_branch .LBB6_802
.LBB6_784:
	s_mov_b64 s[40:41], -1
	s_mov_b64 s[34:35], s[0:1]
                                        ; implicit-def: $vgpr7
	s_branch .LBB6_797
.LBB6_785:
	s_or_saveexec_b64 s[36:37], s[36:37]
                                        ; implicit-def: $sgpr38
	s_xor_b64 exec, exec, s[36:37]
	s_cbranch_execz .LBB6_681
.LBB6_786:
	s_mov_b32 s38, 0x46000000
	v_add_f32_e64 v8, |v7|, s38
	v_and_b32_e32 v8, 0xff, v8
	v_cmp_ne_u32_e32 vcc, 0, v8
	s_andn2_b64 s[34:35], s[34:35], exec
	s_and_b64 s[40:41], vcc, exec
	s_mov_b32 s38, 0
	s_or_b64 s[34:35], s[34:35], s[40:41]
	s_or_b64 exec, exec, s[36:37]
	v_mov_b32_e32 v9, s38
	s_and_saveexec_b64 s[36:37], s[34:35]
	s_cbranch_execnz .LBB6_682
	s_branch .LBB6_683
.LBB6_787:
	s_mov_b64 s[40:41], -1
	s_mov_b64 s[34:35], s[0:1]
	s_branch .LBB6_791
.LBB6_788:
	s_or_saveexec_b64 s[36:37], s[36:37]
                                        ; implicit-def: $sgpr38
	s_xor_b64 exec, exec, s[36:37]
	s_cbranch_execz .LBB6_694
.LBB6_789:
	s_mov_b32 s38, 0x42800000
	v_add_f32_e64 v8, |v7|, s38
	v_and_b32_e32 v8, 0xff, v8
	v_cmp_ne_u32_e32 vcc, 0, v8
	s_andn2_b64 s[34:35], s[34:35], exec
	s_and_b64 s[40:41], vcc, exec
	s_mov_b32 s38, 0
	s_or_b64 s[34:35], s[34:35], s[40:41]
	s_or_b64 exec, exec, s[36:37]
	v_mov_b32_e32 v9, s38
	s_and_saveexec_b64 s[36:37], s[34:35]
	s_cbranch_execnz .LBB6_695
	s_branch .LBB6_696
.LBB6_790:
	s_mov_b64 s[34:35], -1
.LBB6_791:
                                        ; implicit-def: $vgpr7
.LBB6_792:
	s_and_b64 vcc, exec, s[40:41]
	s_cbranch_vccz .LBB6_796
; %bb.793:
	v_cmp_eq_u16_e32 vcc, 44, v3
	s_cbranch_vccz .LBB6_795
; %bb.794:
	global_load_ubyte v6, v[0:1], off
	s_movk_i32 s33, 0xff
	v_mov_b32_e32 v8, 0x7e00
	s_mov_b64 s[34:35], 0
	s_mov_b64 s[38:39], -1
	s_waitcnt vmcnt(0)
	v_lshlrev_b32_e32 v7, 23, v6
	v_cvt_f16_f32_e32 v7, v7
	v_cmp_ne_u32_e32 vcc, s33, v6
	v_cndmask_b32_e32 v7, v8, v7, vcc
	v_cmp_ne_u32_e32 vcc, 0, v6
	v_cndmask_b32_e32 v7, 0, v7, vcc
	s_branch .LBB6_796
.LBB6_795:
	s_mov_b64 s[34:35], -1
                                        ; implicit-def: $vgpr7
.LBB6_796:
	s_mov_b64 s[40:41], 0
.LBB6_797:
	s_and_b64 vcc, exec, s[40:41]
	s_cbranch_vccz .LBB6_801
; %bb.798:
	v_cmp_eq_u16_e32 vcc, 29, v3
	s_cbranch_vccz .LBB6_800
; %bb.799:
	global_load_dwordx2 v[6:7], v[0:1], off
	s_mov_b64 s[34:35], 0
	s_mov_b64 s[38:39], -1
	s_mov_b64 s[40:41], 0
	s_waitcnt vmcnt(0)
	v_ffbh_u32_e32 v8, v7
	v_min_u32_e32 v8, 32, v8
	v_lshlrev_b64 v[6:7], v8, v[6:7]
	v_min_u32_e32 v6, 1, v6
	v_or_b32_e32 v6, v7, v6
	v_cvt_f32_u32_e32 v6, v6
	v_sub_u32_e32 v7, 32, v8
	v_ldexp_f32 v6, v6, v7
	v_cvt_f16_f32_e32 v7, v6
	s_branch .LBB6_802
.LBB6_800:
	s_mov_b64 s[34:35], -1
                                        ; implicit-def: $vgpr7
.LBB6_801:
	s_mov_b64 s[40:41], 0
.LBB6_802:
	s_and_b64 vcc, exec, s[40:41]
	s_cbranch_vccz .LBB6_820
; %bb.803:
	v_cmp_gt_i16_e32 vcc, 27, v3
	s_cbranch_vccnz .LBB6_806
; %bb.804:
	v_cmp_lt_i16_e32 vcc, 27, v3
	s_cbranch_vccz .LBB6_807
; %bb.805:
	global_load_dword v6, v[0:1], off
	s_mov_b64 s[38:39], 0
	s_waitcnt vmcnt(0)
	v_cvt_f32_u32_e32 v6, v6
	v_cvt_f16_f32_e32 v7, v6
	s_branch .LBB6_808
.LBB6_806:
	s_mov_b64 s[38:39], -1
                                        ; implicit-def: $vgpr7
	s_branch .LBB6_811
.LBB6_807:
	s_mov_b64 s[38:39], -1
                                        ; implicit-def: $vgpr7
.LBB6_808:
	s_andn2_b64 vcc, exec, s[38:39]
	s_cbranch_vccnz .LBB6_810
; %bb.809:
	global_load_ushort v6, v[0:1], off
	s_waitcnt vmcnt(0)
	v_cvt_f16_u16_e32 v7, v6
.LBB6_810:
	s_mov_b64 s[38:39], 0
.LBB6_811:
	s_andn2_b64 vcc, exec, s[38:39]
	s_cbranch_vccnz .LBB6_819
; %bb.812:
	global_load_ubyte v6, v[0:1], off
	s_movk_i32 s33, 0x7f
	s_mov_b64 s[38:39], 0
	s_waitcnt vmcnt(0)
	v_cmp_lt_i16_e32 vcc, s33, v6
                                        ; implicit-def: $sgpr33
	s_and_saveexec_b64 s[40:41], vcc
	s_xor_b64 s[40:41], exec, s[40:41]
	s_cbranch_execz .LBB6_833
; %bb.813:
	s_movk_i32 s33, 0x80
	v_cmp_eq_u16_e32 vcc, s33, v6
	s_mov_b64 s[38:39], -1
                                        ; implicit-def: $sgpr33
	s_and_saveexec_b64 s[42:43], vcc
; %bb.814:
	s_movk_i32 s33, 0x7e00
	s_xor_b64 s[38:39], exec, -1
; %bb.815:
	s_or_b64 exec, exec, s[42:43]
	s_and_b64 s[38:39], s[38:39], exec
	s_or_saveexec_b64 s[40:41], s[40:41]
	v_mov_b32_e32 v7, s33
	s_xor_b64 exec, exec, s[40:41]
	s_cbranch_execnz .LBB6_834
.LBB6_816:
	s_or_b64 exec, exec, s[40:41]
	s_and_saveexec_b64 s[40:41], s[38:39]
	s_cbranch_execz .LBB6_818
.LBB6_817:
	v_lshlrev_b32_e32 v7, 24, v6
	v_and_b32_e32 v6, 0xffff, v6
	v_and_b32_e32 v8, 7, v6
	v_ffbh_u32_e32 v10, v8
	v_min_u32_e32 v10, 32, v10
	v_subrev_u32_e32 v11, 28, v10
	v_bfe_u32 v9, v6, 3, 4
	v_lshlrev_b32_e32 v6, v11, v6
	v_sub_u32_e32 v10, 29, v10
	v_and_b32_e32 v6, 7, v6
	v_cmp_eq_u32_e32 vcc, 0, v9
	v_cndmask_b32_e32 v9, v9, v10, vcc
	v_cndmask_b32_e32 v6, v8, v6, vcc
	v_mov_b32_e32 v8, 0x3b800000
	v_lshlrev_b32_e32 v6, 20, v6
	v_and_b32_e32 v7, 0x80000000, v7
	v_lshl_add_u32 v8, v9, 23, v8
	v_or3_b32 v6, v7, v8, v6
	v_cvt_f16_f32_e32 v7, v6
.LBB6_818:
	s_or_b64 exec, exec, s[40:41]
.LBB6_819:
	s_mov_b64 s[38:39], -1
.LBB6_820:
	s_mov_b64 s[40:41], 0
.LBB6_821:
	s_and_b64 vcc, exec, s[40:41]
	s_cbranch_vccz .LBB6_854
; %bb.822:
	v_cmp_lt_i16_e32 vcc, 22, v3
	s_cbranch_vccz .LBB6_832
; %bb.823:
	v_cmp_gt_i16_e32 vcc, 24, v3
	s_cbranch_vccnz .LBB6_835
; %bb.824:
	v_cmp_lt_i16_e32 vcc, 24, v3
	s_cbranch_vccz .LBB6_836
; %bb.825:
	global_load_ubyte v6, v[0:1], off
	s_movk_i32 s33, 0x7f
	s_waitcnt vmcnt(0)
	v_cmp_lt_i16_e32 vcc, s33, v6
                                        ; implicit-def: $sgpr33
	s_and_saveexec_b64 s[38:39], vcc
	s_xor_b64 s[38:39], exec, s[38:39]
	s_cbranch_execz .LBB6_848
; %bb.826:
	s_movk_i32 s33, 0x80
	v_cmp_eq_u16_e32 vcc, s33, v6
	s_mov_b64 s[36:37], -1
                                        ; implicit-def: $sgpr33
	s_and_saveexec_b64 s[40:41], vcc
; %bb.827:
	s_movk_i32 s33, 0x7e00
	s_xor_b64 s[36:37], exec, -1
; %bb.828:
	s_or_b64 exec, exec, s[40:41]
	s_and_b64 s[36:37], s[36:37], exec
	s_or_saveexec_b64 s[38:39], s[38:39]
	v_mov_b32_e32 v7, s33
	s_xor_b64 exec, exec, s[38:39]
	s_cbranch_execnz .LBB6_849
.LBB6_829:
	s_or_b64 exec, exec, s[38:39]
	s_and_saveexec_b64 s[38:39], s[36:37]
	s_cbranch_execz .LBB6_831
.LBB6_830:
	v_lshlrev_b32_e32 v7, 24, v6
	v_and_b32_e32 v6, 0xffff, v6
	v_and_b32_e32 v8, 3, v6
	v_ffbh_u32_e32 v10, v8
	v_min_u32_e32 v10, 32, v10
	v_subrev_u32_e32 v11, 29, v10
	v_bfe_u32 v9, v6, 2, 5
	v_lshlrev_b32_e32 v6, v11, v6
	v_sub_u32_e32 v10, 30, v10
	v_and_b32_e32 v6, 3, v6
	v_cmp_eq_u32_e32 vcc, 0, v9
	v_cndmask_b32_e32 v9, v9, v10, vcc
	v_cndmask_b32_e32 v6, v8, v6, vcc
	v_mov_b32_e32 v8, 0x37800000
	v_lshlrev_b32_e32 v6, 21, v6
	v_and_b32_e32 v7, 0x80000000, v7
	v_lshl_add_u32 v8, v9, 23, v8
	v_or3_b32 v6, v7, v8, v6
	v_cvt_f16_f32_e32 v7, v6
.LBB6_831:
	s_or_b64 exec, exec, s[38:39]
	s_mov_b64 s[36:37], 0
	s_branch .LBB6_837
.LBB6_832:
	s_mov_b64 s[36:37], -1
                                        ; implicit-def: $vgpr7
	s_branch .LBB6_843
.LBB6_833:
	s_or_saveexec_b64 s[40:41], s[40:41]
	v_mov_b32_e32 v7, s33
	s_xor_b64 exec, exec, s[40:41]
	s_cbranch_execz .LBB6_816
.LBB6_834:
	v_cmp_ne_u16_e32 vcc, 0, v6
	s_andn2_b64 s[38:39], s[38:39], exec
	s_and_b64 s[42:43], vcc, exec
	s_or_b64 s[38:39], s[38:39], s[42:43]
	v_mov_b32_e32 v7, v6
	s_or_b64 exec, exec, s[40:41]
	s_and_saveexec_b64 s[40:41], s[38:39]
	s_cbranch_execnz .LBB6_817
	s_branch .LBB6_818
.LBB6_835:
	s_mov_b64 s[36:37], -1
                                        ; implicit-def: $vgpr7
	s_branch .LBB6_840
.LBB6_836:
	s_mov_b64 s[36:37], -1
                                        ; implicit-def: $vgpr7
.LBB6_837:
	s_and_b64 vcc, exec, s[36:37]
	s_cbranch_vccz .LBB6_839
; %bb.838:
	global_load_ubyte v6, v[0:1], off
	s_mov_b32 s33, 0x7f800000
	s_waitcnt vmcnt(0)
	v_lshlrev_b32_e32 v6, 24, v6
	v_and_b32_e32 v7, 0x7f000000, v6
	v_ffbh_u32_e32 v8, v7
	v_min_u32_e32 v8, 32, v8
	v_sub_u32_e64 v8, v8, 4 clamp
	v_lshlrev_b32_e32 v10, v8, v7
	v_lshlrev_b32_e32 v8, 23, v8
	v_lshrrev_b32_e32 v10, 4, v10
	v_add_u32_e32 v9, 0x1000000, v7
	v_sub_u32_e32 v8, v10, v8
	v_ashrrev_i32_e32 v9, 8, v9
	v_add_u32_e32 v8, 0x3c000000, v8
	v_and_or_b32 v8, v9, s33, v8
	v_cmp_ne_u32_e32 vcc, 0, v7
	v_cndmask_b32_e32 v7, 0, v8, vcc
	s_brev_b32 s33, 1
	v_and_or_b32 v6, v6, s33, v7
	v_cvt_f16_f32_e32 v7, v6
.LBB6_839:
	s_mov_b64 s[36:37], 0
.LBB6_840:
	s_andn2_b64 vcc, exec, s[36:37]
	s_cbranch_vccnz .LBB6_842
; %bb.841:
	global_load_ubyte v6, v[0:1], off
	s_movk_i32 s33, 0x7f00
	s_brev_b32 s36, 16
	s_waitcnt vmcnt(0)
	v_lshlrev_b16_e32 v7, 8, v6
	v_lshlrev_b32_e32 v6, 25, v6
	v_lshrrev_b32_e32 v8, 4, v6
	v_and_or_b32 v9, v7, s33, 0.5
	v_or_b32_e32 v8, 0x70000000, v8
	v_add_f32_e32 v9, -0.5, v9
	v_mul_f32_e32 v8, 0x7800000, v8
	v_cmp_gt_u32_e32 vcc, s36, v6
	v_bfe_i32 v7, v7, 0, 16
	v_cndmask_b32_e32 v6, v8, v9, vcc
	s_brev_b32 s33, 1
	v_and_or_b32 v6, v7, s33, v6
	v_cvt_f16_f32_e32 v7, v6
.LBB6_842:
	s_mov_b64 s[36:37], 0
	s_mov_b64 s[38:39], -1
.LBB6_843:
	s_andn2_b64 vcc, exec, s[36:37]
	s_mov_b64 s[36:37], 0
	s_cbranch_vccnz .LBB6_854
; %bb.844:
	v_cmp_lt_i16_e32 vcc, 14, v3
	s_cbranch_vccz .LBB6_847
; %bb.845:
	v_cmp_eq_u16_e32 vcc, 15, v3
	s_cbranch_vccz .LBB6_850
; %bb.846:
	global_load_ushort v6, v[0:1], off
	s_mov_b64 s[34:35], 0
	s_mov_b64 s[38:39], -1
	s_waitcnt vmcnt(0)
	v_lshlrev_b32_e32 v6, 16, v6
	v_cvt_f16_f32_e32 v7, v6
	s_branch .LBB6_851
.LBB6_847:
	s_mov_b64 s[40:41], -1
                                        ; implicit-def: $vgpr7
	s_branch .LBB6_852
.LBB6_848:
	s_or_saveexec_b64 s[38:39], s[38:39]
	v_mov_b32_e32 v7, s33
	s_xor_b64 exec, exec, s[38:39]
	s_cbranch_execz .LBB6_829
.LBB6_849:
	v_cmp_ne_u16_e32 vcc, 0, v6
	s_andn2_b64 s[36:37], s[36:37], exec
	s_and_b64 s[40:41], vcc, exec
	s_or_b64 s[36:37], s[36:37], s[40:41]
	v_mov_b32_e32 v7, v6
	s_or_b64 exec, exec, s[38:39]
	s_and_saveexec_b64 s[38:39], s[36:37]
	s_cbranch_execnz .LBB6_830
	s_branch .LBB6_831
.LBB6_850:
	s_mov_b64 s[34:35], -1
                                        ; implicit-def: $vgpr7
.LBB6_851:
	s_mov_b64 s[40:41], 0
.LBB6_852:
	s_and_b64 vcc, exec, s[40:41]
	s_cbranch_vccz .LBB6_854
; %bb.853:
	v_cmp_ne_u16_e32 vcc, 11, v3
	s_andn2_b64 s[34:35], s[34:35], exec
	s_and_b64 s[40:41], vcc, exec
	s_mov_b64 s[36:37], -1
	s_or_b64 s[34:35], s[34:35], s[40:41]
                                        ; implicit-def: $vgpr7
.LBB6_854:
	s_mov_b64 s[40:41], 0
.LBB6_855:
	s_and_b64 s[42:43], s[40:41], exec
	s_andn2_b64 s[40:41], s[0:1], exec
	s_and_b64 s[34:35], s[34:35], exec
	s_and_b64 s[38:39], s[38:39], exec
	;; [unrolled: 1-line block ×3, first 2 shown]
	s_or_b64 s[40:41], s[40:41], s[34:35]
.LBB6_856:
	s_or_b64 exec, exec, s[28:29]
	s_and_b64 s[34:35], s[36:37], exec
	s_andn2_b64 s[0:1], s[0:1], exec
	s_and_b64 s[36:37], s[40:41], exec
	s_and_b64 s[38:39], s[38:39], exec
	;; [unrolled: 1-line block ×3, first 2 shown]
	s_or_b64 s[0:1], s[0:1], s[36:37]
.LBB6_857:
	s_or_b64 exec, exec, s[26:27]
	s_andn2_b64 s[22:23], s[22:23], exec
	s_and_b64 s[26:27], s[30:31], exec
	s_andn2_b64 s[20:21], s[20:21], exec
	s_and_b64 s[0:1], s[0:1], exec
	s_or_b64 s[22:23], s[22:23], s[26:27]
	s_and_b64 s[30:31], s[38:39], exec
	s_and_b64 s[28:29], s[28:29], exec
	s_and_b64 s[26:27], s[34:35], exec
	s_or_b64 s[20:21], s[20:21], s[0:1]
.LBB6_858:
	s_or_b64 exec, exec, s[24:25]
	s_andn2_b64 s[0:1], s[6:7], exec
	s_and_b64 s[6:7], s[22:23], exec
	s_andn2_b64 s[16:17], s[16:17], exec
	s_and_b64 s[20:21], s[20:21], exec
	s_or_b64 s[6:7], s[0:1], s[6:7]
	s_and_b64 s[0:1], s[30:31], exec
	s_and_b64 s[24:25], s[28:29], exec
	;; [unrolled: 1-line block ×3, first 2 shown]
	s_or_b64 s[16:17], s[16:17], s[20:21]
	s_or_b64 exec, exec, s[18:19]
	s_mov_b64 s[18:19], 0
	s_and_saveexec_b64 s[20:21], s[16:17]
	s_cbranch_execz .LBB6_262
.LBB6_859:
	s_mov_b64 s[18:19], exec
	s_andn2_b64 s[22:23], s[22:23], exec
	s_trap 2
                                        ; implicit-def: $vgpr7
	s_or_b64 exec, exec, s[20:21]
	s_and_saveexec_b64 s[16:17], s[22:23]
	s_xor_b64 s[16:17], exec, s[16:17]
	s_cbranch_execnz .LBB6_263
.LBB6_860:
	s_or_b64 exec, exec, s[16:17]
	s_and_saveexec_b64 s[16:17], s[24:25]
	s_cbranch_execz .LBB6_906
.LBB6_861:
	v_cmp_gt_i16_e32 vcc, 5, v3
	s_cbranch_vccnz .LBB6_866
; %bb.862:
	v_cmp_gt_i16_e32 vcc, 8, v3
	s_cbranch_vccnz .LBB6_867
; %bb.863:
	;; [unrolled: 3-line block ×3, first 2 shown]
	v_cmp_lt_i16_e32 vcc, 9, v3
	s_cbranch_vccz .LBB6_869
; %bb.865:
	global_load_dwordx2 v[6:7], v[0:1], off
	s_mov_b64 s[20:21], 0
	s_waitcnt vmcnt(0)
	v_cvt_f32_f64_e32 v6, v[6:7]
	v_cvt_f16_f32_e32 v7, v6
	s_branch .LBB6_870
.LBB6_866:
                                        ; implicit-def: $vgpr7
	s_branch .LBB6_887
.LBB6_867:
                                        ; implicit-def: $vgpr7
	s_branch .LBB6_876
.LBB6_868:
	s_mov_b64 s[20:21], -1
                                        ; implicit-def: $vgpr7
	s_branch .LBB6_873
.LBB6_869:
	s_mov_b64 s[20:21], -1
                                        ; implicit-def: $vgpr7
.LBB6_870:
	s_andn2_b64 vcc, exec, s[20:21]
	s_cbranch_vccnz .LBB6_872
; %bb.871:
	global_load_dword v6, v[0:1], off
	s_waitcnt vmcnt(0)
	v_cvt_f16_f32_e32 v7, v6
.LBB6_872:
	s_mov_b64 s[20:21], 0
.LBB6_873:
	s_andn2_b64 vcc, exec, s[20:21]
	s_cbranch_vccnz .LBB6_875
; %bb.874:
	global_load_dword v7, v[0:1], off
.LBB6_875:
	s_cbranch_execnz .LBB6_886
.LBB6_876:
	v_cmp_gt_i16_e32 vcc, 6, v3
	s_cbranch_vccnz .LBB6_879
; %bb.877:
	v_cmp_lt_i16_e32 vcc, 6, v3
	s_cbranch_vccz .LBB6_880
; %bb.878:
	global_load_dwordx2 v[6:7], v[0:1], off
	s_mov_b64 s[20:21], 0
	s_waitcnt vmcnt(0)
	v_cvt_f32_f64_e32 v6, v[6:7]
	v_cvt_f16_f32_e32 v7, v6
	s_branch .LBB6_881
.LBB6_879:
	s_mov_b64 s[20:21], -1
                                        ; implicit-def: $vgpr7
	s_branch .LBB6_884
.LBB6_880:
	s_mov_b64 s[20:21], -1
                                        ; implicit-def: $vgpr7
.LBB6_881:
	s_andn2_b64 vcc, exec, s[20:21]
	s_cbranch_vccnz .LBB6_883
; %bb.882:
	global_load_dword v6, v[0:1], off
	s_waitcnt vmcnt(0)
	v_cvt_f16_f32_e32 v7, v6
.LBB6_883:
	s_mov_b64 s[20:21], 0
.LBB6_884:
	s_andn2_b64 vcc, exec, s[20:21]
	s_cbranch_vccnz .LBB6_886
; %bb.885:
	global_load_ushort v7, v[0:1], off
.LBB6_886:
	s_cbranch_execnz .LBB6_905
.LBB6_887:
	v_cmp_gt_i16_e32 vcc, 2, v3
	s_cbranch_vccnz .LBB6_891
; %bb.888:
	v_cmp_gt_i16_e32 vcc, 3, v3
	s_cbranch_vccnz .LBB6_892
; %bb.889:
	v_cmp_lt_i16_e32 vcc, 3, v3
	s_cbranch_vccz .LBB6_893
; %bb.890:
	global_load_dwordx2 v[6:7], v[0:1], off
	s_mov_b64 s[20:21], 0
	s_waitcnt vmcnt(0)
	v_xor_b32_e32 v9, v6, v7
	v_ffbh_i32_e32 v8, v7
	v_ashrrev_i32_e32 v9, 31, v9
	v_add_u32_e32 v8, -1, v8
	v_add_u32_e32 v9, 32, v9
	v_min_u32_e32 v8, v8, v9
	v_lshlrev_b64 v[6:7], v8, v[6:7]
	v_min_u32_e32 v6, 1, v6
	v_or_b32_e32 v6, v7, v6
	v_cvt_f32_i32_e32 v6, v6
	v_sub_u32_e32 v7, 32, v8
	v_ldexp_f32 v6, v6, v7
	v_cvt_f16_f32_e32 v7, v6
	s_branch .LBB6_894
.LBB6_891:
                                        ; implicit-def: $vgpr7
	s_branch .LBB6_900
.LBB6_892:
	s_mov_b64 s[20:21], -1
                                        ; implicit-def: $vgpr7
	s_branch .LBB6_897
.LBB6_893:
	s_mov_b64 s[20:21], -1
                                        ; implicit-def: $vgpr7
.LBB6_894:
	s_andn2_b64 vcc, exec, s[20:21]
	s_cbranch_vccnz .LBB6_896
; %bb.895:
	global_load_dword v6, v[0:1], off
	s_waitcnt vmcnt(0)
	v_cvt_f32_i32_e32 v6, v6
	v_cvt_f16_f32_e32 v7, v6
.LBB6_896:
	s_mov_b64 s[20:21], 0
.LBB6_897:
	s_andn2_b64 vcc, exec, s[20:21]
	s_cbranch_vccnz .LBB6_899
; %bb.898:
	global_load_ushort v6, v[0:1], off
	s_waitcnt vmcnt(0)
	v_cvt_f16_i16_e32 v7, v6
.LBB6_899:
	s_cbranch_execnz .LBB6_905
.LBB6_900:
	v_cmp_lt_i16_e32 vcc, 0, v3
	s_cbranch_vccz .LBB6_902
; %bb.901:
	global_load_sbyte v3, v[0:1], off
	s_mov_b64 s[20:21], 0
	s_waitcnt vmcnt(0)
	v_cvt_f16_i16_e32 v7, v3
	s_branch .LBB6_903
.LBB6_902:
	s_mov_b64 s[20:21], -1
                                        ; implicit-def: $vgpr7
.LBB6_903:
	s_andn2_b64 vcc, exec, s[20:21]
	s_cbranch_vccnz .LBB6_905
; %bb.904:
	global_load_ubyte v0, v[0:1], off
	s_waitcnt vmcnt(0)
	v_cvt_f16_u16_e32 v7, v0
.LBB6_905:
	s_or_b64 s[0:1], s[0:1], exec
.LBB6_906:
	s_or_b64 exec, exec, s[16:17]
	s_mov_b64 s[22:23], 0
	s_mov_b64 s[20:21], 0
                                        ; implicit-def: $vgpr6
                                        ; implicit-def: $vgpr0_vgpr1
                                        ; implicit-def: $vgpr3
	s_and_saveexec_b64 s[16:17], s[0:1]
	s_cbranch_execz .LBB6_924
; %bb.907:
	s_waitcnt vmcnt(0)
	v_and_b32_e32 v0, 0xffff8000, v7
	v_or_b32_e32 v3, v0, v5
	v_mul_lo_u32 v0, v2, s12
	v_ashrrev_i32_e32 v1, 31, v0
	v_mov_b32_e32 v2, s9
	v_add_co_u32_e32 v0, vcc, s8, v0
	v_addc_co_u32_e32 v1, vcc, v2, v1, vcc
	v_mov_b32_e32 v2, 0xff
	v_and_b32_e32 v6, s15, v2
	v_cmp_gt_i16_e32 vcc, 11, v6
	s_cbranch_vccnz .LBB6_927
; %bb.908:
	v_cmp_lt_i16_e32 vcc, 25, v6
	s_mov_b64 s[22:23], -1
	s_mov_b64 s[0:1], s[6:7]
	s_cbranch_vccz .LBB6_945
; %bb.909:
	v_cmp_lt_i16_e32 vcc, 28, v6
	s_mov_b64 s[20:21], -1
	s_mov_b64 s[0:1], s[6:7]
	s_cbranch_vccz .LBB6_929
; %bb.910:
	v_cmp_lt_i16_e32 vcc, 43, v6
	s_mov_b64 s[0:1], s[6:7]
	s_cbranch_vccz .LBB6_921
; %bb.911:
	v_cmp_lt_i16_e32 vcc, 45, v6
	s_mov_b64 s[0:1], s[6:7]
	s_cbranch_vccz .LBB6_915
; %bb.912:
	v_cmp_eq_u16_e32 vcc, 46, v6
	s_mov_b64 s[0:1], -1
	s_cbranch_vccz .LBB6_914
; %bb.913:
	v_cvt_f32_f16_e32 v2, v3
	s_movk_i32 s0, 0x7fff
	v_mov_b32_e32 v5, 0x7fc0
	v_cmp_o_f16_e32 vcc, v3, v3
	v_bfe_u32 v7, v2, 16, 1
	v_add3_u32 v2, v2, v7, s0
	v_lshrrev_b32_e32 v2, 16, v2
	v_cndmask_b32_e32 v2, v5, v2, vcc
	global_store_dword v[0:1], v2, off
	s_mov_b64 s[0:1], 0
.LBB6_914:
	s_mov_b64 s[20:21], 0
.LBB6_915:
	s_and_b64 vcc, exec, s[20:21]
	s_cbranch_vccz .LBB6_920
; %bb.916:
	v_cmp_eq_u16_e32 vcc, 44, v6
	s_mov_b64 s[0:1], -1
	s_cbranch_vccz .LBB6_920
; %bb.917:
	v_cvt_f32_f16_e32 v2, v3
	s_movk_i32 s0, 0xff
	v_mov_b32_e32 v7, 0xff
	v_bfe_u32 v5, v2, 23, 8
	v_cmp_ne_u32_e32 vcc, s0, v5
	s_and_saveexec_b64 s[20:21], vcc
; %bb.918:
	s_mov_b32 s0, 0x3fffff
	v_lshrrev_b32_e32 v7, 23, v2
	v_and_b32_e32 v8, 0x400000, v2
	v_and_or_b32 v2, v2, s0, v5
	v_cmp_ne_u32_e32 vcc, 0, v8
	v_cmp_ne_u32_e64 s[0:1], 0, v2
	s_and_b64 s[0:1], vcc, s[0:1]
	v_cndmask_b32_e64 v2, 0, 1, s[0:1]
	v_add_u32_e32 v7, v7, v2
; %bb.919:
	s_or_b64 exec, exec, s[20:21]
	s_mov_b64 s[0:1], 0
	global_store_byte v[0:1], v7, off
.LBB6_920:
	s_mov_b64 s[20:21], 0
.LBB6_921:
	s_and_b64 vcc, exec, s[20:21]
	s_cbranch_vccz .LBB6_928
; %bb.922:
	v_cmp_eq_u16_e32 vcc, 29, v6
	s_mov_b64 s[0:1], -1
	s_cbranch_vccz .LBB6_928
; %bb.923:
	v_cvt_f32_f16_e32 v2, v3
	v_mov_b32_e32 v9, 0
	s_mov_b64 s[0:1], 0
	s_mov_b64 s[20:21], 0
	v_cvt_u32_f32_e32 v8, v2
	global_store_dwordx2 v[0:1], v[8:9], off
	s_branch .LBB6_929
.LBB6_924:
	s_or_b64 exec, exec, s[16:17]
	s_and_saveexec_b64 s[0:1], s[6:7]
	s_cbranch_execnz .LBB6_987
.LBB6_925:
	s_or_b64 exec, exec, s[0:1]
	s_and_saveexec_b64 s[0:1], s[22:23]
	s_xor_b64 s[0:1], exec, s[0:1]
	s_cbranch_execz .LBB6_988
.LBB6_926:
	global_store_byte v[0:1], v4, off
	s_or_b64 exec, exec, s[0:1]
	s_and_saveexec_b64 s[0:1], s[20:21]
	s_xor_b64 s[0:1], exec, s[0:1]
	s_cbranch_execz .LBB6_1026
	s_branch .LBB6_989
.LBB6_927:
	s_mov_b64 s[20:21], -1
	s_mov_b64 s[0:1], s[6:7]
	s_branch .LBB6_986
.LBB6_928:
	s_mov_b64 s[20:21], 0
.LBB6_929:
	s_and_b64 vcc, exec, s[20:21]
	s_cbranch_vccz .LBB6_944
; %bb.930:
	v_cmp_gt_i16_e32 vcc, 27, v6
	s_mov_b64 s[20:21], -1
	s_cbranch_vccnz .LBB6_936
; %bb.931:
	v_cmp_lt_i16_e32 vcc, 27, v6
	s_cbranch_vccz .LBB6_933
; %bb.932:
	v_cvt_f32_f16_e32 v2, v3
	s_mov_b64 s[20:21], 0
	v_cvt_u32_f32_e32 v2, v2
	global_store_dword v[0:1], v2, off
.LBB6_933:
	s_andn2_b64 vcc, exec, s[20:21]
	s_cbranch_vccnz .LBB6_935
; %bb.934:
	v_cvt_u16_f16_e32 v2, v3
	global_store_short v[0:1], v2, off
.LBB6_935:
	s_mov_b64 s[20:21], 0
.LBB6_936:
	s_andn2_b64 vcc, exec, s[20:21]
	s_cbranch_vccnz .LBB6_944
; %bb.937:
	v_cvt_f32_f16_e32 v2, v3
	s_mov_b32 s20, 0x43800000
	v_mov_b32_e32 v7, 0x80
	v_and_b32_e32 v5, 0x7fffffff, v2
	v_cmp_gt_u32_e32 vcc, s20, v5
	s_and_saveexec_b64 s[20:21], vcc
	s_cbranch_execz .LBB6_943
; %bb.938:
	s_mov_b32 s22, 0x3bffffff
	v_cmp_lt_u32_e32 vcc, s22, v5
	s_mov_b64 s[22:23], 0
                                        ; implicit-def: $vgpr5
	s_and_saveexec_b64 s[24:25], vcc
	s_xor_b64 s[24:25], exec, s[24:25]
	s_cbranch_execz .LBB6_1041
; %bb.939:
	v_bfe_u32 v5, v2, 20, 1
	s_mov_b32 s26, 0x487ffff
	v_add3_u32 v5, v2, v5, s26
	s_mov_b64 s[22:23], exec
	v_lshrrev_b32_e32 v5, 20, v5
	s_or_saveexec_b64 s[24:25], s[24:25]
                                        ; implicit-def: $sgpr26
	s_xor_b64 exec, exec, s[24:25]
	s_cbranch_execnz .LBB6_1042
.LBB6_940:
	s_or_b64 exec, exec, s[24:25]
	v_mov_b32_e32 v7, s26
	s_and_saveexec_b64 s[24:25], s[22:23]
.LBB6_941:
	v_lshrrev_b32_e32 v2, 24, v2
	s_movk_i32 s22, 0x80
	v_and_or_b32 v7, v2, s22, v5
.LBB6_942:
	s_or_b64 exec, exec, s[24:25]
.LBB6_943:
	s_or_b64 exec, exec, s[20:21]
	global_store_byte v[0:1], v7, off
.LBB6_944:
	s_mov_b64 s[22:23], 0
.LBB6_945:
	s_mov_b64 s[20:21], 0
	s_and_b64 vcc, exec, s[22:23]
	s_cbranch_vccz .LBB6_985
; %bb.946:
	v_cmp_lt_i16_e32 vcc, 22, v6
	s_mov_b64 s[22:23], -1
	s_cbranch_vccz .LBB6_978
; %bb.947:
	v_cmp_gt_i16_e32 vcc, 24, v6
	s_cbranch_vccnz .LBB6_967
; %bb.948:
	v_cmp_lt_i16_e32 vcc, 24, v6
	s_cbranch_vccz .LBB6_956
; %bb.949:
	v_cvt_f32_f16_e32 v2, v3
	s_mov_b32 s22, 0x47800000
	v_mov_b32_e32 v7, 0x80
	v_and_b32_e32 v5, 0x7fffffff, v2
	v_cmp_gt_u32_e32 vcc, s22, v5
	s_and_saveexec_b64 s[22:23], vcc
	s_cbranch_execz .LBB6_955
; %bb.950:
	s_mov_b32 s24, 0x37ffffff
	v_cmp_lt_u32_e32 vcc, s24, v5
	s_mov_b64 s[24:25], 0
                                        ; implicit-def: $vgpr5
	s_and_saveexec_b64 s[26:27], vcc
	s_xor_b64 s[26:27], exec, s[26:27]
	s_cbranch_execz .LBB6_1166
; %bb.951:
	v_bfe_u32 v5, v2, 21, 1
	s_mov_b32 s28, 0x88fffff
	v_add3_u32 v5, v2, v5, s28
	s_mov_b64 s[24:25], exec
	v_lshrrev_b32_e32 v5, 21, v5
	s_or_saveexec_b64 s[26:27], s[26:27]
                                        ; implicit-def: $sgpr28
	s_xor_b64 exec, exec, s[26:27]
	s_cbranch_execnz .LBB6_1167
.LBB6_952:
	s_or_b64 exec, exec, s[26:27]
	v_mov_b32_e32 v7, s28
	s_and_saveexec_b64 s[26:27], s[24:25]
.LBB6_953:
	v_lshrrev_b32_e32 v2, 24, v2
	s_movk_i32 s24, 0x80
	v_and_or_b32 v7, v2, s24, v5
.LBB6_954:
	s_or_b64 exec, exec, s[26:27]
.LBB6_955:
	s_or_b64 exec, exec, s[22:23]
	s_mov_b64 s[22:23], 0
	global_store_byte v[0:1], v7, off
.LBB6_956:
	s_and_b64 vcc, exec, s[22:23]
	s_cbranch_vccz .LBB6_966
; %bb.957:
	v_cvt_f32_f16_e32 v2, v3
	s_mov_b32 s22, 0x43f00000
                                        ; implicit-def: $vgpr5
	v_and_b32_e32 v7, 0x7fffffff, v2
	v_cmp_gt_u32_e32 vcc, s22, v7
	s_and_saveexec_b64 s[22:23], vcc
	s_xor_b64 s[22:23], exec, s[22:23]
	s_cbranch_execz .LBB6_963
; %bb.958:
	s_mov_b32 s24, 0x3c7fffff
	v_cmp_lt_u32_e32 vcc, s24, v7
                                        ; implicit-def: $vgpr5
	s_and_saveexec_b64 s[24:25], vcc
	s_xor_b64 s[24:25], exec, s[24:25]
; %bb.959:
	v_bfe_u32 v5, v2, 20, 1
	s_mov_b32 s26, 0x407ffff
	v_add3_u32 v5, v2, v5, s26
	v_lshrrev_b32_e32 v7, 20, v5
	v_and_b32_e32 v5, 0xff00000, v5
	s_mov_b32 s26, 0x7f00000
	v_mov_b32_e32 v8, 0x7e
	v_cmp_ne_u32_e32 vcc, s26, v5
	v_cndmask_b32_e32 v5, v8, v7, vcc
; %bb.960:
	s_andn2_saveexec_b64 s[24:25], s[24:25]
; %bb.961:
	s_mov_b32 s26, 0x46800000
	v_add_f32_e64 v5, |v2|, s26
; %bb.962:
	s_or_b64 exec, exec, s[24:25]
                                        ; implicit-def: $vgpr7
.LBB6_963:
	s_andn2_saveexec_b64 s[22:23], s[22:23]
; %bb.964:
	s_mov_b32 s24, 0x7f800000
	v_mov_b32_e32 v5, 0x7e
	v_mov_b32_e32 v8, 0x7f
	v_cmp_lt_u32_e32 vcc, s24, v7
	v_cndmask_b32_e32 v5, v5, v8, vcc
; %bb.965:
	s_or_b64 exec, exec, s[22:23]
	v_lshrrev_b32_e32 v2, 24, v2
	s_movk_i32 s22, 0x80
	v_and_or_b32 v2, v2, s22, v5
	global_store_byte v[0:1], v2, off
.LBB6_966:
	s_mov_b64 s[22:23], 0
.LBB6_967:
	s_andn2_b64 vcc, exec, s[22:23]
	s_cbranch_vccnz .LBB6_977
; %bb.968:
	v_cvt_f32_f16_e32 v2, v3
	s_mov_b32 s22, 0x47800000
                                        ; implicit-def: $vgpr5
	v_and_b32_e32 v7, 0x7fffffff, v2
	v_cmp_gt_u32_e32 vcc, s22, v7
	s_and_saveexec_b64 s[22:23], vcc
	s_xor_b64 s[22:23], exec, s[22:23]
	s_cbranch_execz .LBB6_974
; %bb.969:
	s_mov_b32 s24, 0x387fffff
	v_cmp_lt_u32_e32 vcc, s24, v7
                                        ; implicit-def: $vgpr5
	s_and_saveexec_b64 s[24:25], vcc
	s_xor_b64 s[24:25], exec, s[24:25]
; %bb.970:
	v_bfe_u32 v5, v2, 21, 1
	s_mov_b32 s26, 0x80fffff
	v_add3_u32 v5, v2, v5, s26
	v_lshrrev_b32_e32 v5, 21, v5
; %bb.971:
	s_andn2_saveexec_b64 s[24:25], s[24:25]
; %bb.972:
	s_mov_b32 s26, 0x43000000
	v_add_f32_e64 v5, |v2|, s26
; %bb.973:
	s_or_b64 exec, exec, s[24:25]
                                        ; implicit-def: $vgpr7
.LBB6_974:
	s_andn2_saveexec_b64 s[22:23], s[22:23]
; %bb.975:
	s_mov_b32 s24, 0x7f800000
	v_mov_b32_e32 v5, 0x7c
	v_mov_b32_e32 v8, 0x7f
	v_cmp_lt_u32_e32 vcc, s24, v7
	v_cndmask_b32_e32 v5, v5, v8, vcc
; %bb.976:
	s_or_b64 exec, exec, s[22:23]
	v_lshrrev_b32_e32 v2, 24, v2
	s_movk_i32 s22, 0x80
	v_and_or_b32 v2, v2, s22, v5
	global_store_byte v[0:1], v2, off
.LBB6_977:
	s_mov_b64 s[22:23], 0
.LBB6_978:
	s_andn2_b64 vcc, exec, s[22:23]
	s_mov_b64 s[22:23], 0
	s_cbranch_vccnz .LBB6_986
; %bb.979:
	v_cmp_lt_i16_e32 vcc, 14, v6
	s_mov_b64 s[24:25], -1
	s_cbranch_vccz .LBB6_983
; %bb.980:
	v_cmp_eq_u16_e32 vcc, 15, v6
	s_mov_b64 s[0:1], -1
	s_cbranch_vccz .LBB6_982
; %bb.981:
	v_cvt_f32_f16_e32 v2, v3
	s_movk_i32 s0, 0x7fff
	v_mov_b32_e32 v5, 0x7fc0
	v_cmp_o_f16_e32 vcc, v3, v3
	v_bfe_u32 v7, v2, 16, 1
	v_add3_u32 v2, v2, v7, s0
	v_lshrrev_b32_e32 v2, 16, v2
	v_cndmask_b32_e32 v2, v5, v2, vcc
	global_store_short v[0:1], v2, off
	s_mov_b64 s[0:1], 0
.LBB6_982:
	s_mov_b64 s[24:25], 0
.LBB6_983:
	s_and_b64 vcc, exec, s[24:25]
	s_cbranch_vccz .LBB6_986
; %bb.984:
	v_cmp_ne_u16_e32 vcc, 11, v6
	s_andn2_b64 s[0:1], s[0:1], exec
	s_and_b64 s[24:25], vcc, exec
	s_mov_b64 s[22:23], -1
	s_or_b64 s[0:1], s[0:1], s[24:25]
	s_branch .LBB6_986
.LBB6_985:
	s_mov_b64 s[22:23], 0
.LBB6_986:
	s_andn2_b64 s[6:7], s[6:7], exec
	s_and_b64 s[0:1], s[0:1], exec
	s_and_b64 s[20:21], s[20:21], exec
	;; [unrolled: 1-line block ×3, first 2 shown]
	s_or_b64 s[6:7], s[6:7], s[0:1]
	s_or_b64 exec, exec, s[16:17]
	s_and_saveexec_b64 s[0:1], s[6:7]
	s_cbranch_execz .LBB6_925
.LBB6_987:
	s_or_b64 s[18:19], s[18:19], exec
	s_andn2_b64 s[22:23], s[22:23], exec
	s_trap 2
	s_or_b64 exec, exec, s[0:1]
	s_and_saveexec_b64 s[0:1], s[22:23]
	s_xor_b64 s[0:1], exec, s[0:1]
	s_cbranch_execnz .LBB6_926
.LBB6_988:
	s_or_b64 exec, exec, s[0:1]
	s_and_saveexec_b64 s[0:1], s[20:21]
	s_xor_b64 s[0:1], exec, s[0:1]
	s_cbranch_execz .LBB6_1026
.LBB6_989:
	s_waitcnt vmcnt(0)
	v_cmp_gt_i16_e32 vcc, 5, v6
	s_mov_b64 s[6:7], -1
	s_cbranch_vccnz .LBB6_1010
; %bb.990:
	v_cmp_gt_i16_e32 vcc, 8, v6
	s_cbranch_vccnz .LBB6_1000
; %bb.991:
	v_cmp_gt_i16_e32 vcc, 9, v6
	s_cbranch_vccnz .LBB6_997
; %bb.992:
	v_cmp_lt_i16_e32 vcc, 9, v6
	s_cbranch_vccz .LBB6_994
; %bb.993:
	v_cvt_f32_f16_e32 v2, v3
	v_mov_b32_e32 v10, 0
	v_mov_b32_e32 v11, v10
	s_mov_b64 s[6:7], 0
	v_cvt_f64_f32_e32 v[8:9], v2
	global_store_dwordx4 v[0:1], v[8:11], off
.LBB6_994:
	s_andn2_b64 vcc, exec, s[6:7]
	s_cbranch_vccnz .LBB6_996
; %bb.995:
	v_cvt_f32_f16_e32 v4, v3
	v_mov_b32_e32 v5, 0
	global_store_dwordx2 v[0:1], v[4:5], off
.LBB6_996:
	s_mov_b64 s[6:7], 0
.LBB6_997:
	s_andn2_b64 vcc, exec, s[6:7]
	s_cbranch_vccnz .LBB6_999
; %bb.998:
	v_and_b32_e32 v2, 0xffff, v3
	global_store_dword v[0:1], v2, off
.LBB6_999:
	s_mov_b64 s[6:7], 0
.LBB6_1000:
	s_andn2_b64 vcc, exec, s[6:7]
	s_cbranch_vccnz .LBB6_1009
; %bb.1001:
	v_cmp_gt_i16_e32 vcc, 6, v6
	s_mov_b64 s[6:7], -1
	s_cbranch_vccnz .LBB6_1007
; %bb.1002:
	v_cmp_lt_i16_e32 vcc, 6, v6
	s_cbranch_vccz .LBB6_1004
; %bb.1003:
	v_cvt_f32_f16_e32 v2, v3
	s_mov_b64 s[6:7], 0
	v_cvt_f64_f32_e32 v[4:5], v2
	global_store_dwordx2 v[0:1], v[4:5], off
.LBB6_1004:
	s_andn2_b64 vcc, exec, s[6:7]
	s_cbranch_vccnz .LBB6_1006
; %bb.1005:
	v_cvt_f32_f16_e32 v2, v3
	global_store_dword v[0:1], v2, off
.LBB6_1006:
	s_mov_b64 s[6:7], 0
.LBB6_1007:
	s_andn2_b64 vcc, exec, s[6:7]
	s_cbranch_vccnz .LBB6_1009
; %bb.1008:
	global_store_short v[0:1], v3, off
.LBB6_1009:
	s_mov_b64 s[6:7], 0
.LBB6_1010:
	s_andn2_b64 vcc, exec, s[6:7]
	s_cbranch_vccnz .LBB6_1026
; %bb.1011:
	v_cmp_gt_i16_e32 vcc, 2, v6
	s_mov_b64 s[6:7], -1
	s_cbranch_vccnz .LBB6_1021
; %bb.1012:
	v_cmp_gt_i16_e32 vcc, 3, v6
	s_cbranch_vccnz .LBB6_1018
; %bb.1013:
	v_cmp_lt_i16_e32 vcc, 3, v6
	s_cbranch_vccz .LBB6_1015
; %bb.1014:
	v_cvt_f32_f16_e32 v2, v3
	s_mov_b64 s[6:7], 0
	v_cvt_i32_f32_e32 v4, v2
	v_ashrrev_i32_e32 v5, 31, v4
	global_store_dwordx2 v[0:1], v[4:5], off
.LBB6_1015:
	s_andn2_b64 vcc, exec, s[6:7]
	s_cbranch_vccnz .LBB6_1017
; %bb.1016:
	v_cvt_f32_f16_e32 v2, v3
	v_cvt_i32_f32_e32 v2, v2
	global_store_dword v[0:1], v2, off
.LBB6_1017:
	s_mov_b64 s[6:7], 0
.LBB6_1018:
	s_andn2_b64 vcc, exec, s[6:7]
	s_cbranch_vccnz .LBB6_1020
; %bb.1019:
	v_cvt_i16_f16_e32 v2, v3
	global_store_short v[0:1], v2, off
.LBB6_1020:
	s_mov_b64 s[6:7], 0
.LBB6_1021:
	s_andn2_b64 vcc, exec, s[6:7]
	s_cbranch_vccnz .LBB6_1026
; %bb.1022:
	v_cmp_lt_i16_e32 vcc, 0, v6
	s_mov_b64 s[6:7], -1
	s_cbranch_vccz .LBB6_1024
; %bb.1023:
	v_cvt_i16_f16_e32 v2, v3
	s_mov_b64 s[6:7], 0
	global_store_byte v[0:1], v2, off
.LBB6_1024:
	s_andn2_b64 vcc, exec, s[6:7]
	s_cbranch_vccnz .LBB6_1026
; %bb.1025:
	v_cvt_f32_f16_e32 v2, v3
	v_cvt_i32_f32_e32 v2, v2
	global_store_byte v[0:1], v2, off
.LBB6_1026:
	s_or_b64 exec, exec, s[0:1]
	s_and_b64 s[6:7], s[18:19], exec
                                        ; implicit-def: $vgpr2
                                        ; implicit-def: $vgpr3
.LBB6_1027:
	s_or_saveexec_b64 s[4:5], s[4:5]
	s_mov_b64 s[0:1], 0
                                        ; implicit-def: $vgpr6
                                        ; implicit-def: $vgpr0_vgpr1
                                        ; implicit-def: $vgpr5
                                        ; implicit-def: $vgpr4
	s_xor_b64 exec, exec, s[4:5]
	s_cbranch_execz .LBB6_1550
; %bb.1028:
	v_mul_lo_u32 v4, s13, v2
	v_ashrrev_i32_e32 v1, 31, v4
	v_mov_b32_e32 v5, s11
	v_add_co_u32_e32 v0, vcc, s10, v4
	v_addc_co_u32_e32 v1, vcc, v5, v1, vcc
	v_cmp_gt_i16_e64 s[0:1], 11, v3
	s_and_b64 vcc, exec, s[0:1]
	s_cbranch_vccnz .LBB6_1035
; %bb.1029:
	v_cmp_lt_i16_e32 vcc, 25, v3
	s_mov_b64 s[18:19], 0
	s_cbranch_vccz .LBB6_1037
; %bb.1030:
	v_cmp_lt_i16_e32 vcc, 28, v3
	s_cbranch_vccz .LBB6_1038
; %bb.1031:
	v_cmp_lt_i16_e32 vcc, 43, v3
	s_cbranch_vccz .LBB6_1039
; %bb.1032:
	v_cmp_lt_i16_e32 vcc, 45, v3
	s_cbranch_vccz .LBB6_1040
; %bb.1033:
	v_cmp_eq_u16_e32 vcc, 46, v3
	s_mov_b64 s[16:17], 0
	s_cbranch_vccz .LBB6_1043
; %bb.1034:
	global_load_dword v5, v[0:1], off
	s_mov_b64 s[20:21], -1
	s_waitcnt vmcnt(0)
	v_lshlrev_b32_e32 v5, 16, v5
	v_cvt_f16_f32_e32 v5, v5
	s_branch .LBB6_1044
.LBB6_1035:
	s_mov_b64 s[20:21], 0
                                        ; implicit-def: $vgpr5
	s_mov_b64 s[16:17], s[6:7]
	s_cbranch_execnz .LBB6_1107
.LBB6_1036:
	s_andn2_b64 vcc, exec, s[20:21]
	s_cbranch_vccz .LBB6_1152
	s_branch .LBB6_1547
.LBB6_1037:
	s_mov_b64 s[20:21], 0
                                        ; implicit-def: $vgpr5
	s_cbranch_execnz .LBB6_1072
	s_branch .LBB6_1103
.LBB6_1038:
	s_mov_b64 s[16:17], -1
	s_mov_b64 s[20:21], 0
                                        ; implicit-def: $vgpr5
	s_branch .LBB6_1053
.LBB6_1039:
	s_mov_b64 s[20:21], 0
                                        ; implicit-def: $vgpr5
	s_cbranch_execnz .LBB6_1049
	s_branch .LBB6_1052
.LBB6_1040:
	s_mov_b64 s[16:17], -1
	s_mov_b64 s[20:21], 0
                                        ; implicit-def: $vgpr5
	s_branch .LBB6_1044
.LBB6_1041:
	s_or_saveexec_b64 s[24:25], s[24:25]
                                        ; implicit-def: $sgpr26
	s_xor_b64 exec, exec, s[24:25]
	s_cbranch_execz .LBB6_940
.LBB6_1042:
	s_mov_b32 s26, 0x46000000
	v_add_f32_e64 v5, |v2|, s26
	v_and_b32_e32 v5, 0xff, v5
	v_cmp_ne_u32_e32 vcc, 0, v5
	s_andn2_b64 s[22:23], s[22:23], exec
	s_and_b64 s[28:29], vcc, exec
	s_mov_b32 s26, 0
	s_or_b64 s[22:23], s[22:23], s[28:29]
	s_or_b64 exec, exec, s[24:25]
	v_mov_b32_e32 v7, s26
	s_and_saveexec_b64 s[24:25], s[22:23]
	s_cbranch_execnz .LBB6_941
	s_branch .LBB6_942
.LBB6_1043:
	s_mov_b64 s[2:3], -1
                                        ; implicit-def: $vgpr5
	s_mov_b64 s[20:21], 0
.LBB6_1044:
	s_and_b64 vcc, exec, s[16:17]
	s_cbranch_vccz .LBB6_1047
; %bb.1045:
	v_cmp_eq_u16_e32 vcc, 44, v3
	s_cbranch_vccz .LBB6_1048
; %bb.1046:
	global_load_ubyte v5, v[0:1], off
	s_movk_i32 s16, 0xff
	s_waitcnt vmcnt(1)
	v_mov_b32_e32 v7, 0x7e00
	s_mov_b64 s[2:3], 0
	s_mov_b64 s[20:21], -1
	s_waitcnt vmcnt(0)
	v_lshlrev_b32_e32 v6, 23, v5
	v_cvt_f16_f32_e32 v6, v6
	v_cmp_ne_u32_e32 vcc, s16, v5
	v_cndmask_b32_e32 v6, v7, v6, vcc
	v_cmp_ne_u32_e32 vcc, 0, v5
	v_cndmask_b32_e32 v5, 0, v6, vcc
.LBB6_1047:
	s_branch .LBB6_1052
.LBB6_1048:
	s_mov_b64 s[2:3], -1
                                        ; implicit-def: $vgpr5
	s_branch .LBB6_1052
.LBB6_1049:
	v_cmp_eq_u16_e32 vcc, 29, v3
	s_cbranch_vccz .LBB6_1051
; %bb.1050:
	global_load_dwordx2 v[6:7], v[0:1], off
	s_mov_b64 s[2:3], 0
	s_mov_b64 s[20:21], -1
	s_mov_b64 s[16:17], 0
	s_waitcnt vmcnt(0)
	v_ffbh_u32_e32 v5, v7
	v_min_u32_e32 v5, 32, v5
	v_lshlrev_b64 v[6:7], v5, v[6:7]
	v_min_u32_e32 v6, 1, v6
	v_or_b32_e32 v6, v7, v6
	v_cvt_f32_u32_e32 v6, v6
	v_sub_u32_e32 v5, 32, v5
	v_ldexp_f32 v5, v6, v5
	v_cvt_f16_f32_e32 v5, v5
	s_branch .LBB6_1053
.LBB6_1051:
	s_mov_b64 s[2:3], -1
                                        ; implicit-def: $vgpr5
.LBB6_1052:
	s_mov_b64 s[16:17], 0
.LBB6_1053:
	s_and_b64 vcc, exec, s[16:17]
	s_cbranch_vccz .LBB6_1071
; %bb.1054:
	v_cmp_gt_i16_e32 vcc, 27, v3
	s_cbranch_vccnz .LBB6_1057
; %bb.1055:
	v_cmp_lt_i16_e32 vcc, 27, v3
	s_cbranch_vccz .LBB6_1058
; %bb.1056:
	global_load_dword v5, v[0:1], off
	s_mov_b64 s[16:17], 0
	s_waitcnt vmcnt(0)
	v_cvt_f32_u32_e32 v5, v5
	v_cvt_f16_f32_e32 v5, v5
	s_branch .LBB6_1059
.LBB6_1057:
	s_mov_b64 s[16:17], -1
                                        ; implicit-def: $vgpr5
	s_branch .LBB6_1062
.LBB6_1058:
	s_mov_b64 s[16:17], -1
                                        ; implicit-def: $vgpr5
.LBB6_1059:
	s_andn2_b64 vcc, exec, s[16:17]
	s_cbranch_vccnz .LBB6_1061
; %bb.1060:
	global_load_ushort v5, v[0:1], off
	s_waitcnt vmcnt(0)
	v_cvt_f16_u16_e32 v5, v5
.LBB6_1061:
	s_mov_b64 s[16:17], 0
.LBB6_1062:
	s_andn2_b64 vcc, exec, s[16:17]
	s_cbranch_vccnz .LBB6_1070
; %bb.1063:
	global_load_ubyte v6, v[0:1], off
	s_movk_i32 s16, 0x7f
                                        ; implicit-def: $sgpr24
	s_waitcnt vmcnt(0)
	v_cmp_lt_i16_e32 vcc, s16, v6
	s_mov_b64 s[16:17], 0
	s_and_saveexec_b64 s[20:21], vcc
	s_xor_b64 s[20:21], exec, s[20:21]
	s_cbranch_execz .LBB6_1083
; %bb.1064:
	s_movk_i32 s16, 0x80
	v_cmp_eq_u16_e32 vcc, s16, v6
	s_mov_b64 s[16:17], -1
                                        ; implicit-def: $sgpr24
	s_and_saveexec_b64 s[22:23], vcc
; %bb.1065:
	s_movk_i32 s24, 0x7e00
	s_xor_b64 s[16:17], exec, -1
; %bb.1066:
	s_or_b64 exec, exec, s[22:23]
	s_and_b64 s[16:17], s[16:17], exec
	s_or_saveexec_b64 s[20:21], s[20:21]
	v_mov_b32_e32 v5, s24
	s_xor_b64 exec, exec, s[20:21]
	s_cbranch_execnz .LBB6_1084
.LBB6_1067:
	s_or_b64 exec, exec, s[20:21]
	s_and_saveexec_b64 s[20:21], s[16:17]
	s_cbranch_execz .LBB6_1069
.LBB6_1068:
	v_lshlrev_b32_e32 v5, 24, v6
	v_and_b32_e32 v6, 0xffff, v6
	v_and_b32_e32 v7, 7, v6
	v_ffbh_u32_e32 v9, v7
	v_min_u32_e32 v9, 32, v9
	v_subrev_u32_e32 v10, 28, v9
	v_bfe_u32 v8, v6, 3, 4
	v_lshlrev_b32_e32 v6, v10, v6
	v_sub_u32_e32 v9, 29, v9
	v_and_b32_e32 v6, 7, v6
	v_cmp_eq_u32_e32 vcc, 0, v8
	v_cndmask_b32_e32 v8, v8, v9, vcc
	v_cndmask_b32_e32 v6, v7, v6, vcc
	v_mov_b32_e32 v7, 0x3b800000
	v_lshlrev_b32_e32 v6, 20, v6
	v_and_b32_e32 v5, 0x80000000, v5
	v_lshl_add_u32 v7, v8, 23, v7
	v_or3_b32 v5, v5, v7, v6
	v_cvt_f16_f32_e32 v5, v5
.LBB6_1069:
	s_or_b64 exec, exec, s[20:21]
.LBB6_1070:
	s_mov_b64 s[20:21], -1
.LBB6_1071:
	s_branch .LBB6_1103
.LBB6_1072:
	v_cmp_lt_i16_e32 vcc, 22, v3
	s_cbranch_vccz .LBB6_1082
; %bb.1073:
	v_cmp_gt_i16_e32 vcc, 24, v3
	s_cbranch_vccnz .LBB6_1085
; %bb.1074:
	v_cmp_lt_i16_e32 vcc, 24, v3
	s_cbranch_vccz .LBB6_1086
; %bb.1075:
	global_load_ubyte v6, v[0:1], off
	s_movk_i32 s16, 0x7f
                                        ; implicit-def: $sgpr22
	s_waitcnt vmcnt(0)
	v_cmp_lt_i16_e32 vcc, s16, v6
	s_mov_b64 s[16:17], 0
	s_and_saveexec_b64 s[18:19], vcc
	s_xor_b64 s[18:19], exec, s[18:19]
	s_cbranch_execz .LBB6_1097
; %bb.1076:
	s_movk_i32 s16, 0x80
	v_cmp_eq_u16_e32 vcc, s16, v6
	s_mov_b64 s[16:17], -1
                                        ; implicit-def: $sgpr22
	s_and_saveexec_b64 s[20:21], vcc
; %bb.1077:
	s_movk_i32 s22, 0x7e00
	s_xor_b64 s[16:17], exec, -1
; %bb.1078:
	s_or_b64 exec, exec, s[20:21]
	s_and_b64 s[16:17], s[16:17], exec
	s_or_saveexec_b64 s[18:19], s[18:19]
	v_mov_b32_e32 v5, s22
	s_xor_b64 exec, exec, s[18:19]
	s_cbranch_execnz .LBB6_1098
.LBB6_1079:
	s_or_b64 exec, exec, s[18:19]
	s_and_saveexec_b64 s[18:19], s[16:17]
	s_cbranch_execz .LBB6_1081
.LBB6_1080:
	v_lshlrev_b32_e32 v5, 24, v6
	v_and_b32_e32 v6, 0xffff, v6
	v_and_b32_e32 v7, 3, v6
	v_ffbh_u32_e32 v9, v7
	v_min_u32_e32 v9, 32, v9
	v_subrev_u32_e32 v10, 29, v9
	v_bfe_u32 v8, v6, 2, 5
	v_lshlrev_b32_e32 v6, v10, v6
	v_sub_u32_e32 v9, 30, v9
	v_and_b32_e32 v6, 3, v6
	v_cmp_eq_u32_e32 vcc, 0, v8
	v_cndmask_b32_e32 v8, v8, v9, vcc
	v_cndmask_b32_e32 v6, v7, v6, vcc
	v_mov_b32_e32 v7, 0x37800000
	v_lshlrev_b32_e32 v6, 21, v6
	v_and_b32_e32 v5, 0x80000000, v5
	v_lshl_add_u32 v7, v8, 23, v7
	v_or3_b32 v5, v5, v7, v6
	v_cvt_f16_f32_e32 v5, v5
.LBB6_1081:
	s_or_b64 exec, exec, s[18:19]
	s_mov_b64 s[16:17], 0
	s_branch .LBB6_1087
.LBB6_1082:
                                        ; implicit-def: $vgpr5
	s_mov_b64 s[18:19], 0
	s_branch .LBB6_1093
.LBB6_1083:
	s_or_saveexec_b64 s[20:21], s[20:21]
	v_mov_b32_e32 v5, s24
	s_xor_b64 exec, exec, s[20:21]
	s_cbranch_execz .LBB6_1067
.LBB6_1084:
	v_cmp_ne_u16_e32 vcc, 0, v6
	s_andn2_b64 s[16:17], s[16:17], exec
	s_and_b64 s[22:23], vcc, exec
	s_or_b64 s[16:17], s[16:17], s[22:23]
	v_mov_b32_e32 v5, v6
	s_or_b64 exec, exec, s[20:21]
	s_and_saveexec_b64 s[20:21], s[16:17]
	s_cbranch_execnz .LBB6_1068
	s_branch .LBB6_1069
.LBB6_1085:
	s_mov_b64 s[16:17], -1
                                        ; implicit-def: $vgpr5
	s_branch .LBB6_1090
.LBB6_1086:
	s_mov_b64 s[16:17], -1
                                        ; implicit-def: $vgpr5
.LBB6_1087:
	s_and_b64 vcc, exec, s[16:17]
	s_cbranch_vccz .LBB6_1089
; %bb.1088:
	global_load_ubyte v5, v[0:1], off
	s_mov_b32 s16, 0x7f800000
	s_waitcnt vmcnt(0)
	v_lshlrev_b32_e32 v5, 24, v5
	v_and_b32_e32 v6, 0x7f000000, v5
	v_ffbh_u32_e32 v7, v6
	v_min_u32_e32 v7, 32, v7
	v_sub_u32_e64 v7, v7, 4 clamp
	v_lshlrev_b32_e32 v9, v7, v6
	v_lshlrev_b32_e32 v7, 23, v7
	v_lshrrev_b32_e32 v9, 4, v9
	v_add_u32_e32 v8, 0x1000000, v6
	v_sub_u32_e32 v7, v9, v7
	v_ashrrev_i32_e32 v8, 8, v8
	v_add_u32_e32 v7, 0x3c000000, v7
	v_and_or_b32 v7, v8, s16, v7
	v_cmp_ne_u32_e32 vcc, 0, v6
	v_cndmask_b32_e32 v6, 0, v7, vcc
	s_brev_b32 s16, 1
	v_and_or_b32 v5, v5, s16, v6
	v_cvt_f16_f32_e32 v5, v5
.LBB6_1089:
	s_mov_b64 s[16:17], 0
.LBB6_1090:
	s_andn2_b64 vcc, exec, s[16:17]
	s_cbranch_vccnz .LBB6_1092
; %bb.1091:
	global_load_ubyte v5, v[0:1], off
	s_movk_i32 s16, 0x7f00
	s_brev_b32 s17, 16
	s_waitcnt vmcnt(0)
	v_lshlrev_b16_e32 v6, 8, v5
	v_lshlrev_b32_e32 v5, 25, v5
	v_lshrrev_b32_e32 v7, 4, v5
	v_and_or_b32 v8, v6, s16, 0.5
	v_or_b32_e32 v7, 0x70000000, v7
	v_add_f32_e32 v8, -0.5, v8
	v_mul_f32_e32 v7, 0x7800000, v7
	v_cmp_gt_u32_e32 vcc, s17, v5
	v_bfe_i32 v6, v6, 0, 16
	v_cndmask_b32_e32 v5, v7, v8, vcc
	s_brev_b32 s16, 1
	v_and_or_b32 v5, v6, s16, v5
	v_cvt_f16_f32_e32 v5, v5
.LBB6_1092:
	s_mov_b64 s[20:21], -1
	s_mov_b64 s[18:19], 0
	s_cbranch_execnz .LBB6_1103
.LBB6_1093:
	v_cmp_lt_i16_e32 vcc, 14, v3
	s_cbranch_vccz .LBB6_1096
; %bb.1094:
	v_cmp_eq_u16_e32 vcc, 15, v3
	s_cbranch_vccz .LBB6_1099
; %bb.1095:
	global_load_ushort v5, v[0:1], off
	s_mov_b64 s[2:3], 0
	s_mov_b64 s[20:21], -1
	s_waitcnt vmcnt(0)
	v_lshlrev_b32_e32 v5, 16, v5
	v_cvt_f16_f32_e32 v5, v5
	s_branch .LBB6_1100
.LBB6_1096:
	s_mov_b64 s[16:17], -1
                                        ; implicit-def: $vgpr5
	s_branch .LBB6_1101
.LBB6_1097:
	s_or_saveexec_b64 s[18:19], s[18:19]
	v_mov_b32_e32 v5, s22
	s_xor_b64 exec, exec, s[18:19]
	s_cbranch_execz .LBB6_1079
.LBB6_1098:
	v_cmp_ne_u16_e32 vcc, 0, v6
	s_andn2_b64 s[16:17], s[16:17], exec
	s_and_b64 s[20:21], vcc, exec
	s_or_b64 s[16:17], s[16:17], s[20:21]
	v_mov_b32_e32 v5, v6
	s_or_b64 exec, exec, s[18:19]
	s_and_saveexec_b64 s[18:19], s[16:17]
	s_cbranch_execnz .LBB6_1080
	s_branch .LBB6_1081
.LBB6_1099:
	s_mov_b64 s[2:3], -1
                                        ; implicit-def: $vgpr5
.LBB6_1100:
	s_mov_b64 s[16:17], 0
.LBB6_1101:
	s_and_b64 vcc, exec, s[16:17]
	s_cbranch_vccz .LBB6_1103
; %bb.1102:
	v_cmp_ne_u16_e64 s[2:3], 11, v3
	s_mov_b64 s[18:19], -1
                                        ; implicit-def: $vgpr5
.LBB6_1103:
	s_and_b64 vcc, exec, s[2:3]
	s_mov_b64 s[16:17], s[6:7]
	s_cbranch_vccnz .LBB6_1164
; %bb.1104:
	s_andn2_b64 vcc, exec, s[18:19]
	s_cbranch_vccnz .LBB6_1106
.LBB6_1105:
	global_load_ubyte v5, v[0:1], off
	s_waitcnt vmcnt(1)
	v_mov_b32_e32 v6, 0x3c00
	s_mov_b64 s[20:21], -1
	s_waitcnt vmcnt(0)
	v_cmp_ne_u16_e32 vcc, 0, v5
	v_cndmask_b32_e32 v5, 0, v6, vcc
.LBB6_1106:
	s_branch .LBB6_1036
.LBB6_1107:
	v_cmp_gt_i16_e32 vcc, 5, v3
	s_cbranch_vccnz .LBB6_1112
; %bb.1108:
	v_cmp_gt_i16_e32 vcc, 8, v3
	s_cbranch_vccnz .LBB6_1113
; %bb.1109:
	v_cmp_gt_i16_e32 vcc, 9, v3
	s_cbranch_vccnz .LBB6_1114
; %bb.1110:
	v_cmp_lt_i16_e32 vcc, 9, v3
	s_cbranch_vccz .LBB6_1115
; %bb.1111:
	global_load_dwordx2 v[6:7], v[0:1], off
	s_mov_b64 s[2:3], 0
	s_waitcnt vmcnt(0)
	v_cvt_f32_f64_e32 v5, v[6:7]
	v_cvt_f16_f32_e32 v5, v5
	s_branch .LBB6_1116
.LBB6_1112:
                                        ; implicit-def: $vgpr5
	s_branch .LBB6_1133
.LBB6_1113:
                                        ; implicit-def: $vgpr5
	s_branch .LBB6_1122
.LBB6_1114:
	s_mov_b64 s[2:3], -1
                                        ; implicit-def: $vgpr5
	s_branch .LBB6_1119
.LBB6_1115:
	s_mov_b64 s[2:3], -1
                                        ; implicit-def: $vgpr5
.LBB6_1116:
	s_andn2_b64 vcc, exec, s[2:3]
	s_cbranch_vccnz .LBB6_1118
; %bb.1117:
	global_load_dword v5, v[0:1], off
	s_waitcnt vmcnt(0)
	v_cvt_f16_f32_e32 v5, v5
.LBB6_1118:
	s_mov_b64 s[2:3], 0
.LBB6_1119:
	s_andn2_b64 vcc, exec, s[2:3]
	s_cbranch_vccnz .LBB6_1121
; %bb.1120:
	global_load_dword v5, v[0:1], off
.LBB6_1121:
	s_cbranch_execnz .LBB6_1132
.LBB6_1122:
	v_cmp_gt_i16_e32 vcc, 6, v3
	s_cbranch_vccnz .LBB6_1125
; %bb.1123:
	v_cmp_lt_i16_e32 vcc, 6, v3
	s_cbranch_vccz .LBB6_1126
; %bb.1124:
	global_load_dwordx2 v[6:7], v[0:1], off
	s_mov_b64 s[2:3], 0
	s_waitcnt vmcnt(0)
	v_cvt_f32_f64_e32 v5, v[6:7]
	v_cvt_f16_f32_e32 v5, v5
	s_branch .LBB6_1127
.LBB6_1125:
	s_mov_b64 s[2:3], -1
                                        ; implicit-def: $vgpr5
	s_branch .LBB6_1130
.LBB6_1126:
	s_mov_b64 s[2:3], -1
                                        ; implicit-def: $vgpr5
.LBB6_1127:
	s_andn2_b64 vcc, exec, s[2:3]
	s_cbranch_vccnz .LBB6_1129
; %bb.1128:
	global_load_dword v5, v[0:1], off
	s_waitcnt vmcnt(0)
	v_cvt_f16_f32_e32 v5, v5
.LBB6_1129:
	s_mov_b64 s[2:3], 0
.LBB6_1130:
	s_andn2_b64 vcc, exec, s[2:3]
	s_cbranch_vccnz .LBB6_1132
; %bb.1131:
	global_load_ushort v5, v[0:1], off
.LBB6_1132:
	s_cbranch_execnz .LBB6_1151
.LBB6_1133:
	v_cmp_gt_i16_e32 vcc, 2, v3
	s_cbranch_vccnz .LBB6_1137
; %bb.1134:
	v_cmp_gt_i16_e32 vcc, 3, v3
	s_cbranch_vccnz .LBB6_1138
; %bb.1135:
	v_cmp_lt_i16_e32 vcc, 3, v3
	s_cbranch_vccz .LBB6_1139
; %bb.1136:
	global_load_dwordx2 v[6:7], v[0:1], off
	s_mov_b64 s[2:3], 0
	s_waitcnt vmcnt(0)
	v_xor_b32_e32 v8, v6, v7
	v_ffbh_i32_e32 v5, v7
	v_ashrrev_i32_e32 v8, 31, v8
	v_add_u32_e32 v5, -1, v5
	v_add_u32_e32 v8, 32, v8
	v_min_u32_e32 v5, v5, v8
	v_lshlrev_b64 v[6:7], v5, v[6:7]
	v_min_u32_e32 v6, 1, v6
	v_or_b32_e32 v6, v7, v6
	v_cvt_f32_i32_e32 v6, v6
	v_sub_u32_e32 v5, 32, v5
	v_ldexp_f32 v5, v6, v5
	v_cvt_f16_f32_e32 v5, v5
	s_branch .LBB6_1140
.LBB6_1137:
                                        ; implicit-def: $vgpr5
	s_branch .LBB6_1146
.LBB6_1138:
	s_mov_b64 s[2:3], -1
                                        ; implicit-def: $vgpr5
	s_branch .LBB6_1143
.LBB6_1139:
	s_mov_b64 s[2:3], -1
                                        ; implicit-def: $vgpr5
.LBB6_1140:
	s_andn2_b64 vcc, exec, s[2:3]
	s_cbranch_vccnz .LBB6_1142
; %bb.1141:
	global_load_dword v5, v[0:1], off
	s_waitcnt vmcnt(0)
	v_cvt_f32_i32_e32 v5, v5
	v_cvt_f16_f32_e32 v5, v5
.LBB6_1142:
	s_mov_b64 s[2:3], 0
.LBB6_1143:
	s_andn2_b64 vcc, exec, s[2:3]
	s_cbranch_vccnz .LBB6_1145
; %bb.1144:
	global_load_ushort v5, v[0:1], off
	s_waitcnt vmcnt(0)
	v_cvt_f16_i16_e32 v5, v5
.LBB6_1145:
	s_cbranch_execnz .LBB6_1151
.LBB6_1146:
	v_cmp_lt_i16_e32 vcc, 0, v3
	s_cbranch_vccz .LBB6_1148
; %bb.1147:
	global_load_sbyte v5, v[0:1], off
	s_mov_b64 s[2:3], 0
	s_waitcnt vmcnt(0)
	v_cvt_f16_i16_e32 v5, v5
	s_branch .LBB6_1149
.LBB6_1148:
	s_mov_b64 s[2:3], -1
                                        ; implicit-def: $vgpr5
.LBB6_1149:
	s_andn2_b64 vcc, exec, s[2:3]
	s_cbranch_vccnz .LBB6_1151
; %bb.1150:
	global_load_ubyte v0, v[0:1], off
	s_waitcnt vmcnt(0)
	v_cvt_f16_u16_e32 v5, v0
.LBB6_1151:
.LBB6_1152:
	s_lshl_b32 s13, s13, 7
	v_add_u32_e32 v4, s13, v4
	v_ashrrev_i32_e32 v1, 31, v4
	s_waitcnt vmcnt(0)
	v_mov_b32_e32 v6, s11
	v_add_co_u32_e32 v0, vcc, s10, v4
	v_addc_co_u32_e32 v1, vcc, v6, v1, vcc
	s_and_b64 vcc, exec, s[0:1]
	s_cbranch_vccnz .LBB6_1159
; %bb.1153:
	v_cmp_lt_i16_e32 vcc, 25, v3
	s_mov_b64 s[18:19], 0
	s_cbranch_vccz .LBB6_1161
; %bb.1154:
	v_cmp_lt_i16_e32 vcc, 28, v3
	s_cbranch_vccz .LBB6_1162
; %bb.1155:
	v_cmp_lt_i16_e32 vcc, 43, v3
	;; [unrolled: 3-line block ×3, first 2 shown]
	s_cbranch_vccz .LBB6_1165
; %bb.1157:
	v_cmp_eq_u16_e32 vcc, 46, v3
	s_mov_b64 s[22:23], 0
	s_cbranch_vccz .LBB6_1168
; %bb.1158:
	global_load_dword v6, v[0:1], off
	s_mov_b64 s[2:3], 0
	s_mov_b64 s[20:21], -1
	s_waitcnt vmcnt(0)
	v_lshlrev_b32_e32 v6, 16, v6
	v_cvt_f16_f32_e32 v6, v6
	s_branch .LBB6_1169
.LBB6_1159:
	s_mov_b64 s[20:21], 0
                                        ; implicit-def: $vgpr6
	s_cbranch_execnz .LBB6_1234
.LBB6_1160:
	s_andn2_b64 vcc, exec, s[20:21]
	s_cbranch_vccnz .LBB6_1547
	s_branch .LBB6_1281
.LBB6_1161:
	s_mov_b64 s[20:21], 0
	s_mov_b64 s[2:3], 0
                                        ; implicit-def: $vgpr6
	s_cbranch_execnz .LBB6_1198
	s_branch .LBB6_1230
.LBB6_1162:
	s_mov_b64 s[22:23], -1
	s_mov_b64 s[20:21], 0
	s_mov_b64 s[2:3], 0
                                        ; implicit-def: $vgpr6
	s_branch .LBB6_1179
.LBB6_1163:
	s_mov_b64 s[22:23], -1
	s_mov_b64 s[20:21], 0
	s_mov_b64 s[2:3], 0
                                        ; implicit-def: $vgpr6
	s_branch .LBB6_1174
.LBB6_1164:
	s_or_b64 s[16:17], s[6:7], exec
	s_trap 2
                                        ; implicit-def: $vgpr5
	s_cbranch_execz .LBB6_1105
	s_branch .LBB6_1106
.LBB6_1165:
	s_mov_b64 s[22:23], -1
	s_mov_b64 s[20:21], 0
	s_mov_b64 s[2:3], 0
                                        ; implicit-def: $vgpr6
	s_branch .LBB6_1169
.LBB6_1166:
	s_or_saveexec_b64 s[26:27], s[26:27]
                                        ; implicit-def: $sgpr28
	s_xor_b64 exec, exec, s[26:27]
	s_cbranch_execz .LBB6_952
.LBB6_1167:
	s_mov_b32 s28, 0x42800000
	v_add_f32_e64 v5, |v2|, s28
	v_and_b32_e32 v5, 0xff, v5
	v_cmp_ne_u32_e32 vcc, 0, v5
	s_andn2_b64 s[24:25], s[24:25], exec
	s_and_b64 s[30:31], vcc, exec
	s_mov_b32 s28, 0
	s_or_b64 s[24:25], s[24:25], s[30:31]
	s_or_b64 exec, exec, s[26:27]
	v_mov_b32_e32 v7, s28
	s_and_saveexec_b64 s[26:27], s[24:25]
	s_cbranch_execnz .LBB6_953
	s_branch .LBB6_954
.LBB6_1168:
	s_mov_b64 s[2:3], -1
                                        ; implicit-def: $vgpr6
	s_mov_b64 s[20:21], 0
.LBB6_1169:
	s_and_b64 vcc, exec, s[22:23]
	s_cbranch_vccz .LBB6_1173
; %bb.1170:
	v_cmp_eq_u16_e32 vcc, 44, v3
	s_cbranch_vccz .LBB6_1172
; %bb.1171:
	global_load_ubyte v6, v[0:1], off
	s_movk_i32 s20, 0xff
	v_mov_b32_e32 v8, 0x7e00
	s_mov_b64 s[2:3], 0
	s_waitcnt vmcnt(0)
	v_lshlrev_b32_e32 v7, 23, v6
	v_cvt_f16_f32_e32 v7, v7
	v_cmp_ne_u32_e32 vcc, s20, v6
	s_mov_b64 s[20:21], -1
	v_cndmask_b32_e32 v7, v8, v7, vcc
	v_cmp_ne_u32_e32 vcc, 0, v6
	v_cndmask_b32_e32 v6, 0, v7, vcc
	s_branch .LBB6_1173
.LBB6_1172:
	s_mov_b64 s[2:3], -1
                                        ; implicit-def: $vgpr6
.LBB6_1173:
	s_mov_b64 s[22:23], 0
.LBB6_1174:
	s_and_b64 vcc, exec, s[22:23]
	s_cbranch_vccz .LBB6_1178
; %bb.1175:
	v_cmp_eq_u16_e32 vcc, 29, v3
	s_cbranch_vccz .LBB6_1177
; %bb.1176:
	global_load_dwordx2 v[6:7], v[0:1], off
	s_mov_b64 s[2:3], 0
	s_mov_b64 s[20:21], -1
	s_mov_b64 s[22:23], 0
	s_waitcnt vmcnt(0)
	v_ffbh_u32_e32 v8, v7
	v_min_u32_e32 v8, 32, v8
	v_lshlrev_b64 v[6:7], v8, v[6:7]
	v_min_u32_e32 v6, 1, v6
	v_or_b32_e32 v6, v7, v6
	v_cvt_f32_u32_e32 v6, v6
	v_sub_u32_e32 v7, 32, v8
	v_ldexp_f32 v6, v6, v7
	v_cvt_f16_f32_e32 v6, v6
	s_branch .LBB6_1179
.LBB6_1177:
	s_mov_b64 s[2:3], -1
                                        ; implicit-def: $vgpr6
.LBB6_1178:
	s_mov_b64 s[22:23], 0
.LBB6_1179:
	s_and_b64 vcc, exec, s[22:23]
	s_cbranch_vccz .LBB6_1197
; %bb.1180:
	v_cmp_gt_i16_e32 vcc, 27, v3
	s_cbranch_vccnz .LBB6_1183
; %bb.1181:
	v_cmp_lt_i16_e32 vcc, 27, v3
	s_cbranch_vccz .LBB6_1184
; %bb.1182:
	global_load_dword v6, v[0:1], off
	s_mov_b64 s[20:21], 0
	s_waitcnt vmcnt(0)
	v_cvt_f32_u32_e32 v6, v6
	v_cvt_f16_f32_e32 v6, v6
	s_branch .LBB6_1185
.LBB6_1183:
	s_mov_b64 s[20:21], -1
                                        ; implicit-def: $vgpr6
	s_branch .LBB6_1188
.LBB6_1184:
	s_mov_b64 s[20:21], -1
                                        ; implicit-def: $vgpr6
.LBB6_1185:
	s_andn2_b64 vcc, exec, s[20:21]
	s_cbranch_vccnz .LBB6_1187
; %bb.1186:
	global_load_ushort v6, v[0:1], off
	s_waitcnt vmcnt(0)
	v_cvt_f16_u16_e32 v6, v6
.LBB6_1187:
	s_mov_b64 s[20:21], 0
.LBB6_1188:
	s_andn2_b64 vcc, exec, s[20:21]
	s_cbranch_vccnz .LBB6_1196
; %bb.1189:
	global_load_ubyte v7, v[0:1], off
	s_movk_i32 s20, 0x7f
                                        ; implicit-def: $sgpr26
	s_waitcnt vmcnt(0)
	v_cmp_lt_i16_e32 vcc, s20, v7
	s_mov_b64 s[20:21], 0
	s_and_saveexec_b64 s[22:23], vcc
	s_xor_b64 s[22:23], exec, s[22:23]
	s_cbranch_execz .LBB6_1209
; %bb.1190:
	s_movk_i32 s20, 0x80
	v_cmp_eq_u16_e32 vcc, s20, v7
	s_mov_b64 s[20:21], -1
                                        ; implicit-def: $sgpr26
	s_and_saveexec_b64 s[24:25], vcc
; %bb.1191:
	s_movk_i32 s26, 0x7e00
	s_xor_b64 s[20:21], exec, -1
; %bb.1192:
	s_or_b64 exec, exec, s[24:25]
	s_and_b64 s[20:21], s[20:21], exec
	s_or_saveexec_b64 s[22:23], s[22:23]
	v_mov_b32_e32 v6, s26
	s_xor_b64 exec, exec, s[22:23]
	s_cbranch_execnz .LBB6_1210
.LBB6_1193:
	s_or_b64 exec, exec, s[22:23]
	s_and_saveexec_b64 s[22:23], s[20:21]
	s_cbranch_execz .LBB6_1195
.LBB6_1194:
	v_lshlrev_b32_e32 v6, 24, v7
	v_and_b32_e32 v7, 0xffff, v7
	v_and_b32_e32 v8, 7, v7
	v_ffbh_u32_e32 v10, v8
	v_min_u32_e32 v10, 32, v10
	v_subrev_u32_e32 v11, 28, v10
	v_bfe_u32 v9, v7, 3, 4
	v_lshlrev_b32_e32 v7, v11, v7
	v_sub_u32_e32 v10, 29, v10
	v_and_b32_e32 v7, 7, v7
	v_cmp_eq_u32_e32 vcc, 0, v9
	v_cndmask_b32_e32 v9, v9, v10, vcc
	v_cndmask_b32_e32 v7, v8, v7, vcc
	v_mov_b32_e32 v8, 0x3b800000
	v_lshlrev_b32_e32 v7, 20, v7
	v_and_b32_e32 v6, 0x80000000, v6
	v_lshl_add_u32 v8, v9, 23, v8
	v_or3_b32 v6, v6, v8, v7
	v_cvt_f16_f32_e32 v6, v6
.LBB6_1195:
	s_or_b64 exec, exec, s[22:23]
.LBB6_1196:
	s_mov_b64 s[20:21], -1
.LBB6_1197:
	s_branch .LBB6_1230
.LBB6_1198:
	v_cmp_lt_i16_e32 vcc, 22, v3
	s_cbranch_vccz .LBB6_1208
; %bb.1199:
	v_cmp_gt_i16_e32 vcc, 24, v3
	s_cbranch_vccnz .LBB6_1211
; %bb.1200:
	v_cmp_lt_i16_e32 vcc, 24, v3
	s_cbranch_vccz .LBB6_1212
; %bb.1201:
	global_load_ubyte v7, v[0:1], off
	s_movk_i32 s18, 0x7f
                                        ; implicit-def: $sgpr24
	s_waitcnt vmcnt(0)
	v_cmp_lt_i16_e32 vcc, s18, v7
	s_mov_b64 s[18:19], 0
	s_and_saveexec_b64 s[20:21], vcc
	s_xor_b64 s[20:21], exec, s[20:21]
	s_cbranch_execz .LBB6_1224
; %bb.1202:
	s_movk_i32 s18, 0x80
	v_cmp_eq_u16_e32 vcc, s18, v7
	s_mov_b64 s[18:19], -1
                                        ; implicit-def: $sgpr24
	s_and_saveexec_b64 s[22:23], vcc
; %bb.1203:
	s_movk_i32 s24, 0x7e00
	s_xor_b64 s[18:19], exec, -1
; %bb.1204:
	s_or_b64 exec, exec, s[22:23]
	s_and_b64 s[18:19], s[18:19], exec
	s_or_saveexec_b64 s[20:21], s[20:21]
	v_mov_b32_e32 v6, s24
	s_xor_b64 exec, exec, s[20:21]
	s_cbranch_execnz .LBB6_1225
.LBB6_1205:
	s_or_b64 exec, exec, s[20:21]
	s_and_saveexec_b64 s[20:21], s[18:19]
	s_cbranch_execz .LBB6_1207
.LBB6_1206:
	v_lshlrev_b32_e32 v6, 24, v7
	v_and_b32_e32 v7, 0xffff, v7
	v_and_b32_e32 v8, 3, v7
	v_ffbh_u32_e32 v10, v8
	v_min_u32_e32 v10, 32, v10
	v_subrev_u32_e32 v11, 29, v10
	v_bfe_u32 v9, v7, 2, 5
	v_lshlrev_b32_e32 v7, v11, v7
	v_sub_u32_e32 v10, 30, v10
	v_and_b32_e32 v7, 3, v7
	v_cmp_eq_u32_e32 vcc, 0, v9
	v_cndmask_b32_e32 v9, v9, v10, vcc
	v_cndmask_b32_e32 v7, v8, v7, vcc
	v_mov_b32_e32 v8, 0x37800000
	v_lshlrev_b32_e32 v7, 21, v7
	v_and_b32_e32 v6, 0x80000000, v6
	v_lshl_add_u32 v8, v9, 23, v8
	v_or3_b32 v6, v6, v8, v7
	v_cvt_f16_f32_e32 v6, v6
.LBB6_1207:
	s_or_b64 exec, exec, s[20:21]
	s_mov_b64 s[18:19], 0
	s_branch .LBB6_1213
.LBB6_1208:
	s_mov_b64 s[18:19], -1
                                        ; implicit-def: $vgpr6
	s_branch .LBB6_1219
.LBB6_1209:
	s_or_saveexec_b64 s[22:23], s[22:23]
	v_mov_b32_e32 v6, s26
	s_xor_b64 exec, exec, s[22:23]
	s_cbranch_execz .LBB6_1193
.LBB6_1210:
	v_cmp_ne_u16_e32 vcc, 0, v7
	s_andn2_b64 s[20:21], s[20:21], exec
	s_and_b64 s[24:25], vcc, exec
	s_or_b64 s[20:21], s[20:21], s[24:25]
	v_mov_b32_e32 v6, v7
	s_or_b64 exec, exec, s[22:23]
	s_and_saveexec_b64 s[22:23], s[20:21]
	s_cbranch_execnz .LBB6_1194
	s_branch .LBB6_1195
.LBB6_1211:
	s_mov_b64 s[18:19], -1
                                        ; implicit-def: $vgpr6
	s_branch .LBB6_1216
.LBB6_1212:
	s_mov_b64 s[18:19], -1
                                        ; implicit-def: $vgpr6
.LBB6_1213:
	s_and_b64 vcc, exec, s[18:19]
	s_cbranch_vccz .LBB6_1215
; %bb.1214:
	global_load_ubyte v6, v[0:1], off
	s_mov_b32 s18, 0x7f800000
	s_waitcnt vmcnt(0)
	v_lshlrev_b32_e32 v6, 24, v6
	v_and_b32_e32 v7, 0x7f000000, v6
	v_ffbh_u32_e32 v8, v7
	v_min_u32_e32 v8, 32, v8
	v_sub_u32_e64 v8, v8, 4 clamp
	v_lshlrev_b32_e32 v10, v8, v7
	v_lshlrev_b32_e32 v8, 23, v8
	v_lshrrev_b32_e32 v10, 4, v10
	v_add_u32_e32 v9, 0x1000000, v7
	v_sub_u32_e32 v8, v10, v8
	v_ashrrev_i32_e32 v9, 8, v9
	v_add_u32_e32 v8, 0x3c000000, v8
	v_and_or_b32 v8, v9, s18, v8
	v_cmp_ne_u32_e32 vcc, 0, v7
	v_cndmask_b32_e32 v7, 0, v8, vcc
	s_brev_b32 s18, 1
	v_and_or_b32 v6, v6, s18, v7
	v_cvt_f16_f32_e32 v6, v6
.LBB6_1215:
	s_mov_b64 s[18:19], 0
.LBB6_1216:
	s_andn2_b64 vcc, exec, s[18:19]
	s_cbranch_vccnz .LBB6_1218
; %bb.1217:
	global_load_ubyte v6, v[0:1], off
	s_movk_i32 s18, 0x7f00
	s_brev_b32 s19, 16
	s_waitcnt vmcnt(0)
	v_lshlrev_b16_e32 v7, 8, v6
	v_lshlrev_b32_e32 v6, 25, v6
	v_lshrrev_b32_e32 v8, 4, v6
	v_and_or_b32 v9, v7, s18, 0.5
	v_or_b32_e32 v8, 0x70000000, v8
	v_add_f32_e32 v9, -0.5, v9
	v_mul_f32_e32 v8, 0x7800000, v8
	v_cmp_gt_u32_e32 vcc, s19, v6
	v_bfe_i32 v7, v7, 0, 16
	v_cndmask_b32_e32 v6, v8, v9, vcc
	s_brev_b32 s18, 1
	v_and_or_b32 v6, v7, s18, v6
	v_cvt_f16_f32_e32 v6, v6
.LBB6_1218:
	s_mov_b64 s[18:19], 0
	s_mov_b64 s[20:21], -1
.LBB6_1219:
	s_andn2_b64 vcc, exec, s[18:19]
	s_mov_b64 s[18:19], 0
	s_cbranch_vccnz .LBB6_1230
; %bb.1220:
	v_cmp_lt_i16_e32 vcc, 14, v3
	s_cbranch_vccz .LBB6_1223
; %bb.1221:
	v_cmp_eq_u16_e32 vcc, 15, v3
	s_cbranch_vccz .LBB6_1226
; %bb.1222:
	global_load_ushort v6, v[0:1], off
	s_mov_b64 s[2:3], 0
	s_mov_b64 s[20:21], -1
	s_waitcnt vmcnt(0)
	v_lshlrev_b32_e32 v6, 16, v6
	v_cvt_f16_f32_e32 v6, v6
	s_branch .LBB6_1227
.LBB6_1223:
	s_mov_b64 s[22:23], -1
                                        ; implicit-def: $vgpr6
	s_branch .LBB6_1228
.LBB6_1224:
	s_or_saveexec_b64 s[20:21], s[20:21]
	v_mov_b32_e32 v6, s24
	s_xor_b64 exec, exec, s[20:21]
	s_cbranch_execz .LBB6_1205
.LBB6_1225:
	v_cmp_ne_u16_e32 vcc, 0, v7
	s_andn2_b64 s[18:19], s[18:19], exec
	s_and_b64 s[22:23], vcc, exec
	s_or_b64 s[18:19], s[18:19], s[22:23]
	v_mov_b32_e32 v6, v7
	s_or_b64 exec, exec, s[20:21]
	s_and_saveexec_b64 s[20:21], s[18:19]
	s_cbranch_execnz .LBB6_1206
	s_branch .LBB6_1207
.LBB6_1226:
	s_mov_b64 s[2:3], -1
                                        ; implicit-def: $vgpr6
.LBB6_1227:
	s_mov_b64 s[22:23], 0
.LBB6_1228:
	s_and_b64 vcc, exec, s[22:23]
	s_cbranch_vccz .LBB6_1230
; %bb.1229:
	v_cmp_ne_u16_e64 s[2:3], 11, v3
	s_mov_b64 s[18:19], -1
                                        ; implicit-def: $vgpr6
.LBB6_1230:
	s_and_b64 vcc, exec, s[2:3]
	s_cbranch_vccnz .LBB6_1293
; %bb.1231:
	s_andn2_b64 vcc, exec, s[18:19]
	s_cbranch_vccnz .LBB6_1233
.LBB6_1232:
	global_load_ubyte v6, v[0:1], off
	v_mov_b32_e32 v7, 0x3c00
	s_mov_b64 s[20:21], -1
	s_waitcnt vmcnt(0)
	v_cmp_ne_u16_e32 vcc, 0, v6
	v_cndmask_b32_e32 v6, 0, v7, vcc
.LBB6_1233:
	s_branch .LBB6_1160
.LBB6_1234:
	v_cmp_gt_i16_e32 vcc, 5, v3
	s_cbranch_vccnz .LBB6_1239
; %bb.1235:
	v_cmp_gt_i16_e32 vcc, 8, v3
	s_cbranch_vccnz .LBB6_1240
; %bb.1236:
	;; [unrolled: 3-line block ×3, first 2 shown]
	v_cmp_lt_i16_e32 vcc, 9, v3
	s_cbranch_vccz .LBB6_1242
; %bb.1238:
	global_load_dwordx2 v[6:7], v[0:1], off
	s_mov_b64 s[2:3], 0
	s_waitcnt vmcnt(0)
	v_cvt_f32_f64_e32 v6, v[6:7]
	v_cvt_f16_f32_e32 v6, v6
	s_branch .LBB6_1243
.LBB6_1239:
                                        ; implicit-def: $vgpr6
	s_branch .LBB6_1261
.LBB6_1240:
	s_mov_b64 s[2:3], -1
                                        ; implicit-def: $vgpr6
	s_branch .LBB6_1249
.LBB6_1241:
	s_mov_b64 s[2:3], -1
                                        ; implicit-def: $vgpr6
	s_branch .LBB6_1246
.LBB6_1242:
	s_mov_b64 s[2:3], -1
                                        ; implicit-def: $vgpr6
.LBB6_1243:
	s_andn2_b64 vcc, exec, s[2:3]
	s_cbranch_vccnz .LBB6_1245
; %bb.1244:
	global_load_dword v6, v[0:1], off
	s_waitcnt vmcnt(0)
	v_cvt_f16_f32_e32 v6, v6
.LBB6_1245:
	s_mov_b64 s[2:3], 0
.LBB6_1246:
	s_andn2_b64 vcc, exec, s[2:3]
	s_cbranch_vccnz .LBB6_1248
; %bb.1247:
	global_load_dword v6, v[0:1], off
.LBB6_1248:
	s_mov_b64 s[2:3], 0
.LBB6_1249:
	s_andn2_b64 vcc, exec, s[2:3]
	s_cbranch_vccnz .LBB6_1260
; %bb.1250:
	v_cmp_gt_i16_e32 vcc, 6, v3
	s_cbranch_vccnz .LBB6_1253
; %bb.1251:
	v_cmp_lt_i16_e32 vcc, 6, v3
	s_cbranch_vccz .LBB6_1254
; %bb.1252:
	global_load_dwordx2 v[6:7], v[0:1], off
	s_mov_b64 s[2:3], 0
	s_waitcnt vmcnt(0)
	v_cvt_f32_f64_e32 v6, v[6:7]
	v_cvt_f16_f32_e32 v6, v6
	s_branch .LBB6_1255
.LBB6_1253:
	s_mov_b64 s[2:3], -1
                                        ; implicit-def: $vgpr6
	s_branch .LBB6_1258
.LBB6_1254:
	s_mov_b64 s[2:3], -1
                                        ; implicit-def: $vgpr6
.LBB6_1255:
	s_andn2_b64 vcc, exec, s[2:3]
	s_cbranch_vccnz .LBB6_1257
; %bb.1256:
	global_load_dword v6, v[0:1], off
	s_waitcnt vmcnt(0)
	v_cvt_f16_f32_e32 v6, v6
.LBB6_1257:
	s_mov_b64 s[2:3], 0
.LBB6_1258:
	s_andn2_b64 vcc, exec, s[2:3]
	s_cbranch_vccnz .LBB6_1260
; %bb.1259:
	global_load_ushort v6, v[0:1], off
.LBB6_1260:
	s_cbranch_execnz .LBB6_1280
.LBB6_1261:
	v_cmp_gt_i16_e32 vcc, 2, v3
	s_cbranch_vccnz .LBB6_1265
; %bb.1262:
	v_cmp_gt_i16_e32 vcc, 3, v3
	s_cbranch_vccnz .LBB6_1266
; %bb.1263:
	v_cmp_lt_i16_e32 vcc, 3, v3
	s_cbranch_vccz .LBB6_1267
; %bb.1264:
	global_load_dwordx2 v[6:7], v[0:1], off
	s_mov_b64 s[2:3], 0
	s_waitcnt vmcnt(0)
	v_xor_b32_e32 v9, v6, v7
	v_ffbh_i32_e32 v8, v7
	v_ashrrev_i32_e32 v9, 31, v9
	v_add_u32_e32 v8, -1, v8
	v_add_u32_e32 v9, 32, v9
	v_min_u32_e32 v8, v8, v9
	v_lshlrev_b64 v[6:7], v8, v[6:7]
	v_min_u32_e32 v6, 1, v6
	v_or_b32_e32 v6, v7, v6
	v_cvt_f32_i32_e32 v6, v6
	v_sub_u32_e32 v7, 32, v8
	v_ldexp_f32 v6, v6, v7
	v_cvt_f16_f32_e32 v6, v6
	s_branch .LBB6_1268
.LBB6_1265:
	s_mov_b64 s[2:3], -1
                                        ; implicit-def: $vgpr6
	s_branch .LBB6_1274
.LBB6_1266:
	s_mov_b64 s[2:3], -1
                                        ; implicit-def: $vgpr6
	s_branch .LBB6_1271
.LBB6_1267:
	s_mov_b64 s[2:3], -1
                                        ; implicit-def: $vgpr6
.LBB6_1268:
	s_andn2_b64 vcc, exec, s[2:3]
	s_cbranch_vccnz .LBB6_1270
; %bb.1269:
	global_load_dword v6, v[0:1], off
	s_waitcnt vmcnt(0)
	v_cvt_f32_i32_e32 v6, v6
	v_cvt_f16_f32_e32 v6, v6
.LBB6_1270:
	s_mov_b64 s[2:3], 0
.LBB6_1271:
	s_andn2_b64 vcc, exec, s[2:3]
	s_cbranch_vccnz .LBB6_1273
; %bb.1272:
	global_load_ushort v6, v[0:1], off
	s_waitcnt vmcnt(0)
	v_cvt_f16_i16_e32 v6, v6
.LBB6_1273:
	s_mov_b64 s[2:3], 0
.LBB6_1274:
	s_andn2_b64 vcc, exec, s[2:3]
	s_cbranch_vccnz .LBB6_1280
; %bb.1275:
	v_cmp_lt_i16_e32 vcc, 0, v3
	s_cbranch_vccz .LBB6_1277
; %bb.1276:
	global_load_sbyte v6, v[0:1], off
	s_mov_b64 s[2:3], 0
	s_waitcnt vmcnt(0)
	v_cvt_f16_i16_e32 v6, v6
	s_branch .LBB6_1278
.LBB6_1277:
	s_mov_b64 s[2:3], -1
                                        ; implicit-def: $vgpr6
.LBB6_1278:
	s_andn2_b64 vcc, exec, s[2:3]
	s_cbranch_vccnz .LBB6_1280
; %bb.1279:
	global_load_ubyte v0, v[0:1], off
	s_waitcnt vmcnt(0)
	v_cvt_f16_u16_e32 v6, v0
.LBB6_1280:
.LBB6_1281:
	v_add_u32_e32 v4, s13, v4
	v_ashrrev_i32_e32 v1, 31, v4
	v_mov_b32_e32 v7, s11
	v_add_co_u32_e32 v0, vcc, s10, v4
	v_addc_co_u32_e32 v1, vcc, v7, v1, vcc
	s_and_b64 vcc, exec, s[0:1]
	s_cbranch_vccnz .LBB6_1288
; %bb.1282:
	v_cmp_lt_i16_e32 vcc, 25, v3
	s_mov_b64 s[18:19], 0
	s_cbranch_vccz .LBB6_1290
; %bb.1283:
	v_cmp_lt_i16_e32 vcc, 28, v3
	s_cbranch_vccz .LBB6_1291
; %bb.1284:
	v_cmp_lt_i16_e32 vcc, 43, v3
	;; [unrolled: 3-line block ×3, first 2 shown]
	s_cbranch_vccz .LBB6_1294
; %bb.1286:
	v_cmp_eq_u16_e32 vcc, 46, v3
	s_mov_b64 s[22:23], 0
	s_cbranch_vccz .LBB6_1295
; %bb.1287:
	global_load_dword v7, v[0:1], off
	s_mov_b64 s[2:3], 0
	s_mov_b64 s[20:21], -1
	s_waitcnt vmcnt(0)
	v_lshlrev_b32_e32 v7, 16, v7
	v_cvt_f16_f32_e32 v7, v7
	s_branch .LBB6_1296
.LBB6_1288:
	s_mov_b64 s[20:21], 0
                                        ; implicit-def: $vgpr7
	s_cbranch_execnz .LBB6_1362
.LBB6_1289:
	s_andn2_b64 vcc, exec, s[20:21]
	s_cbranch_vccnz .LBB6_1547
	s_branch .LBB6_1410
.LBB6_1290:
	s_mov_b64 s[22:23], -1
	s_mov_b64 s[20:21], 0
	s_mov_b64 s[2:3], 0
                                        ; implicit-def: $vgpr7
	s_branch .LBB6_1325
.LBB6_1291:
	s_mov_b64 s[22:23], -1
	s_mov_b64 s[20:21], 0
	s_mov_b64 s[2:3], 0
                                        ; implicit-def: $vgpr7
	s_branch .LBB6_1306
.LBB6_1292:
	s_mov_b64 s[22:23], -1
	s_mov_b64 s[20:21], 0
	s_mov_b64 s[2:3], 0
                                        ; implicit-def: $vgpr7
	s_branch .LBB6_1301
.LBB6_1293:
	s_trap 2
	s_or_b64 s[16:17], s[16:17], exec
                                        ; implicit-def: $vgpr6
	s_cbranch_execz .LBB6_1232
	s_branch .LBB6_1233
.LBB6_1294:
	s_mov_b64 s[22:23], -1
	s_mov_b64 s[20:21], 0
	s_mov_b64 s[2:3], 0
                                        ; implicit-def: $vgpr7
	s_branch .LBB6_1296
.LBB6_1295:
	s_mov_b64 s[2:3], -1
                                        ; implicit-def: $vgpr7
	s_mov_b64 s[20:21], 0
.LBB6_1296:
	s_and_b64 vcc, exec, s[22:23]
	s_cbranch_vccz .LBB6_1300
; %bb.1297:
	v_cmp_eq_u16_e32 vcc, 44, v3
	s_cbranch_vccz .LBB6_1299
; %bb.1298:
	global_load_ubyte v7, v[0:1], off
	s_movk_i32 s20, 0xff
	v_mov_b32_e32 v9, 0x7e00
	s_mov_b64 s[2:3], 0
	s_waitcnt vmcnt(0)
	v_lshlrev_b32_e32 v8, 23, v7
	v_cvt_f16_f32_e32 v8, v8
	v_cmp_ne_u32_e32 vcc, s20, v7
	s_mov_b64 s[20:21], -1
	v_cndmask_b32_e32 v8, v9, v8, vcc
	v_cmp_ne_u32_e32 vcc, 0, v7
	v_cndmask_b32_e32 v7, 0, v8, vcc
	s_branch .LBB6_1300
.LBB6_1299:
	s_mov_b64 s[2:3], -1
                                        ; implicit-def: $vgpr7
.LBB6_1300:
	s_mov_b64 s[22:23], 0
.LBB6_1301:
	s_and_b64 vcc, exec, s[22:23]
	s_cbranch_vccz .LBB6_1305
; %bb.1302:
	v_cmp_eq_u16_e32 vcc, 29, v3
	s_cbranch_vccz .LBB6_1304
; %bb.1303:
	global_load_dwordx2 v[8:9], v[0:1], off
	s_mov_b64 s[2:3], 0
	s_mov_b64 s[20:21], -1
	s_mov_b64 s[22:23], 0
	s_waitcnt vmcnt(0)
	v_ffbh_u32_e32 v7, v9
	v_min_u32_e32 v7, 32, v7
	v_lshlrev_b64 v[8:9], v7, v[8:9]
	v_min_u32_e32 v8, 1, v8
	v_or_b32_e32 v8, v9, v8
	v_cvt_f32_u32_e32 v8, v8
	v_sub_u32_e32 v7, 32, v7
	v_ldexp_f32 v7, v8, v7
	v_cvt_f16_f32_e32 v7, v7
	s_branch .LBB6_1306
.LBB6_1304:
	s_mov_b64 s[2:3], -1
                                        ; implicit-def: $vgpr7
.LBB6_1305:
	s_mov_b64 s[22:23], 0
.LBB6_1306:
	s_and_b64 vcc, exec, s[22:23]
	s_cbranch_vccz .LBB6_1324
; %bb.1307:
	v_cmp_gt_i16_e32 vcc, 27, v3
	s_cbranch_vccnz .LBB6_1310
; %bb.1308:
	v_cmp_lt_i16_e32 vcc, 27, v3
	s_cbranch_vccz .LBB6_1311
; %bb.1309:
	global_load_dword v7, v[0:1], off
	s_mov_b64 s[20:21], 0
	s_waitcnt vmcnt(0)
	v_cvt_f32_u32_e32 v7, v7
	v_cvt_f16_f32_e32 v7, v7
	s_branch .LBB6_1312
.LBB6_1310:
	s_mov_b64 s[20:21], -1
                                        ; implicit-def: $vgpr7
	s_branch .LBB6_1315
.LBB6_1311:
	s_mov_b64 s[20:21], -1
                                        ; implicit-def: $vgpr7
.LBB6_1312:
	s_andn2_b64 vcc, exec, s[20:21]
	s_cbranch_vccnz .LBB6_1314
; %bb.1313:
	global_load_ushort v7, v[0:1], off
	s_waitcnt vmcnt(0)
	v_cvt_f16_u16_e32 v7, v7
.LBB6_1314:
	s_mov_b64 s[20:21], 0
.LBB6_1315:
	s_andn2_b64 vcc, exec, s[20:21]
	s_cbranch_vccnz .LBB6_1323
; %bb.1316:
	global_load_ubyte v8, v[0:1], off
	s_movk_i32 s20, 0x7f
                                        ; implicit-def: $sgpr26
	s_waitcnt vmcnt(0)
	v_cmp_lt_i16_e32 vcc, s20, v8
	s_mov_b64 s[20:21], 0
	s_and_saveexec_b64 s[22:23], vcc
	s_xor_b64 s[22:23], exec, s[22:23]
	s_cbranch_execz .LBB6_1337
; %bb.1317:
	s_movk_i32 s20, 0x80
	v_cmp_eq_u16_e32 vcc, s20, v8
	s_mov_b64 s[20:21], -1
                                        ; implicit-def: $sgpr26
	s_and_saveexec_b64 s[24:25], vcc
; %bb.1318:
	s_movk_i32 s26, 0x7e00
	s_xor_b64 s[20:21], exec, -1
; %bb.1319:
	s_or_b64 exec, exec, s[24:25]
	s_and_b64 s[20:21], s[20:21], exec
	s_or_saveexec_b64 s[22:23], s[22:23]
	v_mov_b32_e32 v7, s26
	s_xor_b64 exec, exec, s[22:23]
	s_cbranch_execnz .LBB6_1338
.LBB6_1320:
	s_or_b64 exec, exec, s[22:23]
	s_and_saveexec_b64 s[22:23], s[20:21]
	s_cbranch_execz .LBB6_1322
.LBB6_1321:
	v_lshlrev_b32_e32 v7, 24, v8
	v_and_b32_e32 v8, 0xffff, v8
	v_and_b32_e32 v9, 7, v8
	v_ffbh_u32_e32 v11, v9
	v_min_u32_e32 v11, 32, v11
	v_subrev_u32_e32 v12, 28, v11
	v_bfe_u32 v10, v8, 3, 4
	v_lshlrev_b32_e32 v8, v12, v8
	v_sub_u32_e32 v11, 29, v11
	v_and_b32_e32 v8, 7, v8
	v_cmp_eq_u32_e32 vcc, 0, v10
	v_cndmask_b32_e32 v10, v10, v11, vcc
	v_cndmask_b32_e32 v8, v9, v8, vcc
	v_mov_b32_e32 v9, 0x3b800000
	v_lshlrev_b32_e32 v8, 20, v8
	v_and_b32_e32 v7, 0x80000000, v7
	v_lshl_add_u32 v9, v10, 23, v9
	v_or3_b32 v7, v7, v9, v8
	v_cvt_f16_f32_e32 v7, v7
.LBB6_1322:
	s_or_b64 exec, exec, s[22:23]
.LBB6_1323:
	s_mov_b64 s[20:21], -1
.LBB6_1324:
	s_mov_b64 s[22:23], 0
.LBB6_1325:
	s_and_b64 vcc, exec, s[22:23]
	s_cbranch_vccz .LBB6_1358
; %bb.1326:
	v_cmp_lt_i16_e32 vcc, 22, v3
	s_cbranch_vccz .LBB6_1336
; %bb.1327:
	v_cmp_gt_i16_e32 vcc, 24, v3
	s_cbranch_vccnz .LBB6_1339
; %bb.1328:
	v_cmp_lt_i16_e32 vcc, 24, v3
	s_cbranch_vccz .LBB6_1340
; %bb.1329:
	global_load_ubyte v8, v[0:1], off
	s_movk_i32 s18, 0x7f
                                        ; implicit-def: $sgpr24
	s_waitcnt vmcnt(0)
	v_cmp_lt_i16_e32 vcc, s18, v8
	s_mov_b64 s[18:19], 0
	s_and_saveexec_b64 s[20:21], vcc
	s_xor_b64 s[20:21], exec, s[20:21]
	s_cbranch_execz .LBB6_1352
; %bb.1330:
	s_movk_i32 s18, 0x80
	v_cmp_eq_u16_e32 vcc, s18, v8
	s_mov_b64 s[18:19], -1
                                        ; implicit-def: $sgpr24
	s_and_saveexec_b64 s[22:23], vcc
; %bb.1331:
	s_movk_i32 s24, 0x7e00
	s_xor_b64 s[18:19], exec, -1
; %bb.1332:
	s_or_b64 exec, exec, s[22:23]
	s_and_b64 s[18:19], s[18:19], exec
	s_or_saveexec_b64 s[20:21], s[20:21]
	v_mov_b32_e32 v7, s24
	s_xor_b64 exec, exec, s[20:21]
	s_cbranch_execnz .LBB6_1353
.LBB6_1333:
	s_or_b64 exec, exec, s[20:21]
	s_and_saveexec_b64 s[20:21], s[18:19]
	s_cbranch_execz .LBB6_1335
.LBB6_1334:
	v_lshlrev_b32_e32 v7, 24, v8
	v_and_b32_e32 v8, 0xffff, v8
	v_and_b32_e32 v9, 3, v8
	v_ffbh_u32_e32 v11, v9
	v_min_u32_e32 v11, 32, v11
	v_subrev_u32_e32 v12, 29, v11
	v_bfe_u32 v10, v8, 2, 5
	v_lshlrev_b32_e32 v8, v12, v8
	v_sub_u32_e32 v11, 30, v11
	v_and_b32_e32 v8, 3, v8
	v_cmp_eq_u32_e32 vcc, 0, v10
	v_cndmask_b32_e32 v10, v10, v11, vcc
	v_cndmask_b32_e32 v8, v9, v8, vcc
	v_mov_b32_e32 v9, 0x37800000
	v_lshlrev_b32_e32 v8, 21, v8
	v_and_b32_e32 v7, 0x80000000, v7
	v_lshl_add_u32 v9, v10, 23, v9
	v_or3_b32 v7, v7, v9, v8
	v_cvt_f16_f32_e32 v7, v7
.LBB6_1335:
	s_or_b64 exec, exec, s[20:21]
	s_mov_b64 s[18:19], 0
	s_branch .LBB6_1341
.LBB6_1336:
	s_mov_b64 s[18:19], -1
                                        ; implicit-def: $vgpr7
	s_branch .LBB6_1347
.LBB6_1337:
	s_or_saveexec_b64 s[22:23], s[22:23]
	v_mov_b32_e32 v7, s26
	s_xor_b64 exec, exec, s[22:23]
	s_cbranch_execz .LBB6_1320
.LBB6_1338:
	v_cmp_ne_u16_e32 vcc, 0, v8
	s_andn2_b64 s[20:21], s[20:21], exec
	s_and_b64 s[24:25], vcc, exec
	s_or_b64 s[20:21], s[20:21], s[24:25]
	v_mov_b32_e32 v7, v8
	s_or_b64 exec, exec, s[22:23]
	s_and_saveexec_b64 s[22:23], s[20:21]
	s_cbranch_execnz .LBB6_1321
	s_branch .LBB6_1322
.LBB6_1339:
	s_mov_b64 s[18:19], -1
                                        ; implicit-def: $vgpr7
	s_branch .LBB6_1344
.LBB6_1340:
	s_mov_b64 s[18:19], -1
                                        ; implicit-def: $vgpr7
.LBB6_1341:
	s_and_b64 vcc, exec, s[18:19]
	s_cbranch_vccz .LBB6_1343
; %bb.1342:
	global_load_ubyte v7, v[0:1], off
	s_mov_b32 s18, 0x7f800000
	s_waitcnt vmcnt(0)
	v_lshlrev_b32_e32 v7, 24, v7
	v_and_b32_e32 v8, 0x7f000000, v7
	v_ffbh_u32_e32 v9, v8
	v_min_u32_e32 v9, 32, v9
	v_sub_u32_e64 v9, v9, 4 clamp
	v_lshlrev_b32_e32 v11, v9, v8
	v_lshlrev_b32_e32 v9, 23, v9
	v_lshrrev_b32_e32 v11, 4, v11
	v_add_u32_e32 v10, 0x1000000, v8
	v_sub_u32_e32 v9, v11, v9
	v_ashrrev_i32_e32 v10, 8, v10
	v_add_u32_e32 v9, 0x3c000000, v9
	v_and_or_b32 v9, v10, s18, v9
	v_cmp_ne_u32_e32 vcc, 0, v8
	v_cndmask_b32_e32 v8, 0, v9, vcc
	s_brev_b32 s18, 1
	v_and_or_b32 v7, v7, s18, v8
	v_cvt_f16_f32_e32 v7, v7
.LBB6_1343:
	s_mov_b64 s[18:19], 0
.LBB6_1344:
	s_andn2_b64 vcc, exec, s[18:19]
	s_cbranch_vccnz .LBB6_1346
; %bb.1345:
	global_load_ubyte v7, v[0:1], off
	s_movk_i32 s18, 0x7f00
	s_brev_b32 s19, 16
	s_waitcnt vmcnt(0)
	v_lshlrev_b16_e32 v8, 8, v7
	v_lshlrev_b32_e32 v7, 25, v7
	v_lshrrev_b32_e32 v9, 4, v7
	v_and_or_b32 v10, v8, s18, 0.5
	v_or_b32_e32 v9, 0x70000000, v9
	v_add_f32_e32 v10, -0.5, v10
	v_mul_f32_e32 v9, 0x7800000, v9
	v_cmp_gt_u32_e32 vcc, s19, v7
	v_bfe_i32 v8, v8, 0, 16
	v_cndmask_b32_e32 v7, v9, v10, vcc
	s_brev_b32 s18, 1
	v_and_or_b32 v7, v8, s18, v7
	v_cvt_f16_f32_e32 v7, v7
.LBB6_1346:
	s_mov_b64 s[18:19], 0
	s_mov_b64 s[20:21], -1
.LBB6_1347:
	s_andn2_b64 vcc, exec, s[18:19]
	s_mov_b64 s[18:19], 0
	s_cbranch_vccnz .LBB6_1358
; %bb.1348:
	v_cmp_lt_i16_e32 vcc, 14, v3
	s_cbranch_vccz .LBB6_1351
; %bb.1349:
	v_cmp_eq_u16_e32 vcc, 15, v3
	s_cbranch_vccz .LBB6_1354
; %bb.1350:
	global_load_ushort v7, v[0:1], off
	s_mov_b64 s[2:3], 0
	s_mov_b64 s[20:21], -1
	s_waitcnt vmcnt(0)
	v_lshlrev_b32_e32 v7, 16, v7
	v_cvt_f16_f32_e32 v7, v7
	s_branch .LBB6_1355
.LBB6_1351:
	s_mov_b64 s[22:23], -1
                                        ; implicit-def: $vgpr7
	s_branch .LBB6_1356
.LBB6_1352:
	s_or_saveexec_b64 s[20:21], s[20:21]
	v_mov_b32_e32 v7, s24
	s_xor_b64 exec, exec, s[20:21]
	s_cbranch_execz .LBB6_1333
.LBB6_1353:
	v_cmp_ne_u16_e32 vcc, 0, v8
	s_andn2_b64 s[18:19], s[18:19], exec
	s_and_b64 s[22:23], vcc, exec
	s_or_b64 s[18:19], s[18:19], s[22:23]
	v_mov_b32_e32 v7, v8
	s_or_b64 exec, exec, s[20:21]
	s_and_saveexec_b64 s[20:21], s[18:19]
	s_cbranch_execnz .LBB6_1334
	s_branch .LBB6_1335
.LBB6_1354:
	s_mov_b64 s[2:3], -1
                                        ; implicit-def: $vgpr7
.LBB6_1355:
	s_mov_b64 s[22:23], 0
.LBB6_1356:
	s_and_b64 vcc, exec, s[22:23]
	s_cbranch_vccz .LBB6_1358
; %bb.1357:
	v_cmp_ne_u16_e64 s[2:3], 11, v3
	s_mov_b64 s[18:19], -1
                                        ; implicit-def: $vgpr7
.LBB6_1358:
	s_and_b64 vcc, exec, s[2:3]
	s_cbranch_vccnz .LBB6_1421
; %bb.1359:
	s_andn2_b64 vcc, exec, s[18:19]
	s_cbranch_vccnz .LBB6_1361
.LBB6_1360:
	global_load_ubyte v7, v[0:1], off
	v_mov_b32_e32 v8, 0x3c00
	s_mov_b64 s[20:21], -1
	s_waitcnt vmcnt(0)
	v_cmp_ne_u16_e32 vcc, 0, v7
	v_cndmask_b32_e32 v7, 0, v8, vcc
.LBB6_1361:
	s_branch .LBB6_1289
.LBB6_1362:
	v_cmp_gt_i16_e32 vcc, 5, v3
	s_cbranch_vccnz .LBB6_1367
; %bb.1363:
	v_cmp_gt_i16_e32 vcc, 8, v3
	s_cbranch_vccnz .LBB6_1368
; %bb.1364:
	;; [unrolled: 3-line block ×3, first 2 shown]
	v_cmp_lt_i16_e32 vcc, 9, v3
	s_cbranch_vccz .LBB6_1370
; %bb.1366:
	global_load_dwordx2 v[8:9], v[0:1], off
	s_mov_b64 s[2:3], 0
	s_waitcnt vmcnt(0)
	v_cvt_f32_f64_e32 v7, v[8:9]
	v_cvt_f16_f32_e32 v7, v7
	s_branch .LBB6_1371
.LBB6_1367:
	s_mov_b64 s[2:3], -1
                                        ; implicit-def: $vgpr7
	s_branch .LBB6_1389
.LBB6_1368:
	s_mov_b64 s[2:3], -1
                                        ; implicit-def: $vgpr7
	s_branch .LBB6_1377
.LBB6_1369:
	s_mov_b64 s[2:3], -1
                                        ; implicit-def: $vgpr7
	s_branch .LBB6_1374
.LBB6_1370:
	s_mov_b64 s[2:3], -1
                                        ; implicit-def: $vgpr7
.LBB6_1371:
	s_andn2_b64 vcc, exec, s[2:3]
	s_cbranch_vccnz .LBB6_1373
; %bb.1372:
	global_load_dword v7, v[0:1], off
	s_waitcnt vmcnt(0)
	v_cvt_f16_f32_e32 v7, v7
.LBB6_1373:
	s_mov_b64 s[2:3], 0
.LBB6_1374:
	s_andn2_b64 vcc, exec, s[2:3]
	s_cbranch_vccnz .LBB6_1376
; %bb.1375:
	global_load_dword v7, v[0:1], off
.LBB6_1376:
	s_mov_b64 s[2:3], 0
.LBB6_1377:
	s_andn2_b64 vcc, exec, s[2:3]
	s_cbranch_vccnz .LBB6_1388
; %bb.1378:
	v_cmp_gt_i16_e32 vcc, 6, v3
	s_cbranch_vccnz .LBB6_1381
; %bb.1379:
	v_cmp_lt_i16_e32 vcc, 6, v3
	s_cbranch_vccz .LBB6_1382
; %bb.1380:
	global_load_dwordx2 v[8:9], v[0:1], off
	s_mov_b64 s[2:3], 0
	s_waitcnt vmcnt(0)
	v_cvt_f32_f64_e32 v7, v[8:9]
	v_cvt_f16_f32_e32 v7, v7
	s_branch .LBB6_1383
.LBB6_1381:
	s_mov_b64 s[2:3], -1
                                        ; implicit-def: $vgpr7
	s_branch .LBB6_1386
.LBB6_1382:
	s_mov_b64 s[2:3], -1
                                        ; implicit-def: $vgpr7
.LBB6_1383:
	s_andn2_b64 vcc, exec, s[2:3]
	s_cbranch_vccnz .LBB6_1385
; %bb.1384:
	global_load_dword v7, v[0:1], off
	s_waitcnt vmcnt(0)
	v_cvt_f16_f32_e32 v7, v7
.LBB6_1385:
	s_mov_b64 s[2:3], 0
.LBB6_1386:
	s_andn2_b64 vcc, exec, s[2:3]
	s_cbranch_vccnz .LBB6_1388
; %bb.1387:
	global_load_ushort v7, v[0:1], off
.LBB6_1388:
	s_mov_b64 s[2:3], 0
.LBB6_1389:
	s_andn2_b64 vcc, exec, s[2:3]
	s_cbranch_vccnz .LBB6_1409
; %bb.1390:
	v_cmp_gt_i16_e32 vcc, 2, v3
	s_cbranch_vccnz .LBB6_1394
; %bb.1391:
	v_cmp_gt_i16_e32 vcc, 3, v3
	s_cbranch_vccnz .LBB6_1395
; %bb.1392:
	v_cmp_lt_i16_e32 vcc, 3, v3
	s_cbranch_vccz .LBB6_1396
; %bb.1393:
	global_load_dwordx2 v[8:9], v[0:1], off
	s_mov_b64 s[2:3], 0
	s_waitcnt vmcnt(0)
	v_xor_b32_e32 v10, v8, v9
	v_ffbh_i32_e32 v7, v9
	v_ashrrev_i32_e32 v10, 31, v10
	v_add_u32_e32 v7, -1, v7
	v_add_u32_e32 v10, 32, v10
	v_min_u32_e32 v7, v7, v10
	v_lshlrev_b64 v[8:9], v7, v[8:9]
	v_min_u32_e32 v8, 1, v8
	v_or_b32_e32 v8, v9, v8
	v_cvt_f32_i32_e32 v8, v8
	v_sub_u32_e32 v7, 32, v7
	v_ldexp_f32 v7, v8, v7
	v_cvt_f16_f32_e32 v7, v7
	s_branch .LBB6_1397
.LBB6_1394:
	s_mov_b64 s[2:3], -1
                                        ; implicit-def: $vgpr7
	s_branch .LBB6_1403
.LBB6_1395:
	s_mov_b64 s[2:3], -1
                                        ; implicit-def: $vgpr7
	s_branch .LBB6_1400
.LBB6_1396:
	s_mov_b64 s[2:3], -1
                                        ; implicit-def: $vgpr7
.LBB6_1397:
	s_andn2_b64 vcc, exec, s[2:3]
	s_cbranch_vccnz .LBB6_1399
; %bb.1398:
	global_load_dword v7, v[0:1], off
	s_waitcnt vmcnt(0)
	v_cvt_f32_i32_e32 v7, v7
	v_cvt_f16_f32_e32 v7, v7
.LBB6_1399:
	s_mov_b64 s[2:3], 0
.LBB6_1400:
	s_andn2_b64 vcc, exec, s[2:3]
	s_cbranch_vccnz .LBB6_1402
; %bb.1401:
	global_load_ushort v7, v[0:1], off
	s_waitcnt vmcnt(0)
	v_cvt_f16_i16_e32 v7, v7
.LBB6_1402:
	s_mov_b64 s[2:3], 0
.LBB6_1403:
	s_andn2_b64 vcc, exec, s[2:3]
	s_cbranch_vccnz .LBB6_1409
; %bb.1404:
	v_cmp_lt_i16_e32 vcc, 0, v3
	s_cbranch_vccz .LBB6_1406
; %bb.1405:
	global_load_sbyte v7, v[0:1], off
	s_mov_b64 s[2:3], 0
	s_waitcnt vmcnt(0)
	v_cvt_f16_i16_e32 v7, v7
	s_branch .LBB6_1407
.LBB6_1406:
	s_mov_b64 s[2:3], -1
                                        ; implicit-def: $vgpr7
.LBB6_1407:
	s_andn2_b64 vcc, exec, s[2:3]
	s_cbranch_vccnz .LBB6_1409
; %bb.1408:
	global_load_ubyte v0, v[0:1], off
	s_waitcnt vmcnt(0)
	v_cvt_f16_u16_e32 v7, v0
.LBB6_1409:
.LBB6_1410:
	v_add_u32_e32 v0, s13, v4
	v_ashrrev_i32_e32 v1, 31, v0
	v_mov_b32_e32 v4, s11
	v_add_co_u32_e32 v0, vcc, s10, v0
	v_addc_co_u32_e32 v1, vcc, v4, v1, vcc
	s_and_b64 vcc, exec, s[0:1]
	s_cbranch_vccnz .LBB6_1417
; %bb.1411:
	v_cmp_lt_i16_e32 vcc, 25, v3
	s_mov_b64 s[2:3], 0
	s_cbranch_vccz .LBB6_1418
; %bb.1412:
	v_cmp_lt_i16_e32 vcc, 28, v3
	s_cbranch_vccz .LBB6_1419
; %bb.1413:
	v_cmp_lt_i16_e32 vcc, 43, v3
	;; [unrolled: 3-line block ×3, first 2 shown]
	s_cbranch_vccz .LBB6_1422
; %bb.1415:
	v_cmp_eq_u16_e32 vcc, 46, v3
	s_mov_b64 s[18:19], 0
	s_cbranch_vccz .LBB6_1423
; %bb.1416:
	global_load_dword v4, v[0:1], off
	s_mov_b64 s[0:1], 0
	s_mov_b64 s[10:11], -1
	s_waitcnt vmcnt(0)
	v_lshlrev_b32_e32 v4, 16, v4
	v_cvt_f16_f32_e32 v8, v4
	s_branch .LBB6_1424
.LBB6_1417:
	s_mov_b64 s[0:1], -1
	s_mov_b64 s[10:11], 0
                                        ; implicit-def: $vgpr8
	s_branch .LBB6_1490
.LBB6_1418:
	s_mov_b64 s[18:19], -1
	s_mov_b64 s[10:11], 0
	s_mov_b64 s[0:1], 0
                                        ; implicit-def: $vgpr8
	s_branch .LBB6_1453
.LBB6_1419:
	s_mov_b64 s[18:19], -1
	s_mov_b64 s[10:11], 0
	s_mov_b64 s[0:1], 0
                                        ; implicit-def: $vgpr8
	s_branch .LBB6_1434
.LBB6_1420:
	s_mov_b64 s[18:19], -1
	s_mov_b64 s[10:11], 0
	s_mov_b64 s[0:1], 0
                                        ; implicit-def: $vgpr8
	s_branch .LBB6_1429
.LBB6_1421:
	s_trap 2
	s_or_b64 s[16:17], s[16:17], exec
                                        ; implicit-def: $vgpr7
	s_cbranch_execz .LBB6_1360
	s_branch .LBB6_1361
.LBB6_1422:
	s_mov_b64 s[18:19], -1
	s_mov_b64 s[10:11], 0
	s_mov_b64 s[0:1], 0
                                        ; implicit-def: $vgpr8
	s_branch .LBB6_1424
.LBB6_1423:
	s_mov_b64 s[0:1], -1
                                        ; implicit-def: $vgpr8
	s_mov_b64 s[10:11], 0
.LBB6_1424:
	s_and_b64 vcc, exec, s[18:19]
	s_cbranch_vccz .LBB6_1428
; %bb.1425:
	v_cmp_eq_u16_e32 vcc, 44, v3
	s_cbranch_vccz .LBB6_1427
; %bb.1426:
	global_load_ubyte v4, v[0:1], off
	s_movk_i32 s10, 0xff
	v_mov_b32_e32 v9, 0x7e00
	s_mov_b64 s[0:1], 0
	s_waitcnt vmcnt(0)
	v_lshlrev_b32_e32 v8, 23, v4
	v_cvt_f16_f32_e32 v8, v8
	v_cmp_ne_u32_e32 vcc, s10, v4
	s_mov_b64 s[10:11], -1
	v_cndmask_b32_e32 v8, v9, v8, vcc
	v_cmp_ne_u32_e32 vcc, 0, v4
	v_cndmask_b32_e32 v8, 0, v8, vcc
	s_branch .LBB6_1428
.LBB6_1427:
	s_mov_b64 s[0:1], -1
                                        ; implicit-def: $vgpr8
.LBB6_1428:
	s_mov_b64 s[18:19], 0
.LBB6_1429:
	s_and_b64 vcc, exec, s[18:19]
	s_cbranch_vccz .LBB6_1433
; %bb.1430:
	v_cmp_eq_u16_e32 vcc, 29, v3
	s_cbranch_vccz .LBB6_1432
; %bb.1431:
	global_load_dwordx2 v[8:9], v[0:1], off
	s_mov_b64 s[0:1], 0
	s_mov_b64 s[10:11], -1
	s_mov_b64 s[18:19], 0
	s_waitcnt vmcnt(0)
	v_ffbh_u32_e32 v4, v9
	v_min_u32_e32 v4, 32, v4
	v_lshlrev_b64 v[8:9], v4, v[8:9]
	v_min_u32_e32 v8, 1, v8
	v_or_b32_e32 v8, v9, v8
	v_cvt_f32_u32_e32 v8, v8
	v_sub_u32_e32 v4, 32, v4
	v_ldexp_f32 v4, v8, v4
	v_cvt_f16_f32_e32 v8, v4
	s_branch .LBB6_1434
.LBB6_1432:
	s_mov_b64 s[0:1], -1
                                        ; implicit-def: $vgpr8
.LBB6_1433:
	s_mov_b64 s[18:19], 0
.LBB6_1434:
	s_and_b64 vcc, exec, s[18:19]
	s_cbranch_vccz .LBB6_1452
; %bb.1435:
	v_cmp_gt_i16_e32 vcc, 27, v3
	s_cbranch_vccnz .LBB6_1438
; %bb.1436:
	v_cmp_lt_i16_e32 vcc, 27, v3
	s_cbranch_vccz .LBB6_1439
; %bb.1437:
	global_load_dword v4, v[0:1], off
	s_mov_b64 s[10:11], 0
	s_waitcnt vmcnt(0)
	v_cvt_f32_u32_e32 v4, v4
	v_cvt_f16_f32_e32 v8, v4
	s_branch .LBB6_1440
.LBB6_1438:
	s_mov_b64 s[10:11], -1
                                        ; implicit-def: $vgpr8
	s_branch .LBB6_1443
.LBB6_1439:
	s_mov_b64 s[10:11], -1
                                        ; implicit-def: $vgpr8
.LBB6_1440:
	s_andn2_b64 vcc, exec, s[10:11]
	s_cbranch_vccnz .LBB6_1442
; %bb.1441:
	global_load_ushort v4, v[0:1], off
	s_waitcnt vmcnt(0)
	v_cvt_f16_u16_e32 v8, v4
.LBB6_1442:
	s_mov_b64 s[10:11], 0
.LBB6_1443:
	s_andn2_b64 vcc, exec, s[10:11]
	s_cbranch_vccnz .LBB6_1451
; %bb.1444:
	global_load_ubyte v4, v[0:1], off
	s_movk_i32 s10, 0x7f
                                        ; implicit-def: $sgpr13
	s_waitcnt vmcnt(0)
	v_cmp_lt_i16_e32 vcc, s10, v4
	s_mov_b64 s[10:11], 0
	s_and_saveexec_b64 s[18:19], vcc
	s_xor_b64 s[18:19], exec, s[18:19]
	s_cbranch_execz .LBB6_1465
; %bb.1445:
	s_movk_i32 s10, 0x80
	v_cmp_eq_u16_e32 vcc, s10, v4
	s_mov_b64 s[10:11], -1
                                        ; implicit-def: $sgpr13
	s_and_saveexec_b64 s[20:21], vcc
; %bb.1446:
	s_movk_i32 s13, 0x7e00
	s_xor_b64 s[10:11], exec, -1
; %bb.1447:
	s_or_b64 exec, exec, s[20:21]
	s_and_b64 s[10:11], s[10:11], exec
	s_or_saveexec_b64 s[18:19], s[18:19]
	v_mov_b32_e32 v8, s13
	s_xor_b64 exec, exec, s[18:19]
	s_cbranch_execnz .LBB6_1466
.LBB6_1448:
	s_or_b64 exec, exec, s[18:19]
	s_and_saveexec_b64 s[18:19], s[10:11]
	s_cbranch_execz .LBB6_1450
.LBB6_1449:
	v_lshlrev_b32_e32 v8, 24, v4
	v_and_b32_e32 v4, 0xffff, v4
	v_and_b32_e32 v9, 7, v4
	v_ffbh_u32_e32 v11, v9
	v_min_u32_e32 v11, 32, v11
	v_subrev_u32_e32 v12, 28, v11
	v_bfe_u32 v10, v4, 3, 4
	v_lshlrev_b32_e32 v4, v12, v4
	v_sub_u32_e32 v11, 29, v11
	v_and_b32_e32 v4, 7, v4
	v_cmp_eq_u32_e32 vcc, 0, v10
	v_cndmask_b32_e32 v10, v10, v11, vcc
	v_cndmask_b32_e32 v4, v9, v4, vcc
	v_mov_b32_e32 v9, 0x3b800000
	v_lshlrev_b32_e32 v4, 20, v4
	v_and_b32_e32 v8, 0x80000000, v8
	v_lshl_add_u32 v9, v10, 23, v9
	v_or3_b32 v4, v8, v9, v4
	v_cvt_f16_f32_e32 v8, v4
.LBB6_1450:
	s_or_b64 exec, exec, s[18:19]
.LBB6_1451:
	s_mov_b64 s[10:11], -1
.LBB6_1452:
	s_mov_b64 s[18:19], 0
.LBB6_1453:
	s_and_b64 vcc, exec, s[18:19]
	s_cbranch_vccz .LBB6_1486
; %bb.1454:
	v_cmp_lt_i16_e32 vcc, 22, v3
	s_cbranch_vccz .LBB6_1464
; %bb.1455:
	v_cmp_gt_i16_e32 vcc, 24, v3
	s_cbranch_vccnz .LBB6_1467
; %bb.1456:
	v_cmp_lt_i16_e32 vcc, 24, v3
	s_cbranch_vccz .LBB6_1468
; %bb.1457:
	global_load_ubyte v4, v[0:1], off
	s_movk_i32 s2, 0x7f
                                        ; implicit-def: $sgpr13
	s_waitcnt vmcnt(0)
	v_cmp_lt_i16_e32 vcc, s2, v4
	s_mov_b64 s[2:3], 0
	s_and_saveexec_b64 s[10:11], vcc
	s_xor_b64 s[10:11], exec, s[10:11]
	s_cbranch_execz .LBB6_1480
; %bb.1458:
	s_movk_i32 s2, 0x80
	v_cmp_eq_u16_e32 vcc, s2, v4
	s_mov_b64 s[2:3], -1
                                        ; implicit-def: $sgpr13
	s_and_saveexec_b64 s[18:19], vcc
; %bb.1459:
	s_movk_i32 s13, 0x7e00
	s_xor_b64 s[2:3], exec, -1
; %bb.1460:
	s_or_b64 exec, exec, s[18:19]
	s_and_b64 s[2:3], s[2:3], exec
	s_or_saveexec_b64 s[10:11], s[10:11]
	v_mov_b32_e32 v8, s13
	s_xor_b64 exec, exec, s[10:11]
	s_cbranch_execnz .LBB6_1481
.LBB6_1461:
	s_or_b64 exec, exec, s[10:11]
	s_and_saveexec_b64 s[10:11], s[2:3]
	s_cbranch_execz .LBB6_1463
.LBB6_1462:
	v_lshlrev_b32_e32 v8, 24, v4
	v_and_b32_e32 v4, 0xffff, v4
	v_and_b32_e32 v9, 3, v4
	v_ffbh_u32_e32 v11, v9
	v_min_u32_e32 v11, 32, v11
	v_subrev_u32_e32 v12, 29, v11
	v_bfe_u32 v10, v4, 2, 5
	v_lshlrev_b32_e32 v4, v12, v4
	v_sub_u32_e32 v11, 30, v11
	v_and_b32_e32 v4, 3, v4
	v_cmp_eq_u32_e32 vcc, 0, v10
	v_cndmask_b32_e32 v10, v10, v11, vcc
	v_cndmask_b32_e32 v4, v9, v4, vcc
	v_mov_b32_e32 v9, 0x37800000
	v_lshlrev_b32_e32 v4, 21, v4
	v_and_b32_e32 v8, 0x80000000, v8
	v_lshl_add_u32 v9, v10, 23, v9
	v_or3_b32 v4, v8, v9, v4
	v_cvt_f16_f32_e32 v8, v4
.LBB6_1463:
	s_or_b64 exec, exec, s[10:11]
	s_mov_b64 s[2:3], 0
	s_branch .LBB6_1469
.LBB6_1464:
	s_mov_b64 s[2:3], -1
                                        ; implicit-def: $vgpr8
	s_branch .LBB6_1475
.LBB6_1465:
	s_or_saveexec_b64 s[18:19], s[18:19]
	v_mov_b32_e32 v8, s13
	s_xor_b64 exec, exec, s[18:19]
	s_cbranch_execz .LBB6_1448
.LBB6_1466:
	v_cmp_ne_u16_e32 vcc, 0, v4
	s_andn2_b64 s[10:11], s[10:11], exec
	s_and_b64 s[20:21], vcc, exec
	s_or_b64 s[10:11], s[10:11], s[20:21]
	v_mov_b32_e32 v8, v4
	s_or_b64 exec, exec, s[18:19]
	s_and_saveexec_b64 s[18:19], s[10:11]
	s_cbranch_execnz .LBB6_1449
	s_branch .LBB6_1450
.LBB6_1467:
	s_mov_b64 s[2:3], -1
                                        ; implicit-def: $vgpr8
	s_branch .LBB6_1472
.LBB6_1468:
	s_mov_b64 s[2:3], -1
                                        ; implicit-def: $vgpr8
.LBB6_1469:
	s_and_b64 vcc, exec, s[2:3]
	s_cbranch_vccz .LBB6_1471
; %bb.1470:
	global_load_ubyte v4, v[0:1], off
	s_mov_b32 s2, 0x7f800000
	s_waitcnt vmcnt(0)
	v_lshlrev_b32_e32 v4, 24, v4
	v_and_b32_e32 v8, 0x7f000000, v4
	v_ffbh_u32_e32 v9, v8
	v_min_u32_e32 v9, 32, v9
	v_sub_u32_e64 v9, v9, 4 clamp
	v_lshlrev_b32_e32 v11, v9, v8
	v_lshlrev_b32_e32 v9, 23, v9
	v_lshrrev_b32_e32 v11, 4, v11
	v_add_u32_e32 v10, 0x1000000, v8
	v_sub_u32_e32 v9, v11, v9
	v_ashrrev_i32_e32 v10, 8, v10
	v_add_u32_e32 v9, 0x3c000000, v9
	v_and_or_b32 v9, v10, s2, v9
	v_cmp_ne_u32_e32 vcc, 0, v8
	v_cndmask_b32_e32 v8, 0, v9, vcc
	s_brev_b32 s2, 1
	v_and_or_b32 v4, v4, s2, v8
	v_cvt_f16_f32_e32 v8, v4
.LBB6_1471:
	s_mov_b64 s[2:3], 0
.LBB6_1472:
	s_andn2_b64 vcc, exec, s[2:3]
	s_cbranch_vccnz .LBB6_1474
; %bb.1473:
	global_load_ubyte v4, v[0:1], off
	s_movk_i32 s2, 0x7f00
	s_brev_b32 s3, 16
	s_waitcnt vmcnt(0)
	v_lshlrev_b16_e32 v8, 8, v4
	v_lshlrev_b32_e32 v4, 25, v4
	v_lshrrev_b32_e32 v9, 4, v4
	v_and_or_b32 v10, v8, s2, 0.5
	v_or_b32_e32 v9, 0x70000000, v9
	v_add_f32_e32 v10, -0.5, v10
	v_mul_f32_e32 v9, 0x7800000, v9
	v_cmp_gt_u32_e32 vcc, s3, v4
	v_bfe_i32 v8, v8, 0, 16
	v_cndmask_b32_e32 v4, v9, v10, vcc
	s_brev_b32 s2, 1
	v_and_or_b32 v4, v8, s2, v4
	v_cvt_f16_f32_e32 v8, v4
.LBB6_1474:
	s_mov_b64 s[2:3], 0
	s_mov_b64 s[10:11], -1
.LBB6_1475:
	s_andn2_b64 vcc, exec, s[2:3]
	s_mov_b64 s[2:3], 0
	s_cbranch_vccnz .LBB6_1486
; %bb.1476:
	v_cmp_lt_i16_e32 vcc, 14, v3
	s_cbranch_vccz .LBB6_1479
; %bb.1477:
	v_cmp_eq_u16_e32 vcc, 15, v3
	s_cbranch_vccz .LBB6_1482
; %bb.1478:
	global_load_ushort v4, v[0:1], off
	s_mov_b64 s[0:1], 0
	s_mov_b64 s[10:11], -1
	s_waitcnt vmcnt(0)
	v_lshlrev_b32_e32 v4, 16, v4
	v_cvt_f16_f32_e32 v8, v4
	s_branch .LBB6_1483
.LBB6_1479:
	s_mov_b64 s[18:19], -1
                                        ; implicit-def: $vgpr8
	s_branch .LBB6_1484
.LBB6_1480:
	s_or_saveexec_b64 s[10:11], s[10:11]
	v_mov_b32_e32 v8, s13
	s_xor_b64 exec, exec, s[10:11]
	s_cbranch_execz .LBB6_1461
.LBB6_1481:
	v_cmp_ne_u16_e32 vcc, 0, v4
	s_andn2_b64 s[2:3], s[2:3], exec
	s_and_b64 s[18:19], vcc, exec
	s_or_b64 s[2:3], s[2:3], s[18:19]
	v_mov_b32_e32 v8, v4
	s_or_b64 exec, exec, s[10:11]
	s_and_saveexec_b64 s[10:11], s[2:3]
	s_cbranch_execnz .LBB6_1462
	s_branch .LBB6_1463
.LBB6_1482:
	s_mov_b64 s[0:1], -1
                                        ; implicit-def: $vgpr8
.LBB6_1483:
	s_mov_b64 s[18:19], 0
.LBB6_1484:
	s_and_b64 vcc, exec, s[18:19]
	s_cbranch_vccz .LBB6_1486
; %bb.1485:
	v_cmp_ne_u16_e64 s[0:1], 11, v3
	s_mov_b64 s[2:3], -1
                                        ; implicit-def: $vgpr8
.LBB6_1486:
	s_and_b64 vcc, exec, s[0:1]
	s_cbranch_vccnz .LBB6_1596
; %bb.1487:
	s_andn2_b64 vcc, exec, s[2:3]
	s_cbranch_vccnz .LBB6_1489
.LBB6_1488:
	global_load_ubyte v4, v[0:1], off
	v_mov_b32_e32 v8, 0x3c00
	s_mov_b64 s[10:11], -1
	s_waitcnt vmcnt(0)
	v_cmp_ne_u16_e32 vcc, 0, v4
	v_cndmask_b32_e32 v8, 0, v8, vcc
.LBB6_1489:
	s_mov_b64 s[0:1], 0
.LBB6_1490:
	s_and_b64 vcc, exec, s[0:1]
	s_cbranch_vccz .LBB6_1539
; %bb.1491:
	v_cmp_gt_i16_e32 vcc, 5, v3
	s_cbranch_vccnz .LBB6_1496
; %bb.1492:
	v_cmp_gt_i16_e32 vcc, 8, v3
	s_cbranch_vccnz .LBB6_1497
	;; [unrolled: 3-line block ×3, first 2 shown]
; %bb.1494:
	v_cmp_lt_i16_e32 vcc, 9, v3
	s_cbranch_vccz .LBB6_1499
; %bb.1495:
	global_load_dwordx2 v[8:9], v[0:1], off
	s_mov_b64 s[0:1], 0
	s_waitcnt vmcnt(0)
	v_cvt_f32_f64_e32 v4, v[8:9]
	v_cvt_f16_f32_e32 v8, v4
	s_branch .LBB6_1500
.LBB6_1496:
	s_mov_b64 s[0:1], -1
                                        ; implicit-def: $vgpr8
	s_branch .LBB6_1518
.LBB6_1497:
	s_mov_b64 s[0:1], -1
                                        ; implicit-def: $vgpr8
	s_branch .LBB6_1506
.LBB6_1498:
	s_mov_b64 s[0:1], -1
                                        ; implicit-def: $vgpr8
	s_branch .LBB6_1503
.LBB6_1499:
	s_mov_b64 s[0:1], -1
                                        ; implicit-def: $vgpr8
.LBB6_1500:
	s_andn2_b64 vcc, exec, s[0:1]
	s_cbranch_vccnz .LBB6_1502
; %bb.1501:
	global_load_dword v4, v[0:1], off
	s_waitcnt vmcnt(0)
	v_cvt_f16_f32_e32 v8, v4
.LBB6_1502:
	s_mov_b64 s[0:1], 0
.LBB6_1503:
	s_andn2_b64 vcc, exec, s[0:1]
	s_cbranch_vccnz .LBB6_1505
; %bb.1504:
	global_load_dword v8, v[0:1], off
.LBB6_1505:
	s_mov_b64 s[0:1], 0
.LBB6_1506:
	s_andn2_b64 vcc, exec, s[0:1]
	s_cbranch_vccnz .LBB6_1517
; %bb.1507:
	v_cmp_gt_i16_e32 vcc, 6, v3
	s_cbranch_vccnz .LBB6_1510
; %bb.1508:
	v_cmp_lt_i16_e32 vcc, 6, v3
	s_cbranch_vccz .LBB6_1511
; %bb.1509:
	global_load_dwordx2 v[8:9], v[0:1], off
	s_mov_b64 s[0:1], 0
	s_waitcnt vmcnt(0)
	v_cvt_f32_f64_e32 v4, v[8:9]
	v_cvt_f16_f32_e32 v8, v4
	s_branch .LBB6_1512
.LBB6_1510:
	s_mov_b64 s[0:1], -1
                                        ; implicit-def: $vgpr8
	s_branch .LBB6_1515
.LBB6_1511:
	s_mov_b64 s[0:1], -1
                                        ; implicit-def: $vgpr8
.LBB6_1512:
	s_andn2_b64 vcc, exec, s[0:1]
	s_cbranch_vccnz .LBB6_1514
; %bb.1513:
	global_load_dword v4, v[0:1], off
	s_waitcnt vmcnt(0)
	v_cvt_f16_f32_e32 v8, v4
.LBB6_1514:
	s_mov_b64 s[0:1], 0
.LBB6_1515:
	s_andn2_b64 vcc, exec, s[0:1]
	s_cbranch_vccnz .LBB6_1517
; %bb.1516:
	global_load_ushort v8, v[0:1], off
.LBB6_1517:
	s_mov_b64 s[0:1], 0
.LBB6_1518:
	s_andn2_b64 vcc, exec, s[0:1]
	s_cbranch_vccnz .LBB6_1538
; %bb.1519:
	v_cmp_gt_i16_e32 vcc, 2, v3
	s_cbranch_vccnz .LBB6_1523
; %bb.1520:
	v_cmp_gt_i16_e32 vcc, 3, v3
	s_cbranch_vccnz .LBB6_1524
; %bb.1521:
	v_cmp_lt_i16_e32 vcc, 3, v3
	s_cbranch_vccz .LBB6_1525
; %bb.1522:
	global_load_dwordx2 v[8:9], v[0:1], off
	s_mov_b64 s[0:1], 0
	s_waitcnt vmcnt(0)
	v_xor_b32_e32 v10, v8, v9
	v_ffbh_i32_e32 v4, v9
	v_ashrrev_i32_e32 v10, 31, v10
	v_add_u32_e32 v4, -1, v4
	v_add_u32_e32 v10, 32, v10
	v_min_u32_e32 v4, v4, v10
	v_lshlrev_b64 v[8:9], v4, v[8:9]
	v_min_u32_e32 v8, 1, v8
	v_or_b32_e32 v8, v9, v8
	v_cvt_f32_i32_e32 v8, v8
	v_sub_u32_e32 v4, 32, v4
	v_ldexp_f32 v4, v8, v4
	v_cvt_f16_f32_e32 v8, v4
	s_branch .LBB6_1526
.LBB6_1523:
	s_mov_b64 s[0:1], -1
                                        ; implicit-def: $vgpr8
	s_branch .LBB6_1532
.LBB6_1524:
	s_mov_b64 s[0:1], -1
                                        ; implicit-def: $vgpr8
	s_branch .LBB6_1529
.LBB6_1525:
	s_mov_b64 s[0:1], -1
                                        ; implicit-def: $vgpr8
.LBB6_1526:
	s_andn2_b64 vcc, exec, s[0:1]
	s_cbranch_vccnz .LBB6_1528
; %bb.1527:
	global_load_dword v4, v[0:1], off
	s_waitcnt vmcnt(0)
	v_cvt_f32_i32_e32 v4, v4
	v_cvt_f16_f32_e32 v8, v4
.LBB6_1528:
	s_mov_b64 s[0:1], 0
.LBB6_1529:
	s_andn2_b64 vcc, exec, s[0:1]
	s_cbranch_vccnz .LBB6_1531
; %bb.1530:
	global_load_ushort v4, v[0:1], off
	s_waitcnt vmcnt(0)
	v_cvt_f16_i16_e32 v8, v4
.LBB6_1531:
	s_mov_b64 s[0:1], 0
.LBB6_1532:
	s_andn2_b64 vcc, exec, s[0:1]
	s_cbranch_vccnz .LBB6_1538
; %bb.1533:
	v_cmp_lt_i16_e32 vcc, 0, v3
	s_cbranch_vccz .LBB6_1535
; %bb.1534:
	global_load_sbyte v3, v[0:1], off
	s_mov_b64 s[0:1], 0
	s_waitcnt vmcnt(0)
	v_cvt_f16_i16_e32 v8, v3
	s_branch .LBB6_1536
.LBB6_1535:
	s_mov_b64 s[0:1], -1
                                        ; implicit-def: $vgpr8
.LBB6_1536:
	s_andn2_b64 vcc, exec, s[0:1]
	s_cbranch_vccnz .LBB6_1538
; %bb.1537:
	global_load_ubyte v0, v[0:1], off
	s_waitcnt vmcnt(0)
	v_cvt_f16_u16_e32 v8, v0
.LBB6_1538:
	s_mov_b64 s[10:11], -1
.LBB6_1539:
	s_andn2_b64 vcc, exec, s[10:11]
	s_cbranch_vccnz .LBB6_1547
; %bb.1540:
	v_mov_b32_e32 v0, 0x7fff
	v_and_b32_e32 v4, s14, v0
	v_and_b32_e32 v0, 0xffff8000, v5
	v_mul_lo_u32 v2, s12, v2
	v_or_b32_e32 v3, v0, v4
	v_ashrrev_i32_e32 v1, 31, v2
	v_mov_b32_e32 v5, s9
	v_add_co_u32_e32 v0, vcc, s8, v2
	v_addc_co_u32_e32 v1, vcc, v5, v1, vcc
	v_mov_b32_e32 v5, 11
	v_cmp_lt_i16_sdwa s[0:1], s15, v5 src0_sel:BYTE_0 src1_sel:DWORD
	s_and_b64 vcc, exec, s[0:1]
	s_cbranch_vccnz .LBB6_1593
; %bb.1541:
	v_mov_b32_e32 v5, 25
	v_cmp_gt_i16_sdwa s[0:1], s15, v5 src0_sel:BYTE_0 src1_sel:DWORD
	s_mov_b64 s[18:19], -1
	s_mov_b64 s[2:3], 0
	s_and_b64 vcc, exec, s[0:1]
	s_mov_b64 s[10:11], 0
	s_mov_b64 s[0:1], 0
	s_cbranch_vccz .LBB6_1625
; %bb.1542:
	v_mov_b32_e32 v5, 28
	v_cmp_gt_i16_sdwa s[0:1], s15, v5 src0_sel:BYTE_0 src1_sel:DWORD
	s_and_b64 vcc, exec, s[0:1]
	s_cbranch_vccz .LBB6_1594
; %bb.1543:
	v_mov_b32_e32 v5, 43
	v_cmp_gt_i16_sdwa s[0:1], s15, v5 src0_sel:BYTE_0 src1_sel:DWORD
	s_and_b64 vcc, exec, s[0:1]
	;; [unrolled: 5-line block ×3, first 2 shown]
	s_cbranch_vccz .LBB6_1597
; %bb.1545:
	v_mov_b32_e32 v5, 46
	v_cmp_eq_u16_sdwa s[10:11], s15, v5 src0_sel:BYTE_0 src1_sel:DWORD
	s_mov_b64 s[0:1], -1
	s_mov_b64 s[18:19], 0
	s_and_b64 vcc, exec, s[10:11]
	s_mov_b64 s[10:11], 0
	s_cbranch_vccz .LBB6_1598
; %bb.1546:
	v_cvt_f32_f16_e32 v5, v3
	s_movk_i32 s0, 0x7fff
	v_mov_b32_e32 v9, 0x7fc0
	v_cmp_o_f16_e32 vcc, v3, v3
	v_bfe_u32 v10, v5, 16, 1
	v_add3_u32 v5, v5, v10, s0
	v_lshrrev_b32_e32 v5, 16, v5
	v_cndmask_b32_e32 v5, v9, v5, vcc
	global_store_dword v[0:1], v5, off
	s_mov_b64 s[0:1], 0
	s_mov_b64 s[10:11], -1
	s_branch .LBB6_1598
.LBB6_1547:
	s_mov_b64 s[0:1], 0
                                        ; implicit-def: $vgpr6
                                        ; implicit-def: $vgpr0_vgpr1
                                        ; implicit-def: $vgpr5
                                        ; implicit-def: $vgpr4
.LBB6_1548:
	s_mov_b64 s[2:3], 0
.LBB6_1549:
	s_andn2_b64 s[6:7], s[6:7], exec
	s_and_b64 s[8:9], s[16:17], exec
	s_and_b64 s[0:1], s[0:1], exec
	;; [unrolled: 1-line block ×3, first 2 shown]
	s_or_b64 s[6:7], s[6:7], s[8:9]
.LBB6_1550:
	s_or_b64 exec, exec, s[4:5]
	s_and_saveexec_b64 s[4:5], s[6:7]
	s_cbranch_execz .LBB6_1553
; %bb.1551:
	; divergent unreachable
	s_or_b64 exec, exec, s[4:5]
	s_and_saveexec_b64 s[4:5], s[2:3]
	s_xor_b64 s[2:3], exec, s[4:5]
	s_cbranch_execnz .LBB6_1554
.LBB6_1552:
	s_or_b64 exec, exec, s[2:3]
	s_and_saveexec_b64 s[2:3], s[0:1]
	s_cbranch_execnz .LBB6_1555
	s_branch .LBB6_1592
.LBB6_1553:
	s_or_b64 exec, exec, s[4:5]
	s_and_saveexec_b64 s[4:5], s[2:3]
	s_xor_b64 s[2:3], exec, s[4:5]
	s_cbranch_execz .LBB6_1552
.LBB6_1554:
	v_cmp_ne_u16_e32 vcc, 0, v4
	v_cndmask_b32_e64 v2, 0, 1, vcc
	global_store_byte v[0:1], v2, off
	s_or_b64 exec, exec, s[2:3]
	s_and_saveexec_b64 s[2:3], s[0:1]
	s_cbranch_execz .LBB6_1592
.LBB6_1555:
	s_waitcnt vmcnt(0)
	v_cmp_gt_i16_e32 vcc, 5, v6
	s_mov_b64 s[0:1], -1
	s_cbranch_vccnz .LBB6_1576
; %bb.1556:
	v_cmp_gt_i16_e32 vcc, 8, v6
	s_cbranch_vccnz .LBB6_1566
; %bb.1557:
	v_cmp_gt_i16_e32 vcc, 9, v6
	s_cbranch_vccnz .LBB6_1563
; %bb.1558:
	v_cmp_lt_i16_e32 vcc, 9, v6
	s_cbranch_vccz .LBB6_1560
; %bb.1559:
	v_cvt_f32_f16_e32 v2, v5
	v_mov_b32_e32 v10, 0
	v_mov_b32_e32 v11, v10
	s_mov_b64 s[0:1], 0
	v_cvt_f64_f32_e32 v[8:9], v2
	global_store_dwordx4 v[0:1], v[8:11], off
.LBB6_1560:
	s_andn2_b64 vcc, exec, s[0:1]
	s_cbranch_vccnz .LBB6_1562
; %bb.1561:
	v_cvt_f32_f16_e32 v2, v5
	v_mov_b32_e32 v3, 0
	global_store_dwordx2 v[0:1], v[2:3], off
.LBB6_1562:
	s_mov_b64 s[0:1], 0
.LBB6_1563:
	s_andn2_b64 vcc, exec, s[0:1]
	s_cbranch_vccnz .LBB6_1565
; %bb.1564:
	v_and_b32_e32 v2, 0xffff, v5
	global_store_dword v[0:1], v2, off
.LBB6_1565:
	s_mov_b64 s[0:1], 0
.LBB6_1566:
	s_andn2_b64 vcc, exec, s[0:1]
	s_cbranch_vccnz .LBB6_1575
; %bb.1567:
	v_cmp_gt_i16_e32 vcc, 6, v6
	s_mov_b64 s[0:1], -1
	s_cbranch_vccnz .LBB6_1573
; %bb.1568:
	v_cmp_lt_i16_e32 vcc, 6, v6
	s_cbranch_vccz .LBB6_1570
; %bb.1569:
	v_cvt_f32_f16_e32 v2, v5
	s_mov_b64 s[0:1], 0
	v_cvt_f64_f32_e32 v[2:3], v2
	global_store_dwordx2 v[0:1], v[2:3], off
.LBB6_1570:
	s_andn2_b64 vcc, exec, s[0:1]
	s_cbranch_vccnz .LBB6_1572
; %bb.1571:
	v_cvt_f32_f16_e32 v2, v5
	global_store_dword v[0:1], v2, off
.LBB6_1572:
	s_mov_b64 s[0:1], 0
.LBB6_1573:
	s_andn2_b64 vcc, exec, s[0:1]
	s_cbranch_vccnz .LBB6_1575
; %bb.1574:
	global_store_short v[0:1], v5, off
.LBB6_1575:
	s_mov_b64 s[0:1], 0
.LBB6_1576:
	s_andn2_b64 vcc, exec, s[0:1]
	s_cbranch_vccnz .LBB6_1592
; %bb.1577:
	v_cmp_gt_i16_e32 vcc, 2, v6
	s_mov_b64 s[0:1], -1
	s_cbranch_vccnz .LBB6_1587
; %bb.1578:
	v_cmp_gt_i16_e32 vcc, 3, v6
	s_cbranch_vccnz .LBB6_1584
; %bb.1579:
	v_cmp_lt_i16_e32 vcc, 3, v6
	s_cbranch_vccz .LBB6_1581
; %bb.1580:
	v_cvt_f32_f16_e32 v2, v5
	s_mov_b64 s[0:1], 0
	v_cvt_i32_f32_e32 v2, v2
	v_ashrrev_i32_e32 v3, 31, v2
	global_store_dwordx2 v[0:1], v[2:3], off
.LBB6_1581:
	s_andn2_b64 vcc, exec, s[0:1]
	s_cbranch_vccnz .LBB6_1583
; %bb.1582:
	v_cvt_f32_f16_e32 v2, v5
	v_cvt_i32_f32_e32 v2, v2
	global_store_dword v[0:1], v2, off
.LBB6_1583:
	s_mov_b64 s[0:1], 0
.LBB6_1584:
	s_andn2_b64 vcc, exec, s[0:1]
	s_cbranch_vccnz .LBB6_1586
; %bb.1585:
	v_cvt_i16_f16_e32 v2, v5
	global_store_short v[0:1], v2, off
.LBB6_1586:
	s_mov_b64 s[0:1], 0
.LBB6_1587:
	s_andn2_b64 vcc, exec, s[0:1]
	s_cbranch_vccnz .LBB6_1592
; %bb.1588:
	v_cmp_lt_i16_e32 vcc, 0, v6
	s_mov_b64 s[0:1], -1
	s_cbranch_vccz .LBB6_1590
; %bb.1589:
	v_cvt_i16_f16_e32 v2, v5
	global_store_byte v[0:1], v2, off
	s_mov_b64 s[0:1], 0
.LBB6_1590:
	s_andn2_b64 vcc, exec, s[0:1]
	s_cbranch_vccnz .LBB6_1592
; %bb.1591:
	v_cvt_f32_f16_e32 v2, v5
	v_cvt_i32_f32_e32 v2, v2
	global_store_byte v[0:1], v2, off
	s_endpgm
.LBB6_1592:
	s_endpgm
.LBB6_1593:
	s_mov_b64 s[0:1], -1
	s_mov_b64 s[10:11], 0
	s_branch .LBB6_1669
.LBB6_1594:
	s_mov_b64 s[0:1], 0
	s_branch .LBB6_1608
.LBB6_1595:
	s_mov_b64 s[0:1], 0
	s_branch .LBB6_1604
.LBB6_1596:
	s_trap 2
	s_or_b64 s[16:17], s[16:17], exec
                                        ; implicit-def: $vgpr8
	s_cbranch_execz .LBB6_1488
	s_branch .LBB6_1489
.LBB6_1597:
	s_mov_b64 s[0:1], 0
.LBB6_1598:
	s_and_b64 vcc, exec, s[18:19]
	s_cbranch_vccz .LBB6_1603
; %bb.1599:
	v_mov_b32_e32 v5, 44
	v_cmp_eq_u16_sdwa s[18:19], s15, v5 src0_sel:BYTE_0 src1_sel:DWORD
	s_mov_b64 s[0:1], -1
	s_and_b64 vcc, exec, s[18:19]
	s_cbranch_vccz .LBB6_1603
; %bb.1600:
	v_cvt_f32_f16_e32 v5, v3
	s_movk_i32 s0, 0xff
	v_mov_b32_e32 v10, 0xff
	v_bfe_u32 v9, v5, 23, 8
	v_cmp_ne_u32_e32 vcc, s0, v9
	s_and_saveexec_b64 s[10:11], vcc
; %bb.1601:
	s_mov_b32 s0, 0x3fffff
	v_lshrrev_b32_e32 v10, 23, v5
	v_and_b32_e32 v11, 0x400000, v5
	v_and_or_b32 v5, v5, s0, v9
	v_cmp_ne_u32_e32 vcc, 0, v11
	v_cmp_ne_u32_e64 s[0:1], 0, v5
	s_and_b64 s[0:1], vcc, s[0:1]
	v_cndmask_b32_e64 v5, 0, 1, s[0:1]
	v_add_u32_e32 v10, v10, v5
; %bb.1602:
	s_or_b64 exec, exec, s[10:11]
	s_mov_b64 s[0:1], 0
	s_mov_b64 s[10:11], -1
	global_store_byte v[0:1], v10, off
.LBB6_1603:
	s_mov_b64 s[18:19], 0
.LBB6_1604:
	s_and_b64 vcc, exec, s[18:19]
	s_cbranch_vccz .LBB6_1607
; %bb.1605:
	v_mov_b32_e32 v5, 29
	v_cmp_eq_u16_sdwa s[18:19], s15, v5 src0_sel:BYTE_0 src1_sel:DWORD
	s_mov_b64 s[0:1], -1
	s_and_b64 vcc, exec, s[18:19]
	s_cbranch_vccz .LBB6_1607
; %bb.1606:
	v_cvt_f32_f16_e32 v5, v3
	v_mov_b32_e32 v11, 0
	s_mov_b64 s[0:1], 0
	s_mov_b64 s[10:11], -1
	v_cvt_u32_f32_e32 v10, v5
	s_mov_b64 s[18:19], 0
	global_store_dwordx2 v[0:1], v[10:11], off
	s_branch .LBB6_1608
.LBB6_1607:
	s_mov_b64 s[18:19], 0
.LBB6_1608:
	s_and_b64 vcc, exec, s[18:19]
	s_cbranch_vccz .LBB6_1624
; %bb.1609:
	v_mov_b32_e32 v5, 27
	v_cmp_lt_i16_sdwa s[18:19], s15, v5 src0_sel:BYTE_0 src1_sel:DWORD
	s_mov_b64 s[10:11], -1
	s_and_b64 vcc, exec, s[18:19]
	s_cbranch_vccnz .LBB6_1615
; %bb.1610:
	v_cmp_gt_i16_sdwa s[18:19], s15, v5 src0_sel:BYTE_0 src1_sel:DWORD
	s_and_b64 vcc, exec, s[18:19]
	s_cbranch_vccz .LBB6_1612
; %bb.1611:
	v_cvt_f32_f16_e32 v5, v3
	s_mov_b64 s[10:11], 0
	v_cvt_u32_f32_e32 v5, v5
	global_store_dword v[0:1], v5, off
.LBB6_1612:
	s_andn2_b64 vcc, exec, s[10:11]
	s_cbranch_vccnz .LBB6_1614
; %bb.1613:
	v_cvt_u16_f16_e32 v5, v3
	global_store_short v[0:1], v5, off
.LBB6_1614:
	s_mov_b64 s[10:11], 0
.LBB6_1615:
	s_andn2_b64 vcc, exec, s[10:11]
	s_cbranch_vccnz .LBB6_1623
; %bb.1616:
	v_cvt_f32_f16_e32 v5, v3
	s_mov_b32 s10, 0x43800000
	v_mov_b32_e32 v10, 0x80
	v_and_b32_e32 v9, 0x7fffffff, v5
	v_cmp_gt_u32_e32 vcc, s10, v9
	s_and_saveexec_b64 s[10:11], vcc
	s_cbranch_execz .LBB6_1622
; %bb.1617:
	s_mov_b32 s13, 0x3bffffff
	v_cmp_lt_u32_e32 vcc, s13, v9
	s_mov_b64 s[18:19], 0
                                        ; implicit-def: $vgpr9
	s_and_saveexec_b64 s[20:21], vcc
	s_xor_b64 s[20:21], exec, s[20:21]
	s_cbranch_execz .LBB6_1718
; %bb.1618:
	v_bfe_u32 v9, v5, 20, 1
	s_mov_b32 s13, 0x487ffff
	v_add3_u32 v9, v5, v9, s13
	s_mov_b64 s[18:19], exec
	v_lshrrev_b32_e32 v9, 20, v9
	s_or_saveexec_b64 s[20:21], s[20:21]
                                        ; implicit-def: $sgpr13
	s_xor_b64 exec, exec, s[20:21]
	s_cbranch_execnz .LBB6_1719
.LBB6_1619:
	s_or_b64 exec, exec, s[20:21]
	v_mov_b32_e32 v10, s13
	s_and_saveexec_b64 s[20:21], s[18:19]
.LBB6_1620:
	v_lshrrev_b32_e32 v5, 24, v5
	s_movk_i32 s13, 0x80
	v_and_or_b32 v10, v5, s13, v9
.LBB6_1621:
	s_or_b64 exec, exec, s[20:21]
.LBB6_1622:
	s_or_b64 exec, exec, s[10:11]
	global_store_byte v[0:1], v10, off
.LBB6_1623:
	s_mov_b64 s[10:11], -1
.LBB6_1624:
	s_mov_b64 s[18:19], 0
.LBB6_1625:
	s_and_b64 vcc, exec, s[18:19]
	s_cbranch_vccz .LBB6_1665
; %bb.1626:
	v_mov_b32_e32 v5, 22
	v_cmp_gt_i16_sdwa s[18:19], s15, v5 src0_sel:BYTE_0 src1_sel:DWORD
	s_mov_b64 s[2:3], -1
	s_and_b64 vcc, exec, s[18:19]
	s_cbranch_vccz .LBB6_1658
; %bb.1627:
	v_mov_b32_e32 v5, 24
	v_cmp_lt_i16_sdwa s[10:11], s15, v5 src0_sel:BYTE_0 src1_sel:DWORD
	s_and_b64 vcc, exec, s[10:11]
	s_cbranch_vccnz .LBB6_1647
; %bb.1628:
	v_cmp_gt_i16_sdwa s[10:11], s15, v5 src0_sel:BYTE_0 src1_sel:DWORD
	s_and_b64 vcc, exec, s[10:11]
	s_cbranch_vccz .LBB6_1636
; %bb.1629:
	v_cvt_f32_f16_e32 v5, v3
	s_mov_b32 s2, 0x47800000
	v_mov_b32_e32 v10, 0x80
	v_and_b32_e32 v9, 0x7fffffff, v5
	v_cmp_gt_u32_e32 vcc, s2, v9
	s_and_saveexec_b64 s[2:3], vcc
	s_cbranch_execz .LBB6_1635
; %bb.1630:
	s_mov_b32 s10, 0x37ffffff
	v_cmp_lt_u32_e32 vcc, s10, v9
	s_mov_b64 s[10:11], 0
                                        ; implicit-def: $vgpr9
	s_and_saveexec_b64 s[18:19], vcc
	s_xor_b64 s[18:19], exec, s[18:19]
	s_cbranch_execz .LBB6_1722
; %bb.1631:
	v_bfe_u32 v9, v5, 21, 1
	s_mov_b32 s13, 0x88fffff
	v_add3_u32 v9, v5, v9, s13
	s_mov_b64 s[10:11], exec
	v_lshrrev_b32_e32 v9, 21, v9
	s_or_saveexec_b64 s[18:19], s[18:19]
                                        ; implicit-def: $sgpr13
	s_xor_b64 exec, exec, s[18:19]
	s_cbranch_execnz .LBB6_1723
.LBB6_1632:
	s_or_b64 exec, exec, s[18:19]
	v_mov_b32_e32 v10, s13
	s_and_saveexec_b64 s[18:19], s[10:11]
.LBB6_1633:
	v_lshrrev_b32_e32 v5, 24, v5
	s_movk_i32 s10, 0x80
	v_and_or_b32 v10, v5, s10, v9
.LBB6_1634:
	s_or_b64 exec, exec, s[18:19]
.LBB6_1635:
	s_or_b64 exec, exec, s[2:3]
	s_mov_b64 s[2:3], 0
	global_store_byte v[0:1], v10, off
.LBB6_1636:
	s_and_b64 vcc, exec, s[2:3]
	s_cbranch_vccz .LBB6_1646
; %bb.1637:
	v_cvt_f32_f16_e32 v5, v3
	s_mov_b32 s2, 0x43f00000
                                        ; implicit-def: $vgpr9
	v_and_b32_e32 v10, 0x7fffffff, v5
	v_cmp_gt_u32_e32 vcc, s2, v10
	s_and_saveexec_b64 s[2:3], vcc
	s_xor_b64 s[2:3], exec, s[2:3]
	s_cbranch_execz .LBB6_1643
; %bb.1638:
	s_mov_b32 s10, 0x3c7fffff
	v_cmp_lt_u32_e32 vcc, s10, v10
                                        ; implicit-def: $vgpr9
	s_and_saveexec_b64 s[10:11], vcc
	s_xor_b64 s[10:11], exec, s[10:11]
; %bb.1639:
	v_bfe_u32 v9, v5, 20, 1
	s_mov_b32 s13, 0x407ffff
	v_add3_u32 v9, v5, v9, s13
	v_lshrrev_b32_e32 v10, 20, v9
	v_and_b32_e32 v9, 0xff00000, v9
	s_mov_b32 s13, 0x7f00000
	v_mov_b32_e32 v11, 0x7e
	v_cmp_ne_u32_e32 vcc, s13, v9
	v_cndmask_b32_e32 v9, v11, v10, vcc
; %bb.1640:
	s_andn2_saveexec_b64 s[10:11], s[10:11]
; %bb.1641:
	s_mov_b32 s13, 0x46800000
	v_add_f32_e64 v9, |v5|, s13
; %bb.1642:
	s_or_b64 exec, exec, s[10:11]
                                        ; implicit-def: $vgpr10
.LBB6_1643:
	s_andn2_saveexec_b64 s[2:3], s[2:3]
; %bb.1644:
	s_mov_b32 s10, 0x7f800000
	v_mov_b32_e32 v9, 0x7e
	v_mov_b32_e32 v11, 0x7f
	v_cmp_lt_u32_e32 vcc, s10, v10
	v_cndmask_b32_e32 v9, v9, v11, vcc
; %bb.1645:
	s_or_b64 exec, exec, s[2:3]
	v_lshrrev_b32_e32 v5, 24, v5
	s_movk_i32 s2, 0x80
	v_and_or_b32 v5, v5, s2, v9
	global_store_byte v[0:1], v5, off
.LBB6_1646:
	s_mov_b64 s[2:3], 0
.LBB6_1647:
	s_andn2_b64 vcc, exec, s[2:3]
	s_cbranch_vccnz .LBB6_1657
; %bb.1648:
	v_cvt_f32_f16_e32 v5, v3
	s_mov_b32 s2, 0x47800000
                                        ; implicit-def: $vgpr9
	v_and_b32_e32 v10, 0x7fffffff, v5
	v_cmp_gt_u32_e32 vcc, s2, v10
	s_and_saveexec_b64 s[2:3], vcc
	s_xor_b64 s[2:3], exec, s[2:3]
	s_cbranch_execz .LBB6_1654
; %bb.1649:
	s_mov_b32 s10, 0x387fffff
	v_cmp_lt_u32_e32 vcc, s10, v10
                                        ; implicit-def: $vgpr9
	s_and_saveexec_b64 s[10:11], vcc
	s_xor_b64 s[10:11], exec, s[10:11]
; %bb.1650:
	v_bfe_u32 v9, v5, 21, 1
	s_mov_b32 s13, 0x80fffff
	v_add3_u32 v9, v5, v9, s13
	v_lshrrev_b32_e32 v9, 21, v9
; %bb.1651:
	s_andn2_saveexec_b64 s[10:11], s[10:11]
; %bb.1652:
	s_mov_b32 s13, 0x43000000
	v_add_f32_e64 v9, |v5|, s13
; %bb.1653:
	s_or_b64 exec, exec, s[10:11]
                                        ; implicit-def: $vgpr10
.LBB6_1654:
	s_andn2_saveexec_b64 s[2:3], s[2:3]
; %bb.1655:
	s_mov_b32 s10, 0x7f800000
	v_mov_b32_e32 v9, 0x7c
	v_mov_b32_e32 v11, 0x7f
	v_cmp_lt_u32_e32 vcc, s10, v10
	v_cndmask_b32_e32 v9, v9, v11, vcc
; %bb.1656:
	s_or_b64 exec, exec, s[2:3]
	v_lshrrev_b32_e32 v5, 24, v5
	s_movk_i32 s2, 0x80
	v_and_or_b32 v5, v5, s2, v9
	global_store_byte v[0:1], v5, off
.LBB6_1657:
	s_mov_b64 s[2:3], 0
	s_mov_b64 s[10:11], -1
.LBB6_1658:
	s_andn2_b64 vcc, exec, s[2:3]
	s_mov_b64 s[2:3], 0
	s_cbranch_vccnz .LBB6_1665
; %bb.1659:
	v_mov_b32_e32 v5, 14
	v_cmp_gt_i16_sdwa s[2:3], s15, v5 src0_sel:BYTE_0 src1_sel:DWORD
	s_mov_b64 s[18:19], -1
	s_and_b64 vcc, exec, s[2:3]
	s_cbranch_vccz .LBB6_1663
; %bb.1660:
	v_mov_b32_e32 v5, 15
	v_cmp_eq_u16_sdwa s[2:3], s15, v5 src0_sel:BYTE_0 src1_sel:DWORD
	s_mov_b64 s[0:1], -1
	s_and_b64 vcc, exec, s[2:3]
	s_cbranch_vccz .LBB6_1662
; %bb.1661:
	v_cvt_f32_f16_e32 v5, v3
	s_movk_i32 s0, 0x7fff
	v_mov_b32_e32 v9, 0x7fc0
	v_cmp_o_f16_e32 vcc, v3, v3
	v_bfe_u32 v10, v5, 16, 1
	v_add3_u32 v5, v5, v10, s0
	v_lshrrev_b32_e32 v5, 16, v5
	v_cndmask_b32_e32 v5, v9, v5, vcc
	global_store_short v[0:1], v5, off
	s_mov_b64 s[0:1], 0
	s_mov_b64 s[10:11], -1
.LBB6_1662:
	s_mov_b64 s[18:19], 0
.LBB6_1663:
	s_mov_b64 s[2:3], 0
	s_and_b64 vcc, exec, s[18:19]
	s_cbranch_vccz .LBB6_1665
; %bb.1664:
	v_mov_b32_e32 v5, 11
	v_cmp_ne_u16_sdwa s[0:1], s15, v5 src0_sel:BYTE_0 src1_sel:DWORD
	s_mov_b64 s[2:3], -1
.LBB6_1665:
	s_and_b64 vcc, exec, s[0:1]
	s_cbranch_vccnz .LBB6_1721
; %bb.1666:
	s_andn2_b64 vcc, exec, s[2:3]
	s_cbranch_vccnz .LBB6_1668
.LBB6_1667:
	v_cmp_ne_u16_e32 vcc, 0, v4
	v_cndmask_b32_e64 v5, 0, 1, vcc
	s_mov_b64 s[10:11], -1
	global_store_byte v[0:1], v5, off
.LBB6_1668:
	s_mov_b64 s[0:1], 0
.LBB6_1669:
	s_and_b64 vcc, exec, s[0:1]
	s_cbranch_vccz .LBB6_1708
; %bb.1670:
	v_mov_b32_e32 v5, 5
	v_cmp_lt_i16_sdwa s[2:3], s15, v5 src0_sel:BYTE_0 src1_sel:DWORD
	s_mov_b64 s[0:1], -1
	s_and_b64 vcc, exec, s[2:3]
	s_cbranch_vccnz .LBB6_1691
; %bb.1671:
	v_mov_b32_e32 v5, 8
	v_cmp_lt_i16_sdwa s[2:3], s15, v5 src0_sel:BYTE_0 src1_sel:DWORD
	s_and_b64 vcc, exec, s[2:3]
	s_cbranch_vccnz .LBB6_1681
; %bb.1672:
	v_mov_b32_e32 v5, 9
	v_cmp_lt_i16_sdwa s[2:3], s15, v5 src0_sel:BYTE_0 src1_sel:DWORD
	s_and_b64 vcc, exec, s[2:3]
	s_cbranch_vccnz .LBB6_1678
; %bb.1673:
	v_cmp_gt_i16_sdwa s[2:3], s15, v5 src0_sel:BYTE_0 src1_sel:DWORD
	s_and_b64 vcc, exec, s[2:3]
	s_cbranch_vccz .LBB6_1675
; %bb.1674:
	v_cvt_f32_f16_e32 v5, v3
	v_mov_b32_e32 v12, 0
	v_mov_b32_e32 v13, v12
	s_mov_b64 s[0:1], 0
	v_cvt_f64_f32_e32 v[10:11], v5
	global_store_dwordx4 v[0:1], v[10:13], off
.LBB6_1675:
	s_andn2_b64 vcc, exec, s[0:1]
	s_cbranch_vccnz .LBB6_1677
; %bb.1676:
	v_cvt_f32_f16_e32 v10, v3
	v_mov_b32_e32 v11, 0
	global_store_dwordx2 v[0:1], v[10:11], off
.LBB6_1677:
	s_mov_b64 s[0:1], 0
.LBB6_1678:
	s_andn2_b64 vcc, exec, s[0:1]
	s_cbranch_vccnz .LBB6_1680
; %bb.1679:
	v_and_b32_e32 v5, 0xffff, v3
	global_store_dword v[0:1], v5, off
.LBB6_1680:
	s_mov_b64 s[0:1], 0
.LBB6_1681:
	s_andn2_b64 vcc, exec, s[0:1]
	s_cbranch_vccnz .LBB6_1690
; %bb.1682:
	v_mov_b32_e32 v5, 6
	v_cmp_lt_i16_sdwa s[2:3], s15, v5 src0_sel:BYTE_0 src1_sel:DWORD
	s_mov_b64 s[0:1], -1
	s_and_b64 vcc, exec, s[2:3]
	s_cbranch_vccnz .LBB6_1688
; %bb.1683:
	v_cmp_gt_i16_sdwa s[2:3], s15, v5 src0_sel:BYTE_0 src1_sel:DWORD
	s_and_b64 vcc, exec, s[2:3]
	s_cbranch_vccz .LBB6_1685
; %bb.1684:
	v_cvt_f32_f16_e32 v5, v3
	s_mov_b64 s[0:1], 0
	v_cvt_f64_f32_e32 v[10:11], v5
	global_store_dwordx2 v[0:1], v[10:11], off
.LBB6_1685:
	s_andn2_b64 vcc, exec, s[0:1]
	s_cbranch_vccnz .LBB6_1687
; %bb.1686:
	v_cvt_f32_f16_e32 v5, v3
	global_store_dword v[0:1], v5, off
.LBB6_1687:
	s_mov_b64 s[0:1], 0
.LBB6_1688:
	s_andn2_b64 vcc, exec, s[0:1]
	s_cbranch_vccnz .LBB6_1690
; %bb.1689:
	global_store_short v[0:1], v3, off
.LBB6_1690:
	s_mov_b64 s[0:1], 0
.LBB6_1691:
	s_andn2_b64 vcc, exec, s[0:1]
	s_cbranch_vccnz .LBB6_1707
; %bb.1692:
	v_mov_b32_e32 v5, 2
	v_cmp_lt_i16_sdwa s[2:3], s15, v5 src0_sel:BYTE_0 src1_sel:DWORD
	s_mov_b64 s[0:1], -1
	s_and_b64 vcc, exec, s[2:3]
	s_cbranch_vccnz .LBB6_1702
; %bb.1693:
	v_mov_b32_e32 v5, 3
	v_cmp_lt_i16_sdwa s[2:3], s15, v5 src0_sel:BYTE_0 src1_sel:DWORD
	s_and_b64 vcc, exec, s[2:3]
	s_cbranch_vccnz .LBB6_1699
; %bb.1694:
	v_cmp_gt_i16_sdwa s[2:3], s15, v5 src0_sel:BYTE_0 src1_sel:DWORD
	s_and_b64 vcc, exec, s[2:3]
	s_cbranch_vccz .LBB6_1696
; %bb.1695:
	v_cvt_f32_f16_e32 v5, v3
	s_mov_b64 s[0:1], 0
	v_cvt_i32_f32_e32 v10, v5
	v_ashrrev_i32_e32 v11, 31, v10
	global_store_dwordx2 v[0:1], v[10:11], off
.LBB6_1696:
	s_andn2_b64 vcc, exec, s[0:1]
	s_cbranch_vccnz .LBB6_1698
; %bb.1697:
	v_cvt_f32_f16_e32 v5, v3
	v_cvt_i32_f32_e32 v5, v5
	global_store_dword v[0:1], v5, off
.LBB6_1698:
	s_mov_b64 s[0:1], 0
.LBB6_1699:
	s_andn2_b64 vcc, exec, s[0:1]
	s_cbranch_vccnz .LBB6_1701
; %bb.1700:
	v_cvt_i16_f16_e32 v5, v3
	global_store_short v[0:1], v5, off
.LBB6_1701:
	s_mov_b64 s[0:1], 0
.LBB6_1702:
	s_andn2_b64 vcc, exec, s[0:1]
	s_cbranch_vccnz .LBB6_1707
; %bb.1703:
	v_mov_b32_e32 v5, 0
	v_cmp_gt_i16_sdwa s[2:3], s15, v5 src0_sel:BYTE_0 src1_sel:DWORD
	s_mov_b64 s[0:1], -1
	s_and_b64 vcc, exec, s[2:3]
	s_cbranch_vccz .LBB6_1705
; %bb.1704:
	v_cvt_i16_f16_e32 v5, v3
	global_store_byte v[0:1], v5, off
	s_mov_b64 s[0:1], 0
.LBB6_1705:
	s_andn2_b64 vcc, exec, s[0:1]
	s_cbranch_vccnz .LBB6_1707
; %bb.1706:
	v_cvt_f32_f16_e32 v3, v3
	v_cvt_i32_f32_e32 v3, v3
	global_store_byte v[0:1], v3, off
.LBB6_1707:
	s_mov_b64 s[10:11], -1
.LBB6_1708:
	s_andn2_b64 vcc, exec, s[10:11]
	s_cbranch_vccnz .LBB6_2039
; %bb.1709:
	s_lshl_b32 s14, s12, 7
	s_waitcnt vmcnt(0)
	v_and_b32_e32 v0, 0xffff8000, v6
	v_add_u32_e32 v2, s14, v2
	v_or_b32_e32 v3, v0, v4
	v_ashrrev_i32_e32 v1, 31, v2
	v_mov_b32_e32 v5, s9
	v_add_co_u32_e32 v0, vcc, s8, v2
	v_addc_co_u32_e32 v1, vcc, v5, v1, vcc
	v_mov_b32_e32 v5, 11
	v_cmp_lt_i16_sdwa s[0:1], s15, v5 src0_sel:BYTE_0 src1_sel:DWORD
	s_and_b64 vcc, exec, s[0:1]
	s_cbranch_vccnz .LBB6_1716
; %bb.1710:
	v_mov_b32_e32 v5, 25
	v_cmp_gt_i16_sdwa s[0:1], s15, v5 src0_sel:BYTE_0 src1_sel:DWORD
	s_mov_b64 s[12:13], -1
	s_mov_b64 s[2:3], 0
	s_and_b64 vcc, exec, s[0:1]
	s_mov_b64 s[10:11], 0
	s_mov_b64 s[0:1], 0
	s_cbranch_vccz .LBB6_1752
; %bb.1711:
	v_mov_b32_e32 v5, 28
	v_cmp_gt_i16_sdwa s[0:1], s15, v5 src0_sel:BYTE_0 src1_sel:DWORD
	s_and_b64 vcc, exec, s[0:1]
	s_cbranch_vccz .LBB6_1717
; %bb.1712:
	v_mov_b32_e32 v5, 43
	v_cmp_gt_i16_sdwa s[0:1], s15, v5 src0_sel:BYTE_0 src1_sel:DWORD
	s_and_b64 vcc, exec, s[0:1]
	;; [unrolled: 5-line block ×3, first 2 shown]
	s_cbranch_vccz .LBB6_1724
; %bb.1714:
	v_mov_b32_e32 v5, 46
	v_cmp_eq_u16_sdwa s[10:11], s15, v5 src0_sel:BYTE_0 src1_sel:DWORD
	s_mov_b64 s[0:1], -1
	s_mov_b64 s[12:13], 0
	s_and_b64 vcc, exec, s[10:11]
	s_mov_b64 s[10:11], 0
	s_cbranch_vccz .LBB6_1725
; %bb.1715:
	v_cvt_f32_f16_e32 v5, v3
	s_movk_i32 s0, 0x7fff
	v_mov_b32_e32 v6, 0x7fc0
	v_cmp_o_f16_e32 vcc, v3, v3
	v_bfe_u32 v9, v5, 16, 1
	v_add3_u32 v5, v5, v9, s0
	v_lshrrev_b32_e32 v5, 16, v5
	v_cndmask_b32_e32 v5, v6, v5, vcc
	global_store_dword v[0:1], v5, off
	s_mov_b64 s[0:1], 0
	s_mov_b64 s[10:11], -1
	s_branch .LBB6_1725
.LBB6_1716:
	s_mov_b64 s[0:1], -1
	s_mov_b64 s[10:11], 0
	s_branch .LBB6_1796
.LBB6_1717:
	s_mov_b64 s[0:1], 0
	s_branch .LBB6_1735
.LBB6_1718:
	s_or_saveexec_b64 s[20:21], s[20:21]
                                        ; implicit-def: $sgpr13
	s_xor_b64 exec, exec, s[20:21]
	s_cbranch_execz .LBB6_1619
.LBB6_1719:
	s_mov_b32 s13, 0x46000000
	v_add_f32_e64 v9, |v5|, s13
	v_and_b32_e32 v9, 0xff, v9
	v_cmp_ne_u32_e32 vcc, 0, v9
	s_andn2_b64 s[18:19], s[18:19], exec
	s_and_b64 s[22:23], vcc, exec
	s_mov_b32 s13, 0
	s_or_b64 s[18:19], s[18:19], s[22:23]
	s_or_b64 exec, exec, s[20:21]
	v_mov_b32_e32 v10, s13
	s_and_saveexec_b64 s[20:21], s[18:19]
	s_cbranch_execnz .LBB6_1620
	s_branch .LBB6_1621
.LBB6_1720:
	s_mov_b64 s[0:1], 0
	s_branch .LBB6_1731
.LBB6_1721:
	s_trap 2
	s_or_b64 s[16:17], s[16:17], exec
	s_cbranch_execz .LBB6_1667
	s_branch .LBB6_1668
.LBB6_1722:
	s_or_saveexec_b64 s[18:19], s[18:19]
                                        ; implicit-def: $sgpr13
	s_xor_b64 exec, exec, s[18:19]
	s_cbranch_execz .LBB6_1632
.LBB6_1723:
	s_mov_b32 s13, 0x42800000
	v_add_f32_e64 v9, |v5|, s13
	v_and_b32_e32 v9, 0xff, v9
	v_cmp_ne_u32_e32 vcc, 0, v9
	s_andn2_b64 s[10:11], s[10:11], exec
	s_and_b64 s[20:21], vcc, exec
	s_mov_b32 s13, 0
	s_or_b64 s[10:11], s[10:11], s[20:21]
	s_or_b64 exec, exec, s[18:19]
	v_mov_b32_e32 v10, s13
	s_and_saveexec_b64 s[18:19], s[10:11]
	s_cbranch_execnz .LBB6_1633
	s_branch .LBB6_1634
.LBB6_1724:
	s_mov_b64 s[0:1], 0
.LBB6_1725:
	s_and_b64 vcc, exec, s[12:13]
	s_cbranch_vccz .LBB6_1730
; %bb.1726:
	v_mov_b32_e32 v5, 44
	v_cmp_eq_u16_sdwa s[12:13], s15, v5 src0_sel:BYTE_0 src1_sel:DWORD
	s_mov_b64 s[0:1], -1
	s_and_b64 vcc, exec, s[12:13]
	s_cbranch_vccz .LBB6_1730
; %bb.1727:
	v_cvt_f32_f16_e32 v5, v3
	s_movk_i32 s0, 0xff
	v_mov_b32_e32 v9, 0xff
	v_bfe_u32 v6, v5, 23, 8
	v_cmp_ne_u32_e32 vcc, s0, v6
	s_and_saveexec_b64 s[10:11], vcc
; %bb.1728:
	s_mov_b32 s0, 0x3fffff
	v_lshrrev_b32_e32 v9, 23, v5
	v_and_b32_e32 v10, 0x400000, v5
	v_and_or_b32 v5, v5, s0, v6
	v_cmp_ne_u32_e32 vcc, 0, v10
	v_cmp_ne_u32_e64 s[0:1], 0, v5
	s_and_b64 s[0:1], vcc, s[0:1]
	v_cndmask_b32_e64 v5, 0, 1, s[0:1]
	v_add_u32_e32 v9, v9, v5
; %bb.1729:
	s_or_b64 exec, exec, s[10:11]
	s_mov_b64 s[0:1], 0
	s_mov_b64 s[10:11], -1
	global_store_byte v[0:1], v9, off
.LBB6_1730:
	s_mov_b64 s[12:13], 0
.LBB6_1731:
	s_and_b64 vcc, exec, s[12:13]
	s_cbranch_vccz .LBB6_1734
; %bb.1732:
	v_mov_b32_e32 v5, 29
	v_cmp_eq_u16_sdwa s[12:13], s15, v5 src0_sel:BYTE_0 src1_sel:DWORD
	s_mov_b64 s[0:1], -1
	s_and_b64 vcc, exec, s[12:13]
	s_cbranch_vccz .LBB6_1734
; %bb.1733:
	v_cvt_f32_f16_e32 v5, v3
	v_mov_b32_e32 v11, 0
	s_mov_b64 s[0:1], 0
	s_mov_b64 s[10:11], -1
	v_cvt_u32_f32_e32 v10, v5
	s_mov_b64 s[12:13], 0
	global_store_dwordx2 v[0:1], v[10:11], off
	s_branch .LBB6_1735
.LBB6_1734:
	s_mov_b64 s[12:13], 0
.LBB6_1735:
	s_and_b64 vcc, exec, s[12:13]
	s_cbranch_vccz .LBB6_1751
; %bb.1736:
	v_mov_b32_e32 v5, 27
	v_cmp_lt_i16_sdwa s[12:13], s15, v5 src0_sel:BYTE_0 src1_sel:DWORD
	s_mov_b64 s[10:11], -1
	s_and_b64 vcc, exec, s[12:13]
	s_cbranch_vccnz .LBB6_1742
; %bb.1737:
	v_cmp_gt_i16_sdwa s[12:13], s15, v5 src0_sel:BYTE_0 src1_sel:DWORD
	s_and_b64 vcc, exec, s[12:13]
	s_cbranch_vccz .LBB6_1739
; %bb.1738:
	v_cvt_f32_f16_e32 v5, v3
	s_mov_b64 s[10:11], 0
	v_cvt_u32_f32_e32 v5, v5
	global_store_dword v[0:1], v5, off
.LBB6_1739:
	s_andn2_b64 vcc, exec, s[10:11]
	s_cbranch_vccnz .LBB6_1741
; %bb.1740:
	v_cvt_u16_f16_e32 v5, v3
	global_store_short v[0:1], v5, off
.LBB6_1741:
	s_mov_b64 s[10:11], 0
.LBB6_1742:
	s_andn2_b64 vcc, exec, s[10:11]
	s_cbranch_vccnz .LBB6_1750
; %bb.1743:
	v_cvt_f32_f16_e32 v5, v3
	s_mov_b32 s10, 0x43800000
	v_mov_b32_e32 v9, 0x80
	v_and_b32_e32 v6, 0x7fffffff, v5
	v_cmp_gt_u32_e32 vcc, s10, v6
	s_and_saveexec_b64 s[10:11], vcc
	s_cbranch_execz .LBB6_1749
; %bb.1744:
	s_mov_b32 s12, 0x3bffffff
	v_cmp_lt_u32_e32 vcc, s12, v6
	s_mov_b64 s[12:13], 0
                                        ; implicit-def: $vgpr6
	s_and_saveexec_b64 s[18:19], vcc
	s_xor_b64 s[18:19], exec, s[18:19]
	s_cbranch_execz .LBB6_1845
; %bb.1745:
	v_bfe_u32 v6, v5, 20, 1
	s_mov_b32 s20, 0x487ffff
	v_add3_u32 v6, v5, v6, s20
	s_mov_b64 s[12:13], exec
	v_lshrrev_b32_e32 v6, 20, v6
	s_or_saveexec_b64 s[18:19], s[18:19]
                                        ; implicit-def: $sgpr20
	s_xor_b64 exec, exec, s[18:19]
	s_cbranch_execnz .LBB6_1846
.LBB6_1746:
	s_or_b64 exec, exec, s[18:19]
	v_mov_b32_e32 v9, s20
	s_and_saveexec_b64 s[18:19], s[12:13]
.LBB6_1747:
	v_lshrrev_b32_e32 v5, 24, v5
	s_movk_i32 s12, 0x80
	v_and_or_b32 v9, v5, s12, v6
.LBB6_1748:
	s_or_b64 exec, exec, s[18:19]
.LBB6_1749:
	s_or_b64 exec, exec, s[10:11]
	global_store_byte v[0:1], v9, off
.LBB6_1750:
	s_mov_b64 s[10:11], -1
.LBB6_1751:
	s_mov_b64 s[12:13], 0
.LBB6_1752:
	s_and_b64 vcc, exec, s[12:13]
	s_cbranch_vccz .LBB6_1792
; %bb.1753:
	v_mov_b32_e32 v5, 22
	v_cmp_gt_i16_sdwa s[12:13], s15, v5 src0_sel:BYTE_0 src1_sel:DWORD
	s_mov_b64 s[2:3], -1
	s_and_b64 vcc, exec, s[12:13]
	s_cbranch_vccz .LBB6_1785
; %bb.1754:
	v_mov_b32_e32 v5, 24
	v_cmp_lt_i16_sdwa s[10:11], s15, v5 src0_sel:BYTE_0 src1_sel:DWORD
	s_and_b64 vcc, exec, s[10:11]
	s_cbranch_vccnz .LBB6_1774
; %bb.1755:
	v_cmp_gt_i16_sdwa s[10:11], s15, v5 src0_sel:BYTE_0 src1_sel:DWORD
	s_and_b64 vcc, exec, s[10:11]
	s_cbranch_vccz .LBB6_1763
; %bb.1756:
	v_cvt_f32_f16_e32 v5, v3
	s_mov_b32 s2, 0x47800000
	v_mov_b32_e32 v9, 0x80
	v_and_b32_e32 v6, 0x7fffffff, v5
	v_cmp_gt_u32_e32 vcc, s2, v6
	s_and_saveexec_b64 s[2:3], vcc
	s_cbranch_execz .LBB6_1762
; %bb.1757:
	s_mov_b32 s10, 0x37ffffff
	v_cmp_lt_u32_e32 vcc, s10, v6
	s_mov_b64 s[10:11], 0
                                        ; implicit-def: $vgpr6
	s_and_saveexec_b64 s[12:13], vcc
	s_xor_b64 s[12:13], exec, s[12:13]
	s_cbranch_execz .LBB6_1849
; %bb.1758:
	v_bfe_u32 v6, v5, 21, 1
	s_mov_b32 s18, 0x88fffff
	v_add3_u32 v6, v5, v6, s18
	s_mov_b64 s[10:11], exec
	v_lshrrev_b32_e32 v6, 21, v6
	s_or_saveexec_b64 s[12:13], s[12:13]
                                        ; implicit-def: $sgpr18
	s_xor_b64 exec, exec, s[12:13]
	s_cbranch_execnz .LBB6_1850
.LBB6_1759:
	s_or_b64 exec, exec, s[12:13]
	v_mov_b32_e32 v9, s18
	s_and_saveexec_b64 s[12:13], s[10:11]
.LBB6_1760:
	v_lshrrev_b32_e32 v5, 24, v5
	s_movk_i32 s10, 0x80
	v_and_or_b32 v9, v5, s10, v6
.LBB6_1761:
	s_or_b64 exec, exec, s[12:13]
.LBB6_1762:
	s_or_b64 exec, exec, s[2:3]
	s_mov_b64 s[2:3], 0
	global_store_byte v[0:1], v9, off
.LBB6_1763:
	s_and_b64 vcc, exec, s[2:3]
	s_cbranch_vccz .LBB6_1773
; %bb.1764:
	v_cvt_f32_f16_e32 v5, v3
	s_mov_b32 s2, 0x43f00000
                                        ; implicit-def: $vgpr6
	v_and_b32_e32 v9, 0x7fffffff, v5
	v_cmp_gt_u32_e32 vcc, s2, v9
	s_and_saveexec_b64 s[2:3], vcc
	s_xor_b64 s[2:3], exec, s[2:3]
	s_cbranch_execz .LBB6_1770
; %bb.1765:
	s_mov_b32 s10, 0x3c7fffff
	v_cmp_lt_u32_e32 vcc, s10, v9
                                        ; implicit-def: $vgpr6
	s_and_saveexec_b64 s[10:11], vcc
	s_xor_b64 s[10:11], exec, s[10:11]
; %bb.1766:
	v_bfe_u32 v6, v5, 20, 1
	s_mov_b32 s12, 0x407ffff
	v_add3_u32 v6, v5, v6, s12
	v_lshrrev_b32_e32 v9, 20, v6
	v_and_b32_e32 v6, 0xff00000, v6
	s_mov_b32 s12, 0x7f00000
	v_mov_b32_e32 v10, 0x7e
	v_cmp_ne_u32_e32 vcc, s12, v6
	v_cndmask_b32_e32 v6, v10, v9, vcc
; %bb.1767:
	s_andn2_saveexec_b64 s[10:11], s[10:11]
; %bb.1768:
	s_mov_b32 s12, 0x46800000
	v_add_f32_e64 v6, |v5|, s12
; %bb.1769:
	s_or_b64 exec, exec, s[10:11]
                                        ; implicit-def: $vgpr9
.LBB6_1770:
	s_andn2_saveexec_b64 s[2:3], s[2:3]
; %bb.1771:
	s_mov_b32 s10, 0x7f800000
	v_mov_b32_e32 v6, 0x7e
	v_mov_b32_e32 v10, 0x7f
	v_cmp_lt_u32_e32 vcc, s10, v9
	v_cndmask_b32_e32 v6, v6, v10, vcc
; %bb.1772:
	s_or_b64 exec, exec, s[2:3]
	v_lshrrev_b32_e32 v5, 24, v5
	s_movk_i32 s2, 0x80
	v_and_or_b32 v5, v5, s2, v6
	global_store_byte v[0:1], v5, off
.LBB6_1773:
	s_mov_b64 s[2:3], 0
.LBB6_1774:
	s_andn2_b64 vcc, exec, s[2:3]
	s_cbranch_vccnz .LBB6_1784
; %bb.1775:
	v_cvt_f32_f16_e32 v5, v3
	s_mov_b32 s2, 0x47800000
                                        ; implicit-def: $vgpr6
	v_and_b32_e32 v9, 0x7fffffff, v5
	v_cmp_gt_u32_e32 vcc, s2, v9
	s_and_saveexec_b64 s[2:3], vcc
	s_xor_b64 s[2:3], exec, s[2:3]
	s_cbranch_execz .LBB6_1781
; %bb.1776:
	s_mov_b32 s10, 0x387fffff
	v_cmp_lt_u32_e32 vcc, s10, v9
                                        ; implicit-def: $vgpr6
	s_and_saveexec_b64 s[10:11], vcc
	s_xor_b64 s[10:11], exec, s[10:11]
; %bb.1777:
	v_bfe_u32 v6, v5, 21, 1
	s_mov_b32 s12, 0x80fffff
	v_add3_u32 v6, v5, v6, s12
	v_lshrrev_b32_e32 v6, 21, v6
; %bb.1778:
	s_andn2_saveexec_b64 s[10:11], s[10:11]
; %bb.1779:
	s_mov_b32 s12, 0x43000000
	v_add_f32_e64 v6, |v5|, s12
; %bb.1780:
	s_or_b64 exec, exec, s[10:11]
                                        ; implicit-def: $vgpr9
.LBB6_1781:
	s_andn2_saveexec_b64 s[2:3], s[2:3]
; %bb.1782:
	s_mov_b32 s10, 0x7f800000
	v_mov_b32_e32 v6, 0x7c
	v_mov_b32_e32 v10, 0x7f
	v_cmp_lt_u32_e32 vcc, s10, v9
	v_cndmask_b32_e32 v6, v6, v10, vcc
; %bb.1783:
	s_or_b64 exec, exec, s[2:3]
	v_lshrrev_b32_e32 v5, 24, v5
	s_movk_i32 s2, 0x80
	v_and_or_b32 v5, v5, s2, v6
	global_store_byte v[0:1], v5, off
.LBB6_1784:
	s_mov_b64 s[2:3], 0
	s_mov_b64 s[10:11], -1
.LBB6_1785:
	s_andn2_b64 vcc, exec, s[2:3]
	s_mov_b64 s[2:3], 0
	s_cbranch_vccnz .LBB6_1792
; %bb.1786:
	v_mov_b32_e32 v5, 14
	v_cmp_gt_i16_sdwa s[2:3], s15, v5 src0_sel:BYTE_0 src1_sel:DWORD
	s_mov_b64 s[12:13], -1
	s_and_b64 vcc, exec, s[2:3]
	s_cbranch_vccz .LBB6_1790
; %bb.1787:
	v_mov_b32_e32 v5, 15
	v_cmp_eq_u16_sdwa s[2:3], s15, v5 src0_sel:BYTE_0 src1_sel:DWORD
	s_mov_b64 s[0:1], -1
	s_and_b64 vcc, exec, s[2:3]
	s_cbranch_vccz .LBB6_1789
; %bb.1788:
	v_cvt_f32_f16_e32 v5, v3
	s_movk_i32 s0, 0x7fff
	v_mov_b32_e32 v6, 0x7fc0
	v_cmp_o_f16_e32 vcc, v3, v3
	v_bfe_u32 v9, v5, 16, 1
	v_add3_u32 v5, v5, v9, s0
	v_lshrrev_b32_e32 v5, 16, v5
	v_cndmask_b32_e32 v5, v6, v5, vcc
	global_store_short v[0:1], v5, off
	s_mov_b64 s[0:1], 0
	s_mov_b64 s[10:11], -1
.LBB6_1789:
	s_mov_b64 s[12:13], 0
.LBB6_1790:
	s_mov_b64 s[2:3], 0
	s_and_b64 vcc, exec, s[12:13]
	s_cbranch_vccz .LBB6_1792
; %bb.1791:
	v_mov_b32_e32 v5, 11
	v_cmp_ne_u16_sdwa s[0:1], s15, v5 src0_sel:BYTE_0 src1_sel:DWORD
	s_mov_b64 s[2:3], -1
.LBB6_1792:
	s_and_b64 vcc, exec, s[0:1]
	s_cbranch_vccnz .LBB6_1848
; %bb.1793:
	s_andn2_b64 vcc, exec, s[2:3]
	s_cbranch_vccnz .LBB6_1795
.LBB6_1794:
	v_cmp_ne_u16_e32 vcc, 0, v4
	v_cndmask_b32_e64 v5, 0, 1, vcc
	s_mov_b64 s[10:11], -1
	global_store_byte v[0:1], v5, off
.LBB6_1795:
	s_mov_b64 s[0:1], 0
.LBB6_1796:
	s_and_b64 vcc, exec, s[0:1]
	s_cbranch_vccz .LBB6_1835
; %bb.1797:
	v_mov_b32_e32 v5, 5
	v_cmp_lt_i16_sdwa s[2:3], s15, v5 src0_sel:BYTE_0 src1_sel:DWORD
	s_mov_b64 s[0:1], -1
	s_and_b64 vcc, exec, s[2:3]
	s_cbranch_vccnz .LBB6_1818
; %bb.1798:
	v_mov_b32_e32 v5, 8
	v_cmp_lt_i16_sdwa s[2:3], s15, v5 src0_sel:BYTE_0 src1_sel:DWORD
	s_and_b64 vcc, exec, s[2:3]
	s_cbranch_vccnz .LBB6_1808
; %bb.1799:
	v_mov_b32_e32 v5, 9
	v_cmp_lt_i16_sdwa s[2:3], s15, v5 src0_sel:BYTE_0 src1_sel:DWORD
	s_and_b64 vcc, exec, s[2:3]
	s_cbranch_vccnz .LBB6_1805
; %bb.1800:
	v_cmp_gt_i16_sdwa s[2:3], s15, v5 src0_sel:BYTE_0 src1_sel:DWORD
	s_and_b64 vcc, exec, s[2:3]
	s_cbranch_vccz .LBB6_1802
; %bb.1801:
	v_cvt_f32_f16_e32 v5, v3
	v_mov_b32_e32 v12, 0
	v_mov_b32_e32 v13, v12
	s_mov_b64 s[0:1], 0
	v_cvt_f64_f32_e32 v[10:11], v5
	global_store_dwordx4 v[0:1], v[10:13], off
.LBB6_1802:
	s_andn2_b64 vcc, exec, s[0:1]
	s_cbranch_vccnz .LBB6_1804
; %bb.1803:
	v_cvt_f32_f16_e32 v10, v3
	v_mov_b32_e32 v11, 0
	global_store_dwordx2 v[0:1], v[10:11], off
.LBB6_1804:
	s_mov_b64 s[0:1], 0
.LBB6_1805:
	s_andn2_b64 vcc, exec, s[0:1]
	s_cbranch_vccnz .LBB6_1807
; %bb.1806:
	v_and_b32_e32 v5, 0xffff, v3
	global_store_dword v[0:1], v5, off
.LBB6_1807:
	s_mov_b64 s[0:1], 0
.LBB6_1808:
	s_andn2_b64 vcc, exec, s[0:1]
	s_cbranch_vccnz .LBB6_1817
; %bb.1809:
	v_mov_b32_e32 v5, 6
	v_cmp_lt_i16_sdwa s[2:3], s15, v5 src0_sel:BYTE_0 src1_sel:DWORD
	s_mov_b64 s[0:1], -1
	s_and_b64 vcc, exec, s[2:3]
	s_cbranch_vccnz .LBB6_1815
; %bb.1810:
	v_cmp_gt_i16_sdwa s[2:3], s15, v5 src0_sel:BYTE_0 src1_sel:DWORD
	s_and_b64 vcc, exec, s[2:3]
	s_cbranch_vccz .LBB6_1812
; %bb.1811:
	v_cvt_f32_f16_e32 v5, v3
	s_mov_b64 s[0:1], 0
	v_cvt_f64_f32_e32 v[10:11], v5
	global_store_dwordx2 v[0:1], v[10:11], off
.LBB6_1812:
	s_andn2_b64 vcc, exec, s[0:1]
	s_cbranch_vccnz .LBB6_1814
; %bb.1813:
	v_cvt_f32_f16_e32 v5, v3
	global_store_dword v[0:1], v5, off
.LBB6_1814:
	s_mov_b64 s[0:1], 0
.LBB6_1815:
	s_andn2_b64 vcc, exec, s[0:1]
	s_cbranch_vccnz .LBB6_1817
; %bb.1816:
	global_store_short v[0:1], v3, off
.LBB6_1817:
	s_mov_b64 s[0:1], 0
.LBB6_1818:
	s_andn2_b64 vcc, exec, s[0:1]
	s_cbranch_vccnz .LBB6_1834
; %bb.1819:
	v_mov_b32_e32 v5, 2
	v_cmp_lt_i16_sdwa s[2:3], s15, v5 src0_sel:BYTE_0 src1_sel:DWORD
	s_mov_b64 s[0:1], -1
	s_and_b64 vcc, exec, s[2:3]
	s_cbranch_vccnz .LBB6_1829
; %bb.1820:
	v_mov_b32_e32 v5, 3
	v_cmp_lt_i16_sdwa s[2:3], s15, v5 src0_sel:BYTE_0 src1_sel:DWORD
	s_and_b64 vcc, exec, s[2:3]
	s_cbranch_vccnz .LBB6_1826
; %bb.1821:
	v_cmp_gt_i16_sdwa s[2:3], s15, v5 src0_sel:BYTE_0 src1_sel:DWORD
	s_and_b64 vcc, exec, s[2:3]
	s_cbranch_vccz .LBB6_1823
; %bb.1822:
	v_cvt_f32_f16_e32 v5, v3
	s_mov_b64 s[0:1], 0
	v_cvt_i32_f32_e32 v10, v5
	v_ashrrev_i32_e32 v11, 31, v10
	global_store_dwordx2 v[0:1], v[10:11], off
.LBB6_1823:
	s_andn2_b64 vcc, exec, s[0:1]
	s_cbranch_vccnz .LBB6_1825
; %bb.1824:
	v_cvt_f32_f16_e32 v5, v3
	v_cvt_i32_f32_e32 v5, v5
	global_store_dword v[0:1], v5, off
.LBB6_1825:
	s_mov_b64 s[0:1], 0
.LBB6_1826:
	s_andn2_b64 vcc, exec, s[0:1]
	s_cbranch_vccnz .LBB6_1828
; %bb.1827:
	v_cvt_i16_f16_e32 v5, v3
	global_store_short v[0:1], v5, off
.LBB6_1828:
	s_mov_b64 s[0:1], 0
.LBB6_1829:
	s_andn2_b64 vcc, exec, s[0:1]
	s_cbranch_vccnz .LBB6_1834
; %bb.1830:
	v_mov_b32_e32 v5, 0
	v_cmp_gt_i16_sdwa s[2:3], s15, v5 src0_sel:BYTE_0 src1_sel:DWORD
	s_mov_b64 s[0:1], -1
	s_and_b64 vcc, exec, s[2:3]
	s_cbranch_vccz .LBB6_1832
; %bb.1831:
	v_cvt_i16_f16_e32 v5, v3
	global_store_byte v[0:1], v5, off
	s_mov_b64 s[0:1], 0
.LBB6_1832:
	s_andn2_b64 vcc, exec, s[0:1]
	s_cbranch_vccnz .LBB6_1834
; %bb.1833:
	v_cvt_f32_f16_e32 v3, v3
	v_cvt_i32_f32_e32 v3, v3
	global_store_byte v[0:1], v3, off
.LBB6_1834:
	s_mov_b64 s[10:11], -1
.LBB6_1835:
	s_andn2_b64 vcc, exec, s[10:11]
	s_cbranch_vccnz .LBB6_2039
; %bb.1836:
	v_and_b32_e32 v0, 0xffff8000, v7
	v_add_u32_e32 v2, s14, v2
	v_or_b32_e32 v3, v0, v4
	v_ashrrev_i32_e32 v1, 31, v2
	v_mov_b32_e32 v5, s9
	v_add_co_u32_e32 v0, vcc, s8, v2
	v_addc_co_u32_e32 v1, vcc, v5, v1, vcc
	v_mov_b32_e32 v5, 11
	v_cmp_lt_i16_sdwa s[0:1], s15, v5 src0_sel:BYTE_0 src1_sel:DWORD
	s_and_b64 vcc, exec, s[0:1]
	s_cbranch_vccnz .LBB6_1843
; %bb.1837:
	v_mov_b32_e32 v5, 25
	v_cmp_gt_i16_sdwa s[0:1], s15, v5 src0_sel:BYTE_0 src1_sel:DWORD
	s_mov_b64 s[12:13], -1
	s_mov_b64 s[2:3], 0
	s_and_b64 vcc, exec, s[0:1]
	s_mov_b64 s[10:11], 0
	s_mov_b64 s[0:1], 0
	s_cbranch_vccz .LBB6_1879
; %bb.1838:
	v_mov_b32_e32 v5, 28
	v_cmp_gt_i16_sdwa s[0:1], s15, v5 src0_sel:BYTE_0 src1_sel:DWORD
	s_and_b64 vcc, exec, s[0:1]
	s_cbranch_vccz .LBB6_1844
; %bb.1839:
	v_mov_b32_e32 v5, 43
	v_cmp_gt_i16_sdwa s[0:1], s15, v5 src0_sel:BYTE_0 src1_sel:DWORD
	s_and_b64 vcc, exec, s[0:1]
	;; [unrolled: 5-line block ×3, first 2 shown]
	s_cbranch_vccz .LBB6_1851
; %bb.1841:
	v_mov_b32_e32 v5, 46
	v_cmp_eq_u16_sdwa s[10:11], s15, v5 src0_sel:BYTE_0 src1_sel:DWORD
	s_mov_b64 s[0:1], -1
	s_mov_b64 s[12:13], 0
	s_and_b64 vcc, exec, s[10:11]
	s_mov_b64 s[10:11], 0
	s_cbranch_vccz .LBB6_1852
; %bb.1842:
	v_cvt_f32_f16_e32 v5, v3
	s_movk_i32 s0, 0x7fff
	v_mov_b32_e32 v6, 0x7fc0
	v_cmp_o_f16_e32 vcc, v3, v3
	v_bfe_u32 v7, v5, 16, 1
	v_add3_u32 v5, v5, v7, s0
	v_lshrrev_b32_e32 v5, 16, v5
	v_cndmask_b32_e32 v5, v6, v5, vcc
	global_store_dword v[0:1], v5, off
	s_mov_b64 s[0:1], 0
	s_mov_b64 s[10:11], -1
	s_branch .LBB6_1852
.LBB6_1843:
	s_mov_b64 s[0:1], -1
	s_mov_b64 s[10:11], 0
	s_branch .LBB6_1923
.LBB6_1844:
	s_mov_b64 s[0:1], 0
	s_branch .LBB6_1862
.LBB6_1845:
	s_or_saveexec_b64 s[18:19], s[18:19]
                                        ; implicit-def: $sgpr20
	s_xor_b64 exec, exec, s[18:19]
	s_cbranch_execz .LBB6_1746
.LBB6_1846:
	s_mov_b32 s20, 0x46000000
	v_add_f32_e64 v6, |v5|, s20
	v_and_b32_e32 v6, 0xff, v6
	v_cmp_ne_u32_e32 vcc, 0, v6
	s_andn2_b64 s[12:13], s[12:13], exec
	s_and_b64 s[22:23], vcc, exec
	s_mov_b32 s20, 0
	s_or_b64 s[12:13], s[12:13], s[22:23]
	s_or_b64 exec, exec, s[18:19]
	v_mov_b32_e32 v9, s20
	s_and_saveexec_b64 s[18:19], s[12:13]
	s_cbranch_execnz .LBB6_1747
	s_branch .LBB6_1748
.LBB6_1847:
	s_mov_b64 s[0:1], 0
	s_branch .LBB6_1858
.LBB6_1848:
	s_trap 2
	s_or_b64 s[16:17], s[16:17], exec
	s_cbranch_execz .LBB6_1794
	s_branch .LBB6_1795
.LBB6_1849:
	s_or_saveexec_b64 s[12:13], s[12:13]
                                        ; implicit-def: $sgpr18
	s_xor_b64 exec, exec, s[12:13]
	s_cbranch_execz .LBB6_1759
.LBB6_1850:
	s_mov_b32 s18, 0x42800000
	v_add_f32_e64 v6, |v5|, s18
	v_and_b32_e32 v6, 0xff, v6
	v_cmp_ne_u32_e32 vcc, 0, v6
	s_andn2_b64 s[10:11], s[10:11], exec
	s_and_b64 s[20:21], vcc, exec
	s_mov_b32 s18, 0
	s_or_b64 s[10:11], s[10:11], s[20:21]
	s_or_b64 exec, exec, s[12:13]
	v_mov_b32_e32 v9, s18
	s_and_saveexec_b64 s[12:13], s[10:11]
	s_cbranch_execnz .LBB6_1760
	s_branch .LBB6_1761
.LBB6_1851:
	s_mov_b64 s[0:1], 0
.LBB6_1852:
	s_and_b64 vcc, exec, s[12:13]
	s_cbranch_vccz .LBB6_1857
; %bb.1853:
	v_mov_b32_e32 v5, 44
	v_cmp_eq_u16_sdwa s[12:13], s15, v5 src0_sel:BYTE_0 src1_sel:DWORD
	s_mov_b64 s[0:1], -1
	s_and_b64 vcc, exec, s[12:13]
	s_cbranch_vccz .LBB6_1857
; %bb.1854:
	v_cvt_f32_f16_e32 v5, v3
	s_movk_i32 s0, 0xff
	v_mov_b32_e32 v7, 0xff
	v_bfe_u32 v6, v5, 23, 8
	v_cmp_ne_u32_e32 vcc, s0, v6
	s_and_saveexec_b64 s[10:11], vcc
; %bb.1855:
	s_mov_b32 s0, 0x3fffff
	v_lshrrev_b32_e32 v7, 23, v5
	v_and_b32_e32 v9, 0x400000, v5
	v_and_or_b32 v5, v5, s0, v6
	v_cmp_ne_u32_e32 vcc, 0, v9
	v_cmp_ne_u32_e64 s[0:1], 0, v5
	s_and_b64 s[0:1], vcc, s[0:1]
	v_cndmask_b32_e64 v5, 0, 1, s[0:1]
	v_add_u32_e32 v7, v7, v5
; %bb.1856:
	s_or_b64 exec, exec, s[10:11]
	s_mov_b64 s[0:1], 0
	s_mov_b64 s[10:11], -1
	global_store_byte v[0:1], v7, off
.LBB6_1857:
	s_mov_b64 s[12:13], 0
.LBB6_1858:
	s_and_b64 vcc, exec, s[12:13]
	s_cbranch_vccz .LBB6_1861
; %bb.1859:
	v_mov_b32_e32 v5, 29
	v_cmp_eq_u16_sdwa s[12:13], s15, v5 src0_sel:BYTE_0 src1_sel:DWORD
	s_mov_b64 s[0:1], -1
	s_and_b64 vcc, exec, s[12:13]
	s_cbranch_vccz .LBB6_1861
; %bb.1860:
	v_cvt_f32_f16_e32 v5, v3
	v_mov_b32_e32 v7, 0
	s_mov_b64 s[0:1], 0
	s_mov_b64 s[10:11], -1
	v_cvt_u32_f32_e32 v6, v5
	s_mov_b64 s[12:13], 0
	global_store_dwordx2 v[0:1], v[6:7], off
	s_branch .LBB6_1862
.LBB6_1861:
	s_mov_b64 s[12:13], 0
.LBB6_1862:
	s_and_b64 vcc, exec, s[12:13]
	s_cbranch_vccz .LBB6_1878
; %bb.1863:
	v_mov_b32_e32 v5, 27
	v_cmp_lt_i16_sdwa s[12:13], s15, v5 src0_sel:BYTE_0 src1_sel:DWORD
	s_mov_b64 s[10:11], -1
	s_and_b64 vcc, exec, s[12:13]
	s_cbranch_vccnz .LBB6_1869
; %bb.1864:
	v_cmp_gt_i16_sdwa s[12:13], s15, v5 src0_sel:BYTE_0 src1_sel:DWORD
	s_and_b64 vcc, exec, s[12:13]
	s_cbranch_vccz .LBB6_1866
; %bb.1865:
	v_cvt_f32_f16_e32 v5, v3
	s_mov_b64 s[10:11], 0
	v_cvt_u32_f32_e32 v5, v5
	global_store_dword v[0:1], v5, off
.LBB6_1866:
	s_andn2_b64 vcc, exec, s[10:11]
	s_cbranch_vccnz .LBB6_1868
; %bb.1867:
	v_cvt_u16_f16_e32 v5, v3
	global_store_short v[0:1], v5, off
.LBB6_1868:
	s_mov_b64 s[10:11], 0
.LBB6_1869:
	s_andn2_b64 vcc, exec, s[10:11]
	s_cbranch_vccnz .LBB6_1877
; %bb.1870:
	v_cvt_f32_f16_e32 v5, v3
	s_mov_b32 s10, 0x43800000
	v_mov_b32_e32 v7, 0x80
	v_and_b32_e32 v6, 0x7fffffff, v5
	v_cmp_gt_u32_e32 vcc, s10, v6
	s_and_saveexec_b64 s[10:11], vcc
	s_cbranch_execz .LBB6_1876
; %bb.1871:
	s_mov_b32 s12, 0x3bffffff
	v_cmp_lt_u32_e32 vcc, s12, v6
	s_mov_b64 s[12:13], 0
                                        ; implicit-def: $vgpr6
	s_and_saveexec_b64 s[18:19], vcc
	s_xor_b64 s[18:19], exec, s[18:19]
	s_cbranch_execz .LBB6_2041
; %bb.1872:
	v_bfe_u32 v6, v5, 20, 1
	s_mov_b32 s20, 0x487ffff
	v_add3_u32 v6, v5, v6, s20
	s_mov_b64 s[12:13], exec
	v_lshrrev_b32_e32 v6, 20, v6
	s_or_saveexec_b64 s[18:19], s[18:19]
                                        ; implicit-def: $sgpr20
	s_xor_b64 exec, exec, s[18:19]
	s_cbranch_execnz .LBB6_2042
.LBB6_1873:
	s_or_b64 exec, exec, s[18:19]
	v_mov_b32_e32 v7, s20
	s_and_saveexec_b64 s[18:19], s[12:13]
.LBB6_1874:
	v_lshrrev_b32_e32 v5, 24, v5
	s_movk_i32 s12, 0x80
	v_and_or_b32 v7, v5, s12, v6
.LBB6_1875:
	s_or_b64 exec, exec, s[18:19]
.LBB6_1876:
	s_or_b64 exec, exec, s[10:11]
	global_store_byte v[0:1], v7, off
.LBB6_1877:
	s_mov_b64 s[10:11], -1
.LBB6_1878:
	s_mov_b64 s[12:13], 0
.LBB6_1879:
	s_and_b64 vcc, exec, s[12:13]
	s_cbranch_vccz .LBB6_1919
; %bb.1880:
	v_mov_b32_e32 v5, 22
	v_cmp_gt_i16_sdwa s[12:13], s15, v5 src0_sel:BYTE_0 src1_sel:DWORD
	s_mov_b64 s[2:3], -1
	s_and_b64 vcc, exec, s[12:13]
	s_cbranch_vccz .LBB6_1912
; %bb.1881:
	v_mov_b32_e32 v5, 24
	v_cmp_lt_i16_sdwa s[10:11], s15, v5 src0_sel:BYTE_0 src1_sel:DWORD
	s_and_b64 vcc, exec, s[10:11]
	s_cbranch_vccnz .LBB6_1901
; %bb.1882:
	v_cmp_gt_i16_sdwa s[10:11], s15, v5 src0_sel:BYTE_0 src1_sel:DWORD
	s_and_b64 vcc, exec, s[10:11]
	s_cbranch_vccz .LBB6_1890
; %bb.1883:
	v_cvt_f32_f16_e32 v5, v3
	s_mov_b32 s2, 0x47800000
	v_mov_b32_e32 v7, 0x80
	v_and_b32_e32 v6, 0x7fffffff, v5
	v_cmp_gt_u32_e32 vcc, s2, v6
	s_and_saveexec_b64 s[2:3], vcc
	s_cbranch_execz .LBB6_1889
; %bb.1884:
	s_mov_b32 s10, 0x37ffffff
	v_cmp_lt_u32_e32 vcc, s10, v6
	s_mov_b64 s[10:11], 0
                                        ; implicit-def: $vgpr6
	s_and_saveexec_b64 s[12:13], vcc
	s_xor_b64 s[12:13], exec, s[12:13]
	s_cbranch_execz .LBB6_2044
; %bb.1885:
	v_bfe_u32 v6, v5, 21, 1
	s_mov_b32 s18, 0x88fffff
	v_add3_u32 v6, v5, v6, s18
	s_mov_b64 s[10:11], exec
	v_lshrrev_b32_e32 v6, 21, v6
	s_or_saveexec_b64 s[12:13], s[12:13]
                                        ; implicit-def: $sgpr18
	s_xor_b64 exec, exec, s[12:13]
	s_cbranch_execnz .LBB6_2045
.LBB6_1886:
	s_or_b64 exec, exec, s[12:13]
	v_mov_b32_e32 v7, s18
	s_and_saveexec_b64 s[12:13], s[10:11]
.LBB6_1887:
	v_lshrrev_b32_e32 v5, 24, v5
	s_movk_i32 s10, 0x80
	v_and_or_b32 v7, v5, s10, v6
.LBB6_1888:
	s_or_b64 exec, exec, s[12:13]
.LBB6_1889:
	s_or_b64 exec, exec, s[2:3]
	s_mov_b64 s[2:3], 0
	global_store_byte v[0:1], v7, off
.LBB6_1890:
	s_and_b64 vcc, exec, s[2:3]
	s_cbranch_vccz .LBB6_1900
; %bb.1891:
	v_cvt_f32_f16_e32 v5, v3
	s_mov_b32 s2, 0x43f00000
                                        ; implicit-def: $vgpr6
	v_and_b32_e32 v7, 0x7fffffff, v5
	v_cmp_gt_u32_e32 vcc, s2, v7
	s_and_saveexec_b64 s[2:3], vcc
	s_xor_b64 s[2:3], exec, s[2:3]
	s_cbranch_execz .LBB6_1897
; %bb.1892:
	s_mov_b32 s10, 0x3c7fffff
	v_cmp_lt_u32_e32 vcc, s10, v7
                                        ; implicit-def: $vgpr6
	s_and_saveexec_b64 s[10:11], vcc
	s_xor_b64 s[10:11], exec, s[10:11]
; %bb.1893:
	v_bfe_u32 v6, v5, 20, 1
	s_mov_b32 s12, 0x407ffff
	v_add3_u32 v6, v5, v6, s12
	v_lshrrev_b32_e32 v7, 20, v6
	v_and_b32_e32 v6, 0xff00000, v6
	s_mov_b32 s12, 0x7f00000
	v_mov_b32_e32 v9, 0x7e
	v_cmp_ne_u32_e32 vcc, s12, v6
	v_cndmask_b32_e32 v6, v9, v7, vcc
; %bb.1894:
	s_andn2_saveexec_b64 s[10:11], s[10:11]
; %bb.1895:
	s_mov_b32 s12, 0x46800000
	v_add_f32_e64 v6, |v5|, s12
; %bb.1896:
	s_or_b64 exec, exec, s[10:11]
                                        ; implicit-def: $vgpr7
.LBB6_1897:
	s_andn2_saveexec_b64 s[2:3], s[2:3]
; %bb.1898:
	s_mov_b32 s10, 0x7f800000
	v_mov_b32_e32 v6, 0x7e
	v_mov_b32_e32 v9, 0x7f
	v_cmp_lt_u32_e32 vcc, s10, v7
	v_cndmask_b32_e32 v6, v6, v9, vcc
; %bb.1899:
	s_or_b64 exec, exec, s[2:3]
	v_lshrrev_b32_e32 v5, 24, v5
	s_movk_i32 s2, 0x80
	v_and_or_b32 v5, v5, s2, v6
	global_store_byte v[0:1], v5, off
.LBB6_1900:
	s_mov_b64 s[2:3], 0
.LBB6_1901:
	s_andn2_b64 vcc, exec, s[2:3]
	s_cbranch_vccnz .LBB6_1911
; %bb.1902:
	v_cvt_f32_f16_e32 v5, v3
	s_mov_b32 s2, 0x47800000
                                        ; implicit-def: $vgpr6
	v_and_b32_e32 v7, 0x7fffffff, v5
	v_cmp_gt_u32_e32 vcc, s2, v7
	s_and_saveexec_b64 s[2:3], vcc
	s_xor_b64 s[2:3], exec, s[2:3]
	s_cbranch_execz .LBB6_1908
; %bb.1903:
	s_mov_b32 s10, 0x387fffff
	v_cmp_lt_u32_e32 vcc, s10, v7
                                        ; implicit-def: $vgpr6
	s_and_saveexec_b64 s[10:11], vcc
	s_xor_b64 s[10:11], exec, s[10:11]
; %bb.1904:
	v_bfe_u32 v6, v5, 21, 1
	s_mov_b32 s12, 0x80fffff
	v_add3_u32 v6, v5, v6, s12
	v_lshrrev_b32_e32 v6, 21, v6
; %bb.1905:
	s_andn2_saveexec_b64 s[10:11], s[10:11]
; %bb.1906:
	s_mov_b32 s12, 0x43000000
	v_add_f32_e64 v6, |v5|, s12
; %bb.1907:
	s_or_b64 exec, exec, s[10:11]
                                        ; implicit-def: $vgpr7
.LBB6_1908:
	s_andn2_saveexec_b64 s[2:3], s[2:3]
; %bb.1909:
	s_mov_b32 s10, 0x7f800000
	v_mov_b32_e32 v6, 0x7c
	v_mov_b32_e32 v9, 0x7f
	v_cmp_lt_u32_e32 vcc, s10, v7
	v_cndmask_b32_e32 v6, v6, v9, vcc
; %bb.1910:
	s_or_b64 exec, exec, s[2:3]
	v_lshrrev_b32_e32 v5, 24, v5
	s_movk_i32 s2, 0x80
	v_and_or_b32 v5, v5, s2, v6
	global_store_byte v[0:1], v5, off
.LBB6_1911:
	s_mov_b64 s[2:3], 0
	s_mov_b64 s[10:11], -1
.LBB6_1912:
	s_andn2_b64 vcc, exec, s[2:3]
	s_mov_b64 s[2:3], 0
	s_cbranch_vccnz .LBB6_1919
; %bb.1913:
	v_mov_b32_e32 v5, 14
	v_cmp_gt_i16_sdwa s[2:3], s15, v5 src0_sel:BYTE_0 src1_sel:DWORD
	s_mov_b64 s[12:13], -1
	s_and_b64 vcc, exec, s[2:3]
	s_cbranch_vccz .LBB6_1917
; %bb.1914:
	v_mov_b32_e32 v5, 15
	v_cmp_eq_u16_sdwa s[2:3], s15, v5 src0_sel:BYTE_0 src1_sel:DWORD
	s_mov_b64 s[0:1], -1
	s_and_b64 vcc, exec, s[2:3]
	s_cbranch_vccz .LBB6_1916
; %bb.1915:
	v_cvt_f32_f16_e32 v5, v3
	s_movk_i32 s0, 0x7fff
	v_mov_b32_e32 v6, 0x7fc0
	v_cmp_o_f16_e32 vcc, v3, v3
	v_bfe_u32 v7, v5, 16, 1
	v_add3_u32 v5, v5, v7, s0
	v_lshrrev_b32_e32 v5, 16, v5
	v_cndmask_b32_e32 v5, v6, v5, vcc
	global_store_short v[0:1], v5, off
	s_mov_b64 s[0:1], 0
	s_mov_b64 s[10:11], -1
.LBB6_1916:
	s_mov_b64 s[12:13], 0
.LBB6_1917:
	s_mov_b64 s[2:3], 0
	s_and_b64 vcc, exec, s[12:13]
	s_cbranch_vccz .LBB6_1919
; %bb.1918:
	v_mov_b32_e32 v5, 11
	v_cmp_ne_u16_sdwa s[0:1], s15, v5 src0_sel:BYTE_0 src1_sel:DWORD
	s_mov_b64 s[2:3], -1
.LBB6_1919:
	s_and_b64 vcc, exec, s[0:1]
	s_cbranch_vccnz .LBB6_2043
; %bb.1920:
	s_andn2_b64 vcc, exec, s[2:3]
	s_cbranch_vccnz .LBB6_1922
.LBB6_1921:
	v_cmp_ne_u16_e32 vcc, 0, v4
	v_cndmask_b32_e64 v5, 0, 1, vcc
	s_mov_b64 s[10:11], -1
	global_store_byte v[0:1], v5, off
.LBB6_1922:
	s_mov_b64 s[0:1], 0
.LBB6_1923:
	s_and_b64 vcc, exec, s[0:1]
	s_cbranch_vccz .LBB6_1962
; %bb.1924:
	v_mov_b32_e32 v5, 5
	v_cmp_lt_i16_sdwa s[2:3], s15, v5 src0_sel:BYTE_0 src1_sel:DWORD
	s_mov_b64 s[0:1], -1
	s_and_b64 vcc, exec, s[2:3]
	s_cbranch_vccnz .LBB6_1945
; %bb.1925:
	v_mov_b32_e32 v5, 8
	v_cmp_lt_i16_sdwa s[2:3], s15, v5 src0_sel:BYTE_0 src1_sel:DWORD
	s_and_b64 vcc, exec, s[2:3]
	s_cbranch_vccnz .LBB6_1935
; %bb.1926:
	v_mov_b32_e32 v5, 9
	v_cmp_lt_i16_sdwa s[2:3], s15, v5 src0_sel:BYTE_0 src1_sel:DWORD
	s_and_b64 vcc, exec, s[2:3]
	s_cbranch_vccnz .LBB6_1932
; %bb.1927:
	v_cmp_gt_i16_sdwa s[2:3], s15, v5 src0_sel:BYTE_0 src1_sel:DWORD
	s_and_b64 vcc, exec, s[2:3]
	s_cbranch_vccz .LBB6_1929
; %bb.1928:
	v_cvt_f32_f16_e32 v5, v3
	v_mov_b32_e32 v12, 0
	v_mov_b32_e32 v13, v12
	s_mov_b64 s[0:1], 0
	v_cvt_f64_f32_e32 v[10:11], v5
	global_store_dwordx4 v[0:1], v[10:13], off
.LBB6_1929:
	s_andn2_b64 vcc, exec, s[0:1]
	s_cbranch_vccnz .LBB6_1931
; %bb.1930:
	v_cvt_f32_f16_e32 v6, v3
	v_mov_b32_e32 v7, 0
	global_store_dwordx2 v[0:1], v[6:7], off
.LBB6_1931:
	s_mov_b64 s[0:1], 0
.LBB6_1932:
	s_andn2_b64 vcc, exec, s[0:1]
	s_cbranch_vccnz .LBB6_1934
; %bb.1933:
	v_and_b32_e32 v5, 0xffff, v3
	global_store_dword v[0:1], v5, off
.LBB6_1934:
	s_mov_b64 s[0:1], 0
.LBB6_1935:
	s_andn2_b64 vcc, exec, s[0:1]
	s_cbranch_vccnz .LBB6_1944
; %bb.1936:
	v_mov_b32_e32 v5, 6
	v_cmp_lt_i16_sdwa s[2:3], s15, v5 src0_sel:BYTE_0 src1_sel:DWORD
	s_mov_b64 s[0:1], -1
	s_and_b64 vcc, exec, s[2:3]
	s_cbranch_vccnz .LBB6_1942
; %bb.1937:
	v_cmp_gt_i16_sdwa s[2:3], s15, v5 src0_sel:BYTE_0 src1_sel:DWORD
	s_and_b64 vcc, exec, s[2:3]
	s_cbranch_vccz .LBB6_1939
; %bb.1938:
	v_cvt_f32_f16_e32 v5, v3
	s_mov_b64 s[0:1], 0
	v_cvt_f64_f32_e32 v[6:7], v5
	global_store_dwordx2 v[0:1], v[6:7], off
.LBB6_1939:
	s_andn2_b64 vcc, exec, s[0:1]
	s_cbranch_vccnz .LBB6_1941
; %bb.1940:
	v_cvt_f32_f16_e32 v5, v3
	global_store_dword v[0:1], v5, off
.LBB6_1941:
	s_mov_b64 s[0:1], 0
.LBB6_1942:
	s_andn2_b64 vcc, exec, s[0:1]
	s_cbranch_vccnz .LBB6_1944
; %bb.1943:
	global_store_short v[0:1], v3, off
.LBB6_1944:
	s_mov_b64 s[0:1], 0
.LBB6_1945:
	s_andn2_b64 vcc, exec, s[0:1]
	s_cbranch_vccnz .LBB6_1961
; %bb.1946:
	v_mov_b32_e32 v5, 2
	v_cmp_lt_i16_sdwa s[2:3], s15, v5 src0_sel:BYTE_0 src1_sel:DWORD
	s_mov_b64 s[0:1], -1
	s_and_b64 vcc, exec, s[2:3]
	s_cbranch_vccnz .LBB6_1956
; %bb.1947:
	v_mov_b32_e32 v5, 3
	v_cmp_lt_i16_sdwa s[2:3], s15, v5 src0_sel:BYTE_0 src1_sel:DWORD
	s_and_b64 vcc, exec, s[2:3]
	s_cbranch_vccnz .LBB6_1953
; %bb.1948:
	v_cmp_gt_i16_sdwa s[2:3], s15, v5 src0_sel:BYTE_0 src1_sel:DWORD
	s_and_b64 vcc, exec, s[2:3]
	s_cbranch_vccz .LBB6_1950
; %bb.1949:
	v_cvt_f32_f16_e32 v5, v3
	s_mov_b64 s[0:1], 0
	v_cvt_i32_f32_e32 v6, v5
	v_ashrrev_i32_e32 v7, 31, v6
	global_store_dwordx2 v[0:1], v[6:7], off
.LBB6_1950:
	s_andn2_b64 vcc, exec, s[0:1]
	s_cbranch_vccnz .LBB6_1952
; %bb.1951:
	v_cvt_f32_f16_e32 v5, v3
	v_cvt_i32_f32_e32 v5, v5
	global_store_dword v[0:1], v5, off
.LBB6_1952:
	s_mov_b64 s[0:1], 0
.LBB6_1953:
	s_andn2_b64 vcc, exec, s[0:1]
	s_cbranch_vccnz .LBB6_1955
; %bb.1954:
	v_cvt_i16_f16_e32 v5, v3
	global_store_short v[0:1], v5, off
.LBB6_1955:
	s_mov_b64 s[0:1], 0
.LBB6_1956:
	s_andn2_b64 vcc, exec, s[0:1]
	s_cbranch_vccnz .LBB6_1961
; %bb.1957:
	v_mov_b32_e32 v5, 0
	v_cmp_gt_i16_sdwa s[2:3], s15, v5 src0_sel:BYTE_0 src1_sel:DWORD
	s_mov_b64 s[0:1], -1
	s_and_b64 vcc, exec, s[2:3]
	s_cbranch_vccz .LBB6_1959
; %bb.1958:
	v_cvt_i16_f16_e32 v5, v3
	global_store_byte v[0:1], v5, off
	s_mov_b64 s[0:1], 0
.LBB6_1959:
	s_andn2_b64 vcc, exec, s[0:1]
	s_cbranch_vccnz .LBB6_1961
; %bb.1960:
	v_cvt_f32_f16_e32 v3, v3
	v_cvt_i32_f32_e32 v3, v3
	global_store_byte v[0:1], v3, off
.LBB6_1961:
	s_mov_b64 s[10:11], -1
.LBB6_1962:
	s_andn2_b64 vcc, exec, s[10:11]
	s_cbranch_vccnz .LBB6_2039
; %bb.1963:
	v_and_b32_e32 v0, 0xffff8000, v8
	v_or_b32_e32 v5, v0, v4
	v_add_u32_e32 v0, s14, v2
	v_ashrrev_i32_e32 v1, 31, v0
	v_mov_b32_e32 v2, s9
	v_add_co_u32_e32 v0, vcc, s8, v0
	v_addc_co_u32_e32 v1, vcc, v2, v1, vcc
	v_mov_b32_e32 v2, 0xff
	v_and_b32_e32 v6, s15, v2
	v_cmp_gt_i16_e32 vcc, 11, v6
	s_cbranch_vccnz .LBB6_2040
; %bb.1964:
	v_cmp_lt_i16_e32 vcc, 25, v6
	s_mov_b64 s[8:9], -1
	s_mov_b64 s[2:3], 0
	s_mov_b64 s[0:1], 0
	s_cbranch_vccz .LBB6_1997
; %bb.1965:
	v_cmp_lt_i16_e32 vcc, 28, v6
	s_cbranch_vccz .LBB6_1981
; %bb.1966:
	v_cmp_lt_i16_e32 vcc, 43, v6
	;; [unrolled: 3-line block ×3, first 2 shown]
	s_cbranch_vccz .LBB6_1971
; %bb.1968:
	v_cmp_eq_u16_e32 vcc, 46, v6
	s_mov_b64 s[0:1], -1
	s_cbranch_vccz .LBB6_1970
; %bb.1969:
	v_cvt_f32_f16_e32 v2, v5
	s_movk_i32 s0, 0x7fff
	v_mov_b32_e32 v3, 0x7fc0
	v_cmp_o_f16_e32 vcc, v5, v5
	v_bfe_u32 v7, v2, 16, 1
	v_add3_u32 v2, v2, v7, s0
	v_lshrrev_b32_e32 v2, 16, v2
	v_cndmask_b32_e32 v2, v3, v2, vcc
	global_store_dword v[0:1], v2, off
	s_mov_b64 s[0:1], 0
.LBB6_1970:
	s_mov_b64 s[8:9], 0
.LBB6_1971:
	s_and_b64 vcc, exec, s[8:9]
	s_cbranch_vccz .LBB6_1976
; %bb.1972:
	v_cmp_eq_u16_e32 vcc, 44, v6
	s_mov_b64 s[0:1], -1
	s_cbranch_vccz .LBB6_1976
; %bb.1973:
	v_cvt_f32_f16_e32 v2, v5
	s_movk_i32 s0, 0xff
	v_mov_b32_e32 v7, 0xff
	v_bfe_u32 v3, v2, 23, 8
	v_cmp_ne_u32_e32 vcc, s0, v3
	s_and_saveexec_b64 s[8:9], vcc
; %bb.1974:
	s_mov_b32 s0, 0x3fffff
	v_lshrrev_b32_e32 v7, 23, v2
	v_and_b32_e32 v8, 0x400000, v2
	v_and_or_b32 v2, v2, s0, v3
	v_cmp_ne_u32_e32 vcc, 0, v8
	v_cmp_ne_u32_e64 s[0:1], 0, v2
	s_and_b64 s[0:1], vcc, s[0:1]
	v_cndmask_b32_e64 v2, 0, 1, s[0:1]
	v_add_u32_e32 v7, v7, v2
; %bb.1975:
	s_or_b64 exec, exec, s[8:9]
	s_mov_b64 s[0:1], 0
	global_store_byte v[0:1], v7, off
.LBB6_1976:
	s_mov_b64 s[8:9], 0
.LBB6_1977:
	s_and_b64 vcc, exec, s[8:9]
	s_cbranch_vccz .LBB6_1980
; %bb.1978:
	v_cmp_eq_u16_e32 vcc, 29, v6
	s_mov_b64 s[0:1], -1
	s_cbranch_vccz .LBB6_1980
; %bb.1979:
	v_cvt_f32_f16_e32 v2, v5
	v_mov_b32_e32 v3, 0
	s_mov_b64 s[0:1], 0
	v_cvt_u32_f32_e32 v2, v2
	global_store_dwordx2 v[0:1], v[2:3], off
.LBB6_1980:
	s_mov_b64 s[8:9], 0
.LBB6_1981:
	s_and_b64 vcc, exec, s[8:9]
	s_cbranch_vccz .LBB6_1996
; %bb.1982:
	v_cmp_gt_i16_e32 vcc, 27, v6
	s_mov_b64 s[8:9], -1
	s_cbranch_vccnz .LBB6_1988
; %bb.1983:
	v_cmp_lt_i16_e32 vcc, 27, v6
	s_cbranch_vccz .LBB6_1985
; %bb.1984:
	v_cvt_f32_f16_e32 v2, v5
	s_mov_b64 s[8:9], 0
	v_cvt_u32_f32_e32 v2, v2
	global_store_dword v[0:1], v2, off
.LBB6_1985:
	s_andn2_b64 vcc, exec, s[8:9]
	s_cbranch_vccnz .LBB6_1987
; %bb.1986:
	v_cvt_u16_f16_e32 v2, v5
	global_store_short v[0:1], v2, off
.LBB6_1987:
	s_mov_b64 s[8:9], 0
.LBB6_1988:
	s_andn2_b64 vcc, exec, s[8:9]
	s_cbranch_vccnz .LBB6_1996
; %bb.1989:
	v_cvt_f32_f16_e32 v2, v5
	s_mov_b32 s8, 0x43800000
	v_mov_b32_e32 v7, 0x80
	v_and_b32_e32 v3, 0x7fffffff, v2
	v_cmp_gt_u32_e32 vcc, s8, v3
	s_and_saveexec_b64 s[8:9], vcc
	s_cbranch_execz .LBB6_1995
; %bb.1990:
	s_mov_b32 s10, 0x3bffffff
	v_cmp_lt_u32_e32 vcc, s10, v3
	s_mov_b64 s[10:11], 0
                                        ; implicit-def: $vgpr3
	s_and_saveexec_b64 s[12:13], vcc
	s_xor_b64 s[12:13], exec, s[12:13]
	s_cbranch_execz .LBB6_2046
; %bb.1991:
	v_bfe_u32 v3, v2, 20, 1
	s_mov_b32 s14, 0x487ffff
	v_add3_u32 v3, v2, v3, s14
	s_mov_b64 s[10:11], exec
	v_lshrrev_b32_e32 v3, 20, v3
	s_or_saveexec_b64 s[12:13], s[12:13]
                                        ; implicit-def: $sgpr14
	s_xor_b64 exec, exec, s[12:13]
	s_cbranch_execnz .LBB6_2047
.LBB6_1992:
	s_or_b64 exec, exec, s[12:13]
	v_mov_b32_e32 v7, s14
	s_and_saveexec_b64 s[12:13], s[10:11]
.LBB6_1993:
	v_lshrrev_b32_e32 v2, 24, v2
	s_movk_i32 s10, 0x80
	v_and_or_b32 v7, v2, s10, v3
.LBB6_1994:
	s_or_b64 exec, exec, s[12:13]
.LBB6_1995:
	s_or_b64 exec, exec, s[8:9]
	global_store_byte v[0:1], v7, off
.LBB6_1996:
	s_mov_b64 s[8:9], 0
.LBB6_1997:
	s_and_b64 vcc, exec, s[8:9]
	s_cbranch_vccz .LBB6_2037
; %bb.1998:
	v_cmp_lt_i16_e32 vcc, 22, v6
	s_mov_b64 s[2:3], -1
	s_cbranch_vccz .LBB6_2030
; %bb.1999:
	v_cmp_gt_i16_e32 vcc, 24, v6
	s_cbranch_vccnz .LBB6_2019
; %bb.2000:
	v_cmp_lt_i16_e32 vcc, 24, v6
	s_cbranch_vccz .LBB6_2008
; %bb.2001:
	v_cvt_f32_f16_e32 v2, v5
	s_mov_b32 s2, 0x47800000
	v_mov_b32_e32 v7, 0x80
	v_and_b32_e32 v3, 0x7fffffff, v2
	v_cmp_gt_u32_e32 vcc, s2, v3
	s_and_saveexec_b64 s[2:3], vcc
	s_cbranch_execz .LBB6_2007
; %bb.2002:
	s_mov_b32 s8, 0x37ffffff
	v_cmp_lt_u32_e32 vcc, s8, v3
	s_mov_b64 s[8:9], 0
                                        ; implicit-def: $vgpr3
	s_and_saveexec_b64 s[10:11], vcc
	s_xor_b64 s[10:11], exec, s[10:11]
	s_cbranch_execz .LBB6_2049
; %bb.2003:
	v_bfe_u32 v3, v2, 21, 1
	s_mov_b32 s12, 0x88fffff
	v_add3_u32 v3, v2, v3, s12
	s_mov_b64 s[8:9], exec
	v_lshrrev_b32_e32 v3, 21, v3
	s_or_saveexec_b64 s[10:11], s[10:11]
                                        ; implicit-def: $sgpr12
	s_xor_b64 exec, exec, s[10:11]
	s_cbranch_execnz .LBB6_2050
.LBB6_2004:
	s_or_b64 exec, exec, s[10:11]
	v_mov_b32_e32 v7, s12
	s_and_saveexec_b64 s[10:11], s[8:9]
.LBB6_2005:
	v_lshrrev_b32_e32 v2, 24, v2
	s_movk_i32 s8, 0x80
	v_and_or_b32 v7, v2, s8, v3
.LBB6_2006:
	s_or_b64 exec, exec, s[10:11]
.LBB6_2007:
	s_or_b64 exec, exec, s[2:3]
	s_mov_b64 s[2:3], 0
	global_store_byte v[0:1], v7, off
.LBB6_2008:
	s_and_b64 vcc, exec, s[2:3]
	s_cbranch_vccz .LBB6_2018
; %bb.2009:
	v_cvt_f32_f16_e32 v2, v5
	s_mov_b32 s2, 0x43f00000
                                        ; implicit-def: $vgpr3
	v_and_b32_e32 v7, 0x7fffffff, v2
	v_cmp_gt_u32_e32 vcc, s2, v7
	s_and_saveexec_b64 s[2:3], vcc
	s_xor_b64 s[2:3], exec, s[2:3]
	s_cbranch_execz .LBB6_2015
; %bb.2010:
	s_mov_b32 s8, 0x3c7fffff
	v_cmp_lt_u32_e32 vcc, s8, v7
                                        ; implicit-def: $vgpr3
	s_and_saveexec_b64 s[8:9], vcc
	s_xor_b64 s[8:9], exec, s[8:9]
; %bb.2011:
	v_bfe_u32 v3, v2, 20, 1
	s_mov_b32 s10, 0x407ffff
	v_add3_u32 v3, v2, v3, s10
	v_lshrrev_b32_e32 v7, 20, v3
	v_and_b32_e32 v3, 0xff00000, v3
	s_mov_b32 s10, 0x7f00000
	v_mov_b32_e32 v8, 0x7e
	v_cmp_ne_u32_e32 vcc, s10, v3
	v_cndmask_b32_e32 v3, v8, v7, vcc
; %bb.2012:
	s_andn2_saveexec_b64 s[8:9], s[8:9]
; %bb.2013:
	s_mov_b32 s10, 0x46800000
	v_add_f32_e64 v3, |v2|, s10
; %bb.2014:
	s_or_b64 exec, exec, s[8:9]
                                        ; implicit-def: $vgpr7
.LBB6_2015:
	s_andn2_saveexec_b64 s[2:3], s[2:3]
; %bb.2016:
	s_mov_b32 s8, 0x7f800000
	v_mov_b32_e32 v3, 0x7e
	v_mov_b32_e32 v8, 0x7f
	v_cmp_lt_u32_e32 vcc, s8, v7
	v_cndmask_b32_e32 v3, v3, v8, vcc
; %bb.2017:
	s_or_b64 exec, exec, s[2:3]
	v_lshrrev_b32_e32 v2, 24, v2
	s_movk_i32 s2, 0x80
	v_and_or_b32 v2, v2, s2, v3
	global_store_byte v[0:1], v2, off
.LBB6_2018:
	s_mov_b64 s[2:3], 0
.LBB6_2019:
	s_andn2_b64 vcc, exec, s[2:3]
	s_cbranch_vccnz .LBB6_2029
; %bb.2020:
	v_cvt_f32_f16_e32 v2, v5
	s_mov_b32 s2, 0x47800000
                                        ; implicit-def: $vgpr3
	v_and_b32_e32 v7, 0x7fffffff, v2
	v_cmp_gt_u32_e32 vcc, s2, v7
	s_and_saveexec_b64 s[2:3], vcc
	s_xor_b64 s[2:3], exec, s[2:3]
	s_cbranch_execz .LBB6_2026
; %bb.2021:
	s_mov_b32 s8, 0x387fffff
	v_cmp_lt_u32_e32 vcc, s8, v7
                                        ; implicit-def: $vgpr3
	s_and_saveexec_b64 s[8:9], vcc
	s_xor_b64 s[8:9], exec, s[8:9]
; %bb.2022:
	v_bfe_u32 v3, v2, 21, 1
	s_mov_b32 s10, 0x80fffff
	v_add3_u32 v3, v2, v3, s10
	v_lshrrev_b32_e32 v3, 21, v3
; %bb.2023:
	s_andn2_saveexec_b64 s[8:9], s[8:9]
; %bb.2024:
	s_mov_b32 s10, 0x43000000
	v_add_f32_e64 v3, |v2|, s10
; %bb.2025:
	s_or_b64 exec, exec, s[8:9]
                                        ; implicit-def: $vgpr7
.LBB6_2026:
	s_andn2_saveexec_b64 s[2:3], s[2:3]
; %bb.2027:
	s_mov_b32 s8, 0x7f800000
	v_mov_b32_e32 v3, 0x7c
	v_mov_b32_e32 v8, 0x7f
	v_cmp_lt_u32_e32 vcc, s8, v7
	v_cndmask_b32_e32 v3, v3, v8, vcc
; %bb.2028:
	s_or_b64 exec, exec, s[2:3]
	v_lshrrev_b32_e32 v2, 24, v2
	s_movk_i32 s2, 0x80
	v_and_or_b32 v2, v2, s2, v3
	global_store_byte v[0:1], v2, off
.LBB6_2029:
	s_mov_b64 s[2:3], 0
.LBB6_2030:
	s_andn2_b64 vcc, exec, s[2:3]
	s_mov_b64 s[2:3], 0
	s_cbranch_vccnz .LBB6_2037
; %bb.2031:
	v_cmp_lt_i16_e32 vcc, 14, v6
	s_mov_b64 s[8:9], -1
	s_cbranch_vccz .LBB6_2035
; %bb.2032:
	v_cmp_eq_u16_e32 vcc, 15, v6
	s_mov_b64 s[0:1], -1
	s_cbranch_vccz .LBB6_2034
; %bb.2033:
	v_cvt_f32_f16_e32 v2, v5
	s_movk_i32 s0, 0x7fff
	v_mov_b32_e32 v3, 0x7fc0
	v_cmp_o_f16_e32 vcc, v5, v5
	v_bfe_u32 v7, v2, 16, 1
	v_add3_u32 v2, v2, v7, s0
	v_lshrrev_b32_e32 v2, 16, v2
	v_cndmask_b32_e32 v2, v3, v2, vcc
	global_store_short v[0:1], v2, off
	s_mov_b64 s[0:1], 0
.LBB6_2034:
	s_mov_b64 s[8:9], 0
.LBB6_2035:
	s_and_b64 vcc, exec, s[8:9]
	s_cbranch_vccz .LBB6_2037
; %bb.2036:
	v_cmp_ne_u16_e64 s[0:1], 11, v6
	s_mov_b64 s[2:3], -1
.LBB6_2037:
	s_and_b64 vcc, exec, s[0:1]
	s_cbranch_vccnz .LBB6_2048
.LBB6_2038:
	s_mov_b64 s[0:1], 0
	s_branch .LBB6_1549
.LBB6_2039:
	s_mov_b64 s[0:1], 0
                                        ; implicit-def: $vgpr6
                                        ; implicit-def: $vgpr0_vgpr1
                                        ; implicit-def: $vgpr5
	s_branch .LBB6_1548
.LBB6_2040:
	s_mov_b64 s[2:3], 0
	s_mov_b64 s[0:1], -1
	s_branch .LBB6_1549
.LBB6_2041:
	s_or_saveexec_b64 s[18:19], s[18:19]
                                        ; implicit-def: $sgpr20
	s_xor_b64 exec, exec, s[18:19]
	s_cbranch_execz .LBB6_1873
.LBB6_2042:
	s_mov_b32 s20, 0x46000000
	v_add_f32_e64 v6, |v5|, s20
	v_and_b32_e32 v6, 0xff, v6
	v_cmp_ne_u32_e32 vcc, 0, v6
	s_andn2_b64 s[12:13], s[12:13], exec
	s_and_b64 s[22:23], vcc, exec
	s_mov_b32 s20, 0
	s_or_b64 s[12:13], s[12:13], s[22:23]
	s_or_b64 exec, exec, s[18:19]
	v_mov_b32_e32 v7, s20
	s_and_saveexec_b64 s[18:19], s[12:13]
	s_cbranch_execnz .LBB6_1874
	s_branch .LBB6_1875
.LBB6_2043:
	s_trap 2
	s_or_b64 s[16:17], s[16:17], exec
	s_cbranch_execz .LBB6_1921
	s_branch .LBB6_1922
.LBB6_2044:
	s_or_saveexec_b64 s[12:13], s[12:13]
                                        ; implicit-def: $sgpr18
	s_xor_b64 exec, exec, s[12:13]
	s_cbranch_execz .LBB6_1886
.LBB6_2045:
	s_mov_b32 s18, 0x42800000
	v_add_f32_e64 v6, |v5|, s18
	v_and_b32_e32 v6, 0xff, v6
	v_cmp_ne_u32_e32 vcc, 0, v6
	s_andn2_b64 s[10:11], s[10:11], exec
	s_and_b64 s[20:21], vcc, exec
	s_mov_b32 s18, 0
	s_or_b64 s[10:11], s[10:11], s[20:21]
	s_or_b64 exec, exec, s[12:13]
	v_mov_b32_e32 v7, s18
	s_and_saveexec_b64 s[12:13], s[10:11]
	s_cbranch_execnz .LBB6_1887
	s_branch .LBB6_1888
.LBB6_2046:
	s_or_saveexec_b64 s[12:13], s[12:13]
                                        ; implicit-def: $sgpr14
	s_xor_b64 exec, exec, s[12:13]
	s_cbranch_execz .LBB6_1992
.LBB6_2047:
	s_mov_b32 s14, 0x46000000
	v_add_f32_e64 v3, |v2|, s14
	v_and_b32_e32 v3, 0xff, v3
	v_cmp_ne_u32_e32 vcc, 0, v3
	s_andn2_b64 s[10:11], s[10:11], exec
	s_and_b64 s[18:19], vcc, exec
	s_mov_b32 s14, 0
	s_or_b64 s[10:11], s[10:11], s[18:19]
	s_or_b64 exec, exec, s[12:13]
	v_mov_b32_e32 v7, s14
	s_and_saveexec_b64 s[12:13], s[10:11]
	s_cbranch_execnz .LBB6_1993
	s_branch .LBB6_1994
.LBB6_2048:
	s_mov_b64 s[2:3], 0
	s_or_b64 s[16:17], s[16:17], exec
	s_trap 2
	s_branch .LBB6_2038
.LBB6_2049:
	s_or_saveexec_b64 s[10:11], s[10:11]
                                        ; implicit-def: $sgpr12
	s_xor_b64 exec, exec, s[10:11]
	s_cbranch_execz .LBB6_2004
.LBB6_2050:
	s_mov_b32 s12, 0x42800000
	v_add_f32_e64 v3, |v2|, s12
	v_and_b32_e32 v3, 0xff, v3
	v_cmp_ne_u32_e32 vcc, 0, v3
	s_andn2_b64 s[8:9], s[8:9], exec
	s_and_b64 s[14:15], vcc, exec
	s_mov_b32 s12, 0
	s_or_b64 s[8:9], s[8:9], s[14:15]
	s_or_b64 exec, exec, s[10:11]
	v_mov_b32_e32 v7, s12
	s_and_saveexec_b64 s[10:11], s[8:9]
	s_cbranch_execnz .LBB6_2005
	s_branch .LBB6_2006
	.section	.rodata,"a",@progbits
	.p2align	6, 0x0
	.amdhsa_kernel _ZN2at6native32elementwise_kernel_manual_unrollILi128ELi4EZNS0_15gpu_kernel_implINS0_13AUnaryFunctorIN3c104HalfES5_S5_ZNS0_20copysign_kernel_cudaERNS_18TensorIteratorBaseEEUlS5_S5_E_EEEEvS7_RKT_EUlibE_EEviT1_
		.amdhsa_group_segment_fixed_size 0
		.amdhsa_private_segment_fixed_size 0
		.amdhsa_kernarg_size 40
		.amdhsa_user_sgpr_count 6
		.amdhsa_user_sgpr_private_segment_buffer 1
		.amdhsa_user_sgpr_dispatch_ptr 0
		.amdhsa_user_sgpr_queue_ptr 0
		.amdhsa_user_sgpr_kernarg_segment_ptr 1
		.amdhsa_user_sgpr_dispatch_id 0
		.amdhsa_user_sgpr_flat_scratch_init 0
		.amdhsa_user_sgpr_kernarg_preload_length 0
		.amdhsa_user_sgpr_kernarg_preload_offset 0
		.amdhsa_user_sgpr_private_segment_size 0
		.amdhsa_uses_dynamic_stack 0
		.amdhsa_system_sgpr_private_segment_wavefront_offset 0
		.amdhsa_system_sgpr_workgroup_id_x 1
		.amdhsa_system_sgpr_workgroup_id_y 0
		.amdhsa_system_sgpr_workgroup_id_z 0
		.amdhsa_system_sgpr_workgroup_info 0
		.amdhsa_system_vgpr_workitem_id 0
		.amdhsa_next_free_vgpr 14
		.amdhsa_next_free_sgpr 44
		.amdhsa_accum_offset 16
		.amdhsa_reserve_vcc 1
		.amdhsa_reserve_flat_scratch 0
		.amdhsa_float_round_mode_32 0
		.amdhsa_float_round_mode_16_64 0
		.amdhsa_float_denorm_mode_32 3
		.amdhsa_float_denorm_mode_16_64 3
		.amdhsa_dx10_clamp 1
		.amdhsa_ieee_mode 1
		.amdhsa_fp16_overflow 0
		.amdhsa_tg_split 0
		.amdhsa_exception_fp_ieee_invalid_op 0
		.amdhsa_exception_fp_denorm_src 0
		.amdhsa_exception_fp_ieee_div_zero 0
		.amdhsa_exception_fp_ieee_overflow 0
		.amdhsa_exception_fp_ieee_underflow 0
		.amdhsa_exception_fp_ieee_inexact 0
		.amdhsa_exception_int_div_zero 0
	.end_amdhsa_kernel
	.section	.text._ZN2at6native32elementwise_kernel_manual_unrollILi128ELi4EZNS0_15gpu_kernel_implINS0_13AUnaryFunctorIN3c104HalfES5_S5_ZNS0_20copysign_kernel_cudaERNS_18TensorIteratorBaseEEUlS5_S5_E_EEEEvS7_RKT_EUlibE_EEviT1_,"axG",@progbits,_ZN2at6native32elementwise_kernel_manual_unrollILi128ELi4EZNS0_15gpu_kernel_implINS0_13AUnaryFunctorIN3c104HalfES5_S5_ZNS0_20copysign_kernel_cudaERNS_18TensorIteratorBaseEEUlS5_S5_E_EEEEvS7_RKT_EUlibE_EEviT1_,comdat
.Lfunc_end6:
	.size	_ZN2at6native32elementwise_kernel_manual_unrollILi128ELi4EZNS0_15gpu_kernel_implINS0_13AUnaryFunctorIN3c104HalfES5_S5_ZNS0_20copysign_kernel_cudaERNS_18TensorIteratorBaseEEUlS5_S5_E_EEEEvS7_RKT_EUlibE_EEviT1_, .Lfunc_end6-_ZN2at6native32elementwise_kernel_manual_unrollILi128ELi4EZNS0_15gpu_kernel_implINS0_13AUnaryFunctorIN3c104HalfES5_S5_ZNS0_20copysign_kernel_cudaERNS_18TensorIteratorBaseEEUlS5_S5_E_EEEEvS7_RKT_EUlibE_EEviT1_
                                        ; -- End function
	.section	.AMDGPU.csdata,"",@progbits
; Kernel info:
; codeLenInByte = 33772
; NumSgprs: 48
; NumVgprs: 14
; NumAgprs: 0
; TotalNumVgprs: 14
; ScratchSize: 0
; MemoryBound: 0
; FloatMode: 240
; IeeeMode: 1
; LDSByteSize: 0 bytes/workgroup (compile time only)
; SGPRBlocks: 5
; VGPRBlocks: 1
; NumSGPRsForWavesPerEU: 48
; NumVGPRsForWavesPerEU: 14
; AccumOffset: 16
; Occupancy: 8
; WaveLimiterHint : 0
; COMPUTE_PGM_RSRC2:SCRATCH_EN: 0
; COMPUTE_PGM_RSRC2:USER_SGPR: 6
; COMPUTE_PGM_RSRC2:TRAP_HANDLER: 0
; COMPUTE_PGM_RSRC2:TGID_X_EN: 1
; COMPUTE_PGM_RSRC2:TGID_Y_EN: 0
; COMPUTE_PGM_RSRC2:TGID_Z_EN: 0
; COMPUTE_PGM_RSRC2:TIDIG_COMP_CNT: 0
; COMPUTE_PGM_RSRC3_GFX90A:ACCUM_OFFSET: 3
; COMPUTE_PGM_RSRC3_GFX90A:TG_SPLIT: 0
	.section	.text._ZN2at6native32elementwise_kernel_manual_unrollILi128ELi4EZNS0_15gpu_kernel_implINS0_13AUnaryFunctorIN3c104HalfES5_S5_ZNS0_20copysign_kernel_cudaERNS_18TensorIteratorBaseEEUlS5_S5_E_EEEEvS7_RKT_EUlibE0_EEviT1_,"axG",@progbits,_ZN2at6native32elementwise_kernel_manual_unrollILi128ELi4EZNS0_15gpu_kernel_implINS0_13AUnaryFunctorIN3c104HalfES5_S5_ZNS0_20copysign_kernel_cudaERNS_18TensorIteratorBaseEEUlS5_S5_E_EEEEvS7_RKT_EUlibE0_EEviT1_,comdat
	.globl	_ZN2at6native32elementwise_kernel_manual_unrollILi128ELi4EZNS0_15gpu_kernel_implINS0_13AUnaryFunctorIN3c104HalfES5_S5_ZNS0_20copysign_kernel_cudaERNS_18TensorIteratorBaseEEUlS5_S5_E_EEEEvS7_RKT_EUlibE0_EEviT1_ ; -- Begin function _ZN2at6native32elementwise_kernel_manual_unrollILi128ELi4EZNS0_15gpu_kernel_implINS0_13AUnaryFunctorIN3c104HalfES5_S5_ZNS0_20copysign_kernel_cudaERNS_18TensorIteratorBaseEEUlS5_S5_E_EEEEvS7_RKT_EUlibE0_EEviT1_
	.p2align	8
	.type	_ZN2at6native32elementwise_kernel_manual_unrollILi128ELi4EZNS0_15gpu_kernel_implINS0_13AUnaryFunctorIN3c104HalfES5_S5_ZNS0_20copysign_kernel_cudaERNS_18TensorIteratorBaseEEUlS5_S5_E_EEEEvS7_RKT_EUlibE0_EEviT1_,@function
_ZN2at6native32elementwise_kernel_manual_unrollILi128ELi4EZNS0_15gpu_kernel_implINS0_13AUnaryFunctorIN3c104HalfES5_S5_ZNS0_20copysign_kernel_cudaERNS_18TensorIteratorBaseEEUlS5_S5_E_EEEEvS7_RKT_EUlibE0_EEviT1_: ; @_ZN2at6native32elementwise_kernel_manual_unrollILi128ELi4EZNS0_15gpu_kernel_implINS0_13AUnaryFunctorIN3c104HalfES5_S5_ZNS0_20copysign_kernel_cudaERNS_18TensorIteratorBaseEEUlS5_S5_E_EEEEvS7_RKT_EUlibE0_EEviT1_
; %bb.0:
	s_load_dword s72, s[4:5], 0x0
	s_load_dword s33, s[4:5], 0x8
	s_or_b32 s34, s4, 8
	v_lshl_or_b32 v8, s6, 9, v0
	v_or_b32_e32 v16, 0x180, v8
	s_mov_b32 s35, s5
	s_waitcnt lgkmcnt(0)
	s_add_i32 s74, s33, -1
	s_cmp_gt_u32 s74, 1
	v_cmp_le_i32_e32 vcc, s72, v16
	s_cselect_b64 s[40:41], -1, 0
	s_mov_b64 s[6:7], 0
	s_mov_b64 s[28:29], 0
	s_and_saveexec_b64 s[0:1], vcc
	s_xor_b64 s[42:43], exec, s[0:1]
	s_cbranch_execz .LBB7_1090
; %bb.1:
	s_cmp_lg_u32 s33, 0
	s_cselect_b64 s[50:51], -1, 0
	s_add_u32 s48, s34, 0xc4
	s_load_dwordx4 s[28:31], s[34:35], 0x4
	s_load_dword s0, s[4:5], 0x160
	s_load_dwordx4 s[24:27], s[34:35], 0x148
	s_load_dword s75, s[34:35], 0x15c
	s_addc_u32 s49, s35, 0
	s_min_u32 s73, s74, 15
	s_cmp_gt_u32 s33, 1
	s_load_dwordx2 s[44:45], s[34:35], 0x14
	s_load_dwordx4 s[36:39], s[34:35], 0xc4
	s_cselect_b64 s[46:47], -1, 0
	s_waitcnt lgkmcnt(0)
	s_lshr_b32 s0, s0, 16
	v_mov_b32_e32 v0, 0x7fff
	v_and_b32_e32 v5, s0, v0
	v_cmp_ne_u16_e32 vcc, 0, v5
	v_lshrrev_b16_e64 v6, 8, s75
	v_cndmask_b32_e64 v4, 0, 1, vcc
	v_cmp_gt_i32_e32 vcc, s72, v8
	s_mov_b64 s[2:3], -1
	s_mov_b64 s[60:61], 0
	s_mov_b64 s[54:55], 0
	;; [unrolled: 1-line block ×3, first 2 shown]
	s_and_saveexec_b64 s[56:57], vcc
	s_cbranch_execz .LBB7_267
; %bb.2:
	s_andn2_b64 vcc, exec, s[40:41]
	s_cbranch_vccnz .LBB7_8
; %bb.3:
	s_mov_b32 s52, 0
	s_andn2_b64 vcc, exec, s[50:51]
	v_mov_b32_e32 v2, 0
	v_mov_b32_e32 v0, 0
	s_cbranch_vccnz .LBB7_14
; %bb.4:
	s_add_i32 s62, s73, 1
	s_cmp_eq_u32 s74, 2
	s_cbranch_scc1 .LBB7_9
; %bb.5:
	s_and_b32 s52, s62, 28
	s_mov_b32 s53, 0
	v_mov_b32_e32 v0, 0
	s_mov_b64 s[54:55], s[34:35]
	s_mov_b64 s[58:59], s[48:49]
	v_mov_b32_e32 v3, v8
	v_mov_b32_e32 v2, 0
.LBB7_6:                                ; =>This Inner Loop Header: Depth=1
	s_load_dwordx8 s[16:23], s[54:55], 0x4
	s_load_dwordx4 s[0:3], s[54:55], 0x24
	s_load_dwordx8 s[8:15], s[58:59], 0x0
	s_add_u32 s54, s54, 48
	s_addc_u32 s55, s55, 0
	s_waitcnt lgkmcnt(0)
	v_mul_hi_u32 v1, s17, v3
	v_add_u32_e32 v1, v3, v1
	v_lshrrev_b32_e32 v1, s18, v1
	v_mul_lo_u32 v7, v1, s16
	v_mul_hi_u32 v9, s20, v1
	v_sub_u32_e32 v3, v3, v7
	v_add_u32_e32 v7, v1, v9
	v_lshrrev_b32_e32 v7, s21, v7
	v_mul_lo_u32 v10, v7, s19
	v_mul_hi_u32 v11, s23, v7
	v_sub_u32_e32 v1, v1, v10
	v_add_u32_e32 v10, v7, v11
	v_mul_lo_u32 v9, v3, s9
	v_mul_lo_u32 v3, v3, s8
	;; [unrolled: 1-line block ×4, first 2 shown]
	v_lshrrev_b32_e32 v10, s0, v10
	v_add3_u32 v0, v3, v0, v1
	v_mul_hi_u32 v3, s2, v10
	v_add_u32_e32 v3, v10, v3
	v_lshrrev_b32_e32 v3, s3, v3
	s_add_i32 s53, s53, 4
	v_add3_u32 v1, v9, v2, v11
	v_mul_lo_u32 v2, v10, s22
	v_mul_lo_u32 v9, v3, s1
	s_add_u32 s58, s58, 32
	v_sub_u32_e32 v2, v7, v2
	v_sub_u32_e32 v9, v10, v9
	s_addc_u32 s59, s59, 0
	v_mul_lo_u32 v7, v2, s12
	v_mul_lo_u32 v2, v2, s13
	;; [unrolled: 1-line block ×4, first 2 shown]
	s_cmp_lg_u32 s52, s53
	v_add3_u32 v2, v2, v1, v9
	v_add3_u32 v0, v7, v0, v10
	s_cbranch_scc1 .LBB7_6
; %bb.7:
	v_mov_b32_e32 v1, v2
	s_branch .LBB7_10
.LBB7_8:
                                        ; implicit-def: $vgpr2
                                        ; implicit-def: $vgpr0
	s_branch .LBB7_15
.LBB7_9:
	s_mov_b32 s53, s52
	v_pk_mov_b32 v[0:1], s[52:53], s[52:53] op_sel:[0,1]
                                        ; implicit-def: $vgpr2
	v_mov_b32_e32 v3, v8
.LBB7_10:
	s_and_b32 s8, s62, 3
	s_cmp_eq_u32 s8, 0
	s_cbranch_scc1 .LBB7_14
; %bb.11:
	s_lshl_b32 s0, s52, 3
	s_add_u32 s0, s0, s34
	s_addc_u32 s1, s35, 0
	s_add_u32 s0, s0, 0xc4
	s_addc_u32 s1, s1, 0
	s_mul_i32 s2, s52, 12
	s_add_u32 s2, s34, s2
	s_addc_u32 s3, s35, 0
.LBB7_12:                               ; =>This Inner Loop Header: Depth=1
	s_load_dwordx2 s[10:11], s[2:3], 0x4
	s_load_dword s9, s[2:3], 0xc
	s_load_dwordx2 s[12:13], s[0:1], 0x0
	v_mov_b32_e32 v2, v1
	s_add_u32 s2, s2, 12
	s_waitcnt lgkmcnt(0)
	v_mul_hi_u32 v1, s11, v3
	v_add_u32_e32 v1, v3, v1
	v_lshrrev_b32_e32 v1, s9, v1
	s_addc_u32 s3, s3, 0
	v_mul_lo_u32 v7, v1, s10
	s_add_u32 s0, s0, 8
	v_sub_u32_e32 v7, v3, v7
	v_mov_b32_e32 v3, v1
	s_addc_u32 s1, s1, 0
	s_add_i32 s8, s8, -1
	v_mad_u64_u32 v[10:11], s[10:11], v7, s13, v[2:3]
	v_mad_u64_u32 v[0:1], s[10:11], v7, s12, v[0:1]
	s_cmp_lg_u32 s8, 0
	v_mov_b32_e32 v1, v10
	s_cbranch_scc1 .LBB7_12
; %bb.13:
	v_mov_b32_e32 v2, v1
.LBB7_14:
	s_cbranch_execnz .LBB7_17
.LBB7_15:
	v_mul_hi_u32 v0, s29, v8
	v_add_u32_e32 v0, v8, v0
	v_lshrrev_b32_e32 v1, s30, v0
	v_mul_lo_u32 v0, v1, s28
	v_sub_u32_e32 v0, v8, v0
	v_mul_lo_u32 v2, v0, s37
	s_andn2_b64 vcc, exec, s[46:47]
	v_mul_lo_u32 v0, v0, s36
	s_cbranch_vccnz .LBB7_17
; %bb.16:
	v_mul_hi_u32 v3, s44, v1
	v_add_u32_e32 v3, v1, v3
	v_lshrrev_b32_e32 v3, s45, v3
	v_mul_lo_u32 v3, v3, s31
	v_sub_u32_e32 v3, v1, v3
	v_mad_u64_u32 v[0:1], s[0:1], v3, s38, v[0:1]
	v_mad_u64_u32 v[2:3], s[0:1], v3, s39, v[2:3]
.LBB7_17:
	v_mov_b32_e32 v1, s27
	v_add_co_u32_e32 v2, vcc, s26, v2
	v_addc_co_u32_e32 v3, vcc, 0, v1, vcc
	v_cmp_gt_i16_e32 vcc, 11, v6
	s_cbranch_vccnz .LBB7_24
; %bb.18:
	v_cmp_lt_i16_e32 vcc, 25, v6
	s_cbranch_vccz .LBB7_33
; %bb.19:
	v_cmp_lt_i16_e32 vcc, 28, v6
	s_cbranch_vccz .LBB7_36
	;; [unrolled: 3-line block ×4, first 2 shown]
; %bb.22:
	v_cmp_eq_u16_e32 vcc, 46, v6
	s_mov_b64 s[8:9], 0
	s_cbranch_vccz .LBB7_42
; %bb.23:
	global_load_dword v1, v[2:3], off
	s_mov_b64 s[0:1], -1
	s_mov_b64 s[2:3], 0
	s_waitcnt vmcnt(0)
	v_lshlrev_b32_e32 v1, 16, v1
	v_cvt_f16_f32_e32 v1, v1
	s_branch .LBB7_44
.LBB7_24:
	s_mov_b64 s[2:3], 0
                                        ; implicit-def: $vgpr1
	s_mov_b64 s[0:1], 0
	s_cbranch_execnz .LBB7_217
.LBB7_25:
	s_andn2_b64 vcc, exec, s[0:1]
	s_cbranch_vccnz .LBB7_264
.LBB7_26:
	s_waitcnt vmcnt(0)
	v_and_b32_e32 v1, 0xffff8000, v1
	v_or_b32_e32 v2, v1, v5
	v_mov_b32_e32 v1, s25
	v_add_co_u32_e32 v0, vcc, s24, v0
	v_mov_b32_e32 v3, 11
	v_addc_co_u32_e32 v1, vcc, 0, v1, vcc
	v_cmp_lt_i16_sdwa s[0:1], s75, v3 src0_sel:BYTE_0 src1_sel:DWORD
	s_and_b64 vcc, exec, s[0:1]
	s_cbranch_vccnz .LBB7_34
; %bb.27:
	v_mov_b32_e32 v3, 25
	v_cmp_gt_i16_sdwa s[0:1], s75, v3 src0_sel:BYTE_0 src1_sel:DWORD
	s_and_b64 vcc, exec, s[0:1]
	s_cbranch_vccz .LBB7_37
; %bb.28:
	v_mov_b32_e32 v3, 28
	v_cmp_gt_i16_sdwa s[0:1], s75, v3 src0_sel:BYTE_0 src1_sel:DWORD
	s_and_b64 vcc, exec, s[0:1]
	s_cbranch_vccz .LBB7_39
	;; [unrolled: 5-line block ×4, first 2 shown]
; %bb.31:
	v_mov_b32_e32 v3, 46
	v_cmp_eq_u16_sdwa s[8:9], s75, v3 src0_sel:BYTE_0 src1_sel:DWORD
	s_mov_b64 s[10:11], 0
	s_mov_b64 s[0:1], -1
	s_and_b64 vcc, exec, s[8:9]
	s_mov_b64 s[8:9], 0
	s_cbranch_vccz .LBB7_48
; %bb.32:
	v_cvt_f32_f16_e32 v3, v2
	s_movk_i32 s0, 0x7fff
	v_mov_b32_e32 v7, 0x7fc0
	v_cmp_o_f16_e32 vcc, v2, v2
	v_bfe_u32 v9, v3, 16, 1
	v_add3_u32 v3, v3, v9, s0
	v_lshrrev_b32_e32 v3, 16, v3
	v_cndmask_b32_e32 v3, v7, v3, vcc
	global_store_dword v[0:1], v3, off
	s_mov_b64 s[8:9], -1
	s_mov_b64 s[0:1], 0
	s_branch .LBB7_48
.LBB7_33:
	s_mov_b64 s[2:3], 0
	s_mov_b64 s[0:1], 0
                                        ; implicit-def: $vgpr1
	s_cbranch_execnz .LBB7_182
	s_branch .LBB7_216
.LBB7_34:
	s_mov_b64 s[0:1], 0
	s_mov_b64 s[8:9], 0
	s_cbranch_execnz .LBB7_117
.LBB7_35:
	s_andn2_b64 vcc, exec, s[8:9]
	s_cbranch_vccnz .LBB7_265
	s_branch .LBB7_155
.LBB7_36:
	s_mov_b64 s[8:9], -1
	s_mov_b64 s[2:3], 0
	s_mov_b64 s[0:1], 0
                                        ; implicit-def: $vgpr1
	s_branch .LBB7_163
.LBB7_37:
	s_mov_b64 s[10:11], -1
	s_mov_b64 s[0:1], 0
	s_mov_b64 s[8:9], 0
	s_branch .LBB7_75
.LBB7_38:
	s_mov_b64 s[8:9], -1
	s_mov_b64 s[2:3], 0
	s_mov_b64 s[0:1], 0
                                        ; implicit-def: $vgpr1
	s_branch .LBB7_158
.LBB7_39:
	s_mov_b64 s[10:11], -1
	s_mov_b64 s[0:1], 0
	s_mov_b64 s[8:9], 0
	s_branch .LBB7_58
.LBB7_40:
	s_mov_b64 s[8:9], -1
	s_mov_b64 s[2:3], 0
	s_branch .LBB7_43
.LBB7_41:
	s_mov_b64 s[10:11], -1
	s_mov_b64 s[0:1], 0
	s_mov_b64 s[8:9], 0
	s_branch .LBB7_54
.LBB7_42:
	s_mov_b64 s[2:3], -1
.LBB7_43:
	s_mov_b64 s[0:1], 0
                                        ; implicit-def: $vgpr1
.LBB7_44:
	s_and_b64 vcc, exec, s[8:9]
	s_cbranch_vccz .LBB7_157
; %bb.45:
	v_cmp_eq_u16_e32 vcc, 44, v6
	s_cbranch_vccz .LBB7_156
; %bb.46:
	global_load_ubyte v1, v[2:3], off
	s_movk_i32 s2, 0xff
	v_mov_b32_e32 v9, 0x7e00
	s_mov_b64 s[0:1], -1
	s_waitcnt vmcnt(0)
	v_lshlrev_b32_e32 v7, 23, v1
	v_cvt_f16_f32_e32 v7, v7
	v_cmp_ne_u32_e32 vcc, s2, v1
	s_mov_b64 s[2:3], 0
	v_cndmask_b32_e32 v7, v9, v7, vcc
	v_cmp_ne_u32_e32 vcc, 0, v1
	v_cndmask_b32_e32 v1, 0, v7, vcc
	s_branch .LBB7_157
.LBB7_47:
	s_mov_b64 s[10:11], -1
	s_mov_b64 s[0:1], 0
	s_mov_b64 s[8:9], 0
.LBB7_48:
	s_and_b64 vcc, exec, s[10:11]
	s_cbranch_vccz .LBB7_53
; %bb.49:
	v_mov_b32_e32 v3, 44
	v_cmp_eq_u16_sdwa s[10:11], s75, v3 src0_sel:BYTE_0 src1_sel:DWORD
	s_mov_b64 s[0:1], -1
	s_and_b64 vcc, exec, s[10:11]
	s_cbranch_vccz .LBB7_53
; %bb.50:
	v_cvt_f32_f16_e32 v3, v2
	s_movk_i32 s0, 0xff
	v_mov_b32_e32 v9, 0xff
	v_bfe_u32 v7, v3, 23, 8
	v_cmp_ne_u32_e32 vcc, s0, v7
	s_and_saveexec_b64 s[8:9], vcc
; %bb.51:
	s_mov_b32 s0, 0x3fffff
	v_lshrrev_b32_e32 v9, 23, v3
	v_and_b32_e32 v10, 0x400000, v3
	v_and_or_b32 v3, v3, s0, v7
	v_cmp_ne_u32_e32 vcc, 0, v10
	v_cmp_ne_u32_e64 s[0:1], 0, v3
	s_and_b64 s[0:1], vcc, s[0:1]
	v_cndmask_b32_e64 v3, 0, 1, s[0:1]
	v_add_u32_e32 v9, v9, v3
; %bb.52:
	s_or_b64 exec, exec, s[8:9]
	s_mov_b64 s[8:9], -1
	s_mov_b64 s[0:1], 0
	global_store_byte v[0:1], v9, off
.LBB7_53:
	s_mov_b64 s[10:11], 0
.LBB7_54:
	s_and_b64 vcc, exec, s[10:11]
	s_cbranch_vccz .LBB7_57
; %bb.55:
	v_mov_b32_e32 v3, 29
	v_cmp_eq_u16_sdwa s[10:11], s75, v3 src0_sel:BYTE_0 src1_sel:DWORD
	s_mov_b64 s[0:1], -1
	s_and_b64 vcc, exec, s[10:11]
	s_cbranch_vccz .LBB7_57
; %bb.56:
	v_cvt_f32_f16_e32 v3, v2
	v_mov_b32_e32 v11, 0
	s_mov_b64 s[8:9], -1
	s_mov_b64 s[0:1], 0
	v_cvt_u32_f32_e32 v10, v3
	s_mov_b64 s[10:11], 0
	global_store_dwordx2 v[0:1], v[10:11], off
	s_branch .LBB7_58
.LBB7_57:
	s_mov_b64 s[10:11], 0
.LBB7_58:
	s_and_b64 vcc, exec, s[10:11]
	s_cbranch_vccz .LBB7_74
; %bb.59:
	v_mov_b32_e32 v3, 27
	v_cmp_lt_i16_sdwa s[10:11], s75, v3 src0_sel:BYTE_0 src1_sel:DWORD
	s_mov_b64 s[8:9], -1
	s_and_b64 vcc, exec, s[10:11]
	s_cbranch_vccnz .LBB7_65
; %bb.60:
	v_cmp_gt_i16_sdwa s[10:11], s75, v3 src0_sel:BYTE_0 src1_sel:DWORD
	s_and_b64 vcc, exec, s[10:11]
	s_cbranch_vccz .LBB7_62
; %bb.61:
	v_cvt_f32_f16_e32 v3, v2
	s_mov_b64 s[8:9], 0
	v_cvt_u32_f32_e32 v3, v3
	global_store_dword v[0:1], v3, off
.LBB7_62:
	s_andn2_b64 vcc, exec, s[8:9]
	s_cbranch_vccnz .LBB7_64
; %bb.63:
	v_cvt_u16_f16_e32 v3, v2
	global_store_short v[0:1], v3, off
.LBB7_64:
	s_mov_b64 s[8:9], 0
.LBB7_65:
	s_andn2_b64 vcc, exec, s[8:9]
	s_cbranch_vccnz .LBB7_73
; %bb.66:
	v_cvt_f32_f16_e32 v3, v2
	s_mov_b32 s8, 0x43800000
	v_mov_b32_e32 v9, 0x80
	v_and_b32_e32 v7, 0x7fffffff, v3
	v_cmp_gt_u32_e32 vcc, s8, v7
	s_and_saveexec_b64 s[8:9], vcc
	s_cbranch_execz .LBB7_72
; %bb.67:
	s_mov_b32 s10, 0x3bffffff
	v_cmp_lt_u32_e32 vcc, s10, v7
	s_mov_b64 s[10:11], 0
                                        ; implicit-def: $vgpr7
	s_and_saveexec_b64 s[12:13], vcc
	s_xor_b64 s[12:13], exec, s[12:13]
	s_cbranch_execz .LBB7_309
; %bb.68:
	v_bfe_u32 v7, v3, 20, 1
	s_mov_b32 s14, 0x487ffff
	v_add3_u32 v7, v3, v7, s14
	s_mov_b64 s[10:11], exec
	v_lshrrev_b32_e32 v7, 20, v7
	s_or_saveexec_b64 s[12:13], s[12:13]
                                        ; implicit-def: $sgpr14
	s_xor_b64 exec, exec, s[12:13]
	s_cbranch_execnz .LBB7_310
.LBB7_69:
	s_or_b64 exec, exec, s[12:13]
	v_mov_b32_e32 v9, s14
	s_and_saveexec_b64 s[12:13], s[10:11]
.LBB7_70:
	v_lshrrev_b32_e32 v3, 24, v3
	s_movk_i32 s10, 0x80
	v_and_or_b32 v9, v3, s10, v7
.LBB7_71:
	s_or_b64 exec, exec, s[12:13]
.LBB7_72:
	s_or_b64 exec, exec, s[8:9]
	global_store_byte v[0:1], v9, off
.LBB7_73:
	s_mov_b64 s[8:9], -1
.LBB7_74:
	s_mov_b64 s[10:11], 0
.LBB7_75:
	s_and_b64 vcc, exec, s[10:11]
	s_cbranch_vccz .LBB7_116
; %bb.76:
	v_mov_b32_e32 v3, 22
	v_cmp_gt_i16_sdwa s[12:13], s75, v3 src0_sel:BYTE_0 src1_sel:DWORD
	s_mov_b64 s[10:11], -1
	s_and_b64 vcc, exec, s[12:13]
	s_cbranch_vccz .LBB7_108
; %bb.77:
	v_mov_b32_e32 v3, 24
	v_cmp_lt_i16_sdwa s[10:11], s75, v3 src0_sel:BYTE_0 src1_sel:DWORD
	s_mov_b64 s[8:9], -1
	s_and_b64 vcc, exec, s[10:11]
	s_cbranch_vccnz .LBB7_97
; %bb.78:
	v_cmp_gt_i16_sdwa s[10:11], s75, v3 src0_sel:BYTE_0 src1_sel:DWORD
	s_and_b64 vcc, exec, s[10:11]
	s_cbranch_vccz .LBB7_86
; %bb.79:
	v_cvt_f32_f16_e32 v3, v2
	s_mov_b32 s8, 0x47800000
	v_mov_b32_e32 v9, 0x80
	v_and_b32_e32 v7, 0x7fffffff, v3
	v_cmp_gt_u32_e32 vcc, s8, v7
	s_and_saveexec_b64 s[8:9], vcc
	s_cbranch_execz .LBB7_85
; %bb.80:
	s_mov_b32 s10, 0x37ffffff
	v_cmp_lt_u32_e32 vcc, s10, v7
	s_mov_b64 s[10:11], 0
                                        ; implicit-def: $vgpr7
	s_and_saveexec_b64 s[12:13], vcc
	s_xor_b64 s[12:13], exec, s[12:13]
	s_cbranch_execz .LBB7_313
; %bb.81:
	v_bfe_u32 v7, v3, 21, 1
	s_mov_b32 s14, 0x88fffff
	v_add3_u32 v7, v3, v7, s14
	s_mov_b64 s[10:11], exec
	v_lshrrev_b32_e32 v7, 21, v7
	s_or_saveexec_b64 s[12:13], s[12:13]
                                        ; implicit-def: $sgpr14
	s_xor_b64 exec, exec, s[12:13]
	s_cbranch_execnz .LBB7_314
.LBB7_82:
	s_or_b64 exec, exec, s[12:13]
	v_mov_b32_e32 v9, s14
	s_and_saveexec_b64 s[12:13], s[10:11]
.LBB7_83:
	v_lshrrev_b32_e32 v3, 24, v3
	s_movk_i32 s10, 0x80
	v_and_or_b32 v9, v3, s10, v7
.LBB7_84:
	s_or_b64 exec, exec, s[12:13]
.LBB7_85:
	s_or_b64 exec, exec, s[8:9]
	s_mov_b64 s[8:9], 0
	global_store_byte v[0:1], v9, off
.LBB7_86:
	s_and_b64 vcc, exec, s[8:9]
	s_cbranch_vccz .LBB7_96
; %bb.87:
	v_cvt_f32_f16_e32 v3, v2
	s_mov_b32 s8, 0x43f00000
                                        ; implicit-def: $vgpr7
	v_and_b32_e32 v9, 0x7fffffff, v3
	v_cmp_gt_u32_e32 vcc, s8, v9
	s_and_saveexec_b64 s[8:9], vcc
	s_xor_b64 s[8:9], exec, s[8:9]
	s_cbranch_execz .LBB7_93
; %bb.88:
	s_mov_b32 s10, 0x3c7fffff
	v_cmp_lt_u32_e32 vcc, s10, v9
                                        ; implicit-def: $vgpr7
	s_and_saveexec_b64 s[10:11], vcc
	s_xor_b64 s[10:11], exec, s[10:11]
; %bb.89:
	v_bfe_u32 v7, v3, 20, 1
	s_mov_b32 s12, 0x407ffff
	v_add3_u32 v7, v3, v7, s12
	v_lshrrev_b32_e32 v9, 20, v7
	v_and_b32_e32 v7, 0xff00000, v7
	s_mov_b32 s12, 0x7f00000
	v_mov_b32_e32 v10, 0x7e
	v_cmp_ne_u32_e32 vcc, s12, v7
	v_cndmask_b32_e32 v7, v10, v9, vcc
; %bb.90:
	s_andn2_saveexec_b64 s[10:11], s[10:11]
; %bb.91:
	s_mov_b32 s12, 0x46800000
	v_add_f32_e64 v7, |v3|, s12
; %bb.92:
	s_or_b64 exec, exec, s[10:11]
                                        ; implicit-def: $vgpr9
.LBB7_93:
	s_andn2_saveexec_b64 s[8:9], s[8:9]
; %bb.94:
	s_mov_b32 s10, 0x7f800000
	v_mov_b32_e32 v7, 0x7e
	v_mov_b32_e32 v10, 0x7f
	v_cmp_lt_u32_e32 vcc, s10, v9
	v_cndmask_b32_e32 v7, v7, v10, vcc
; %bb.95:
	s_or_b64 exec, exec, s[8:9]
	v_lshrrev_b32_e32 v3, 24, v3
	s_movk_i32 s8, 0x80
	v_and_or_b32 v3, v3, s8, v7
	global_store_byte v[0:1], v3, off
.LBB7_96:
	s_mov_b64 s[8:9], 0
.LBB7_97:
	s_andn2_b64 vcc, exec, s[8:9]
	s_cbranch_vccnz .LBB7_107
; %bb.98:
	v_cvt_f32_f16_e32 v3, v2
	s_mov_b32 s8, 0x47800000
                                        ; implicit-def: $vgpr7
	v_and_b32_e32 v9, 0x7fffffff, v3
	v_cmp_gt_u32_e32 vcc, s8, v9
	s_and_saveexec_b64 s[8:9], vcc
	s_xor_b64 s[8:9], exec, s[8:9]
	s_cbranch_execz .LBB7_104
; %bb.99:
	s_mov_b32 s10, 0x387fffff
	v_cmp_lt_u32_e32 vcc, s10, v9
                                        ; implicit-def: $vgpr7
	s_and_saveexec_b64 s[10:11], vcc
	s_xor_b64 s[10:11], exec, s[10:11]
; %bb.100:
	v_bfe_u32 v7, v3, 21, 1
	s_mov_b32 s12, 0x80fffff
	v_add3_u32 v7, v3, v7, s12
	v_lshrrev_b32_e32 v7, 21, v7
; %bb.101:
	s_andn2_saveexec_b64 s[10:11], s[10:11]
; %bb.102:
	s_mov_b32 s12, 0x43000000
	v_add_f32_e64 v7, |v3|, s12
; %bb.103:
	s_or_b64 exec, exec, s[10:11]
                                        ; implicit-def: $vgpr9
.LBB7_104:
	s_andn2_saveexec_b64 s[8:9], s[8:9]
; %bb.105:
	s_mov_b32 s10, 0x7f800000
	v_mov_b32_e32 v7, 0x7c
	v_mov_b32_e32 v10, 0x7f
	v_cmp_lt_u32_e32 vcc, s10, v9
	v_cndmask_b32_e32 v7, v7, v10, vcc
; %bb.106:
	s_or_b64 exec, exec, s[8:9]
	v_lshrrev_b32_e32 v3, 24, v3
	s_movk_i32 s8, 0x80
	v_and_or_b32 v3, v3, s8, v7
	global_store_byte v[0:1], v3, off
.LBB7_107:
	s_mov_b64 s[10:11], 0
	s_mov_b64 s[8:9], -1
.LBB7_108:
	s_andn2_b64 vcc, exec, s[10:11]
	s_cbranch_vccnz .LBB7_116
; %bb.109:
	v_mov_b32_e32 v3, 14
	v_cmp_gt_i16_sdwa s[12:13], s75, v3 src0_sel:BYTE_0 src1_sel:DWORD
	s_mov_b64 s[10:11], -1
	s_and_b64 vcc, exec, s[12:13]
	s_cbranch_vccz .LBB7_113
; %bb.110:
	v_mov_b32_e32 v3, 15
	v_cmp_eq_u16_sdwa s[10:11], s75, v3 src0_sel:BYTE_0 src1_sel:DWORD
	s_mov_b64 s[0:1], -1
	s_and_b64 vcc, exec, s[10:11]
	s_cbranch_vccz .LBB7_112
; %bb.111:
	v_cvt_f32_f16_e32 v3, v2
	s_movk_i32 s0, 0x7fff
	v_mov_b32_e32 v7, 0x7fc0
	v_cmp_o_f16_e32 vcc, v2, v2
	v_bfe_u32 v9, v3, 16, 1
	v_add3_u32 v3, v3, v9, s0
	v_lshrrev_b32_e32 v3, 16, v3
	v_cndmask_b32_e32 v3, v7, v3, vcc
	global_store_short v[0:1], v3, off
	s_mov_b64 s[8:9], -1
	s_mov_b64 s[0:1], 0
.LBB7_112:
	s_mov_b64 s[10:11], 0
.LBB7_113:
	s_and_b64 vcc, exec, s[10:11]
	s_cbranch_vccz .LBB7_116
; %bb.114:
	v_mov_b32_e32 v3, 11
	v_cmp_eq_u16_sdwa s[10:11], s75, v3 src0_sel:BYTE_0 src1_sel:DWORD
	s_mov_b64 s[0:1], -1
	s_and_b64 vcc, exec, s[10:11]
	s_cbranch_vccz .LBB7_116
; %bb.115:
	s_mov_b64 s[8:9], -1
	s_mov_b64 s[0:1], 0
	global_store_byte v[0:1], v4, off
.LBB7_116:
	s_branch .LBB7_35
.LBB7_117:
	v_mov_b32_e32 v3, 5
	v_cmp_lt_i16_sdwa s[10:11], s75, v3 src0_sel:BYTE_0 src1_sel:DWORD
	s_mov_b64 s[8:9], -1
	s_and_b64 vcc, exec, s[10:11]
	s_cbranch_vccnz .LBB7_138
; %bb.118:
	v_mov_b32_e32 v3, 8
	v_cmp_lt_i16_sdwa s[10:11], s75, v3 src0_sel:BYTE_0 src1_sel:DWORD
	s_and_b64 vcc, exec, s[10:11]
	s_cbranch_vccnz .LBB7_128
; %bb.119:
	v_mov_b32_e32 v3, 9
	v_cmp_lt_i16_sdwa s[10:11], s75, v3 src0_sel:BYTE_0 src1_sel:DWORD
	s_and_b64 vcc, exec, s[10:11]
	s_cbranch_vccnz .LBB7_125
; %bb.120:
	v_cmp_gt_i16_sdwa s[10:11], s75, v3 src0_sel:BYTE_0 src1_sel:DWORD
	s_and_b64 vcc, exec, s[10:11]
	s_cbranch_vccz .LBB7_122
; %bb.121:
	v_cvt_f32_f16_e32 v3, v2
	v_mov_b32_e32 v12, 0
	v_mov_b32_e32 v13, v12
	s_mov_b64 s[8:9], 0
	v_cvt_f64_f32_e32 v[10:11], v3
	global_store_dwordx4 v[0:1], v[10:13], off
.LBB7_122:
	s_andn2_b64 vcc, exec, s[8:9]
	s_cbranch_vccnz .LBB7_124
; %bb.123:
	v_cvt_f32_f16_e32 v10, v2
	v_mov_b32_e32 v11, 0
	global_store_dwordx2 v[0:1], v[10:11], off
.LBB7_124:
	s_mov_b64 s[8:9], 0
.LBB7_125:
	s_andn2_b64 vcc, exec, s[8:9]
	s_cbranch_vccnz .LBB7_127
; %bb.126:
	v_and_b32_e32 v3, 0xffff, v2
	global_store_dword v[0:1], v3, off
.LBB7_127:
	s_mov_b64 s[8:9], 0
.LBB7_128:
	s_andn2_b64 vcc, exec, s[8:9]
	s_cbranch_vccnz .LBB7_137
; %bb.129:
	v_mov_b32_e32 v3, 6
	v_cmp_lt_i16_sdwa s[10:11], s75, v3 src0_sel:BYTE_0 src1_sel:DWORD
	s_mov_b64 s[8:9], -1
	s_and_b64 vcc, exec, s[10:11]
	s_cbranch_vccnz .LBB7_135
; %bb.130:
	v_cmp_gt_i16_sdwa s[10:11], s75, v3 src0_sel:BYTE_0 src1_sel:DWORD
	s_and_b64 vcc, exec, s[10:11]
	s_cbranch_vccz .LBB7_132
; %bb.131:
	v_cvt_f32_f16_e32 v3, v2
	s_mov_b64 s[8:9], 0
	v_cvt_f64_f32_e32 v[10:11], v3
	global_store_dwordx2 v[0:1], v[10:11], off
.LBB7_132:
	s_andn2_b64 vcc, exec, s[8:9]
	s_cbranch_vccnz .LBB7_134
; %bb.133:
	v_cvt_f32_f16_e32 v3, v2
	global_store_dword v[0:1], v3, off
.LBB7_134:
	s_mov_b64 s[8:9], 0
.LBB7_135:
	s_andn2_b64 vcc, exec, s[8:9]
	s_cbranch_vccnz .LBB7_137
; %bb.136:
	global_store_short v[0:1], v2, off
.LBB7_137:
	s_mov_b64 s[8:9], 0
.LBB7_138:
	s_andn2_b64 vcc, exec, s[8:9]
	s_cbranch_vccnz .LBB7_154
; %bb.139:
	v_mov_b32_e32 v3, 2
	v_cmp_lt_i16_sdwa s[10:11], s75, v3 src0_sel:BYTE_0 src1_sel:DWORD
	s_mov_b64 s[8:9], -1
	s_and_b64 vcc, exec, s[10:11]
	s_cbranch_vccnz .LBB7_149
; %bb.140:
	v_mov_b32_e32 v3, 3
	v_cmp_lt_i16_sdwa s[10:11], s75, v3 src0_sel:BYTE_0 src1_sel:DWORD
	s_and_b64 vcc, exec, s[10:11]
	s_cbranch_vccnz .LBB7_146
; %bb.141:
	v_cmp_gt_i16_sdwa s[10:11], s75, v3 src0_sel:BYTE_0 src1_sel:DWORD
	s_and_b64 vcc, exec, s[10:11]
	s_cbranch_vccz .LBB7_143
; %bb.142:
	v_cvt_f32_f16_e32 v3, v2
	s_mov_b64 s[8:9], 0
	v_cvt_i32_f32_e32 v10, v3
	v_ashrrev_i32_e32 v11, 31, v10
	global_store_dwordx2 v[0:1], v[10:11], off
.LBB7_143:
	s_andn2_b64 vcc, exec, s[8:9]
	s_cbranch_vccnz .LBB7_145
; %bb.144:
	v_cvt_f32_f16_e32 v3, v2
	v_cvt_i32_f32_e32 v3, v3
	global_store_dword v[0:1], v3, off
.LBB7_145:
	s_mov_b64 s[8:9], 0
.LBB7_146:
	s_andn2_b64 vcc, exec, s[8:9]
	s_cbranch_vccnz .LBB7_148
; %bb.147:
	v_cvt_i16_f16_e32 v3, v2
	global_store_short v[0:1], v3, off
.LBB7_148:
	s_mov_b64 s[8:9], 0
.LBB7_149:
	s_andn2_b64 vcc, exec, s[8:9]
	s_cbranch_vccnz .LBB7_154
; %bb.150:
	v_mov_b32_e32 v3, 0
	v_cmp_gt_i16_sdwa s[10:11], s75, v3 src0_sel:BYTE_0 src1_sel:DWORD
	s_mov_b64 s[8:9], -1
	s_and_b64 vcc, exec, s[10:11]
	s_cbranch_vccz .LBB7_152
; %bb.151:
	v_cvt_i16_f16_e32 v3, v2
	global_store_byte v[0:1], v3, off
	s_mov_b64 s[8:9], 0
.LBB7_152:
	s_andn2_b64 vcc, exec, s[8:9]
	s_cbranch_vccnz .LBB7_154
; %bb.153:
	v_cvt_f32_f16_e32 v2, v2
	v_cvt_i32_f32_e32 v2, v2
	global_store_byte v[0:1], v2, off
.LBB7_154:
.LBB7_155:
	v_add_u32_e32 v8, 0x80, v8
	s_mov_b64 s[8:9], -1
	s_branch .LBB7_266
.LBB7_156:
	s_mov_b64 s[2:3], -1
                                        ; implicit-def: $vgpr1
.LBB7_157:
	s_mov_b64 s[8:9], 0
.LBB7_158:
	s_and_b64 vcc, exec, s[8:9]
	s_cbranch_vccz .LBB7_162
; %bb.159:
	v_cmp_eq_u16_e32 vcc, 29, v6
	s_cbranch_vccz .LBB7_161
; %bb.160:
	global_load_dwordx2 v[10:11], v[2:3], off
	s_mov_b64 s[0:1], -1
	s_mov_b64 s[2:3], 0
	s_mov_b64 s[8:9], 0
	s_waitcnt vmcnt(0)
	v_ffbh_u32_e32 v1, v11
	v_min_u32_e32 v1, 32, v1
	v_lshlrev_b64 v[10:11], v1, v[10:11]
	v_min_u32_e32 v7, 1, v10
	v_or_b32_e32 v7, v11, v7
	v_cvt_f32_u32_e32 v7, v7
	v_sub_u32_e32 v1, 32, v1
	v_ldexp_f32 v1, v7, v1
	v_cvt_f16_f32_e32 v1, v1
	s_branch .LBB7_163
.LBB7_161:
	s_mov_b64 s[2:3], -1
                                        ; implicit-def: $vgpr1
.LBB7_162:
	s_mov_b64 s[8:9], 0
.LBB7_163:
	s_and_b64 vcc, exec, s[8:9]
	s_cbranch_vccz .LBB7_181
; %bb.164:
	v_cmp_gt_i16_e32 vcc, 27, v6
	s_cbranch_vccnz .LBB7_167
; %bb.165:
	v_cmp_lt_i16_e32 vcc, 27, v6
	s_cbranch_vccz .LBB7_168
; %bb.166:
	global_load_dword v1, v[2:3], off
	s_mov_b64 s[0:1], 0
	s_waitcnt vmcnt(0)
	v_cvt_f32_u32_e32 v1, v1
	v_cvt_f16_f32_e32 v1, v1
	s_branch .LBB7_169
.LBB7_167:
	s_mov_b64 s[0:1], -1
                                        ; implicit-def: $vgpr1
	s_branch .LBB7_172
.LBB7_168:
	s_mov_b64 s[0:1], -1
                                        ; implicit-def: $vgpr1
.LBB7_169:
	s_andn2_b64 vcc, exec, s[0:1]
	s_cbranch_vccnz .LBB7_171
; %bb.170:
	global_load_ushort v1, v[2:3], off
	s_waitcnt vmcnt(0)
	v_cvt_f16_u16_e32 v1, v1
.LBB7_171:
	s_mov_b64 s[0:1], 0
.LBB7_172:
	s_andn2_b64 vcc, exec, s[0:1]
	s_cbranch_vccnz .LBB7_180
; %bb.173:
	global_load_ubyte v7, v[2:3], off
	s_movk_i32 s0, 0x7f
                                        ; implicit-def: $sgpr12
	s_waitcnt vmcnt(0)
	v_cmp_lt_i16_e32 vcc, s0, v7
	s_mov_b64 s[0:1], 0
	s_and_saveexec_b64 s[8:9], vcc
	s_xor_b64 s[8:9], exec, s[8:9]
	s_cbranch_execz .LBB7_193
; %bb.174:
	s_movk_i32 s0, 0x80
	v_cmp_eq_u16_e32 vcc, s0, v7
	s_mov_b64 s[0:1], -1
                                        ; implicit-def: $sgpr12
	s_and_saveexec_b64 s[10:11], vcc
; %bb.175:
	s_movk_i32 s12, 0x7e00
	s_xor_b64 s[0:1], exec, -1
; %bb.176:
	s_or_b64 exec, exec, s[10:11]
	s_and_b64 s[0:1], s[0:1], exec
	s_or_saveexec_b64 s[8:9], s[8:9]
	v_mov_b32_e32 v1, s12
	s_xor_b64 exec, exec, s[8:9]
	s_cbranch_execnz .LBB7_194
.LBB7_177:
	s_or_b64 exec, exec, s[8:9]
	s_and_saveexec_b64 s[8:9], s[0:1]
	s_cbranch_execz .LBB7_179
.LBB7_178:
	v_lshlrev_b32_e32 v1, 24, v7
	v_and_b32_e32 v7, 0xffff, v7
	v_and_b32_e32 v9, 7, v7
	v_ffbh_u32_e32 v11, v9
	v_min_u32_e32 v11, 32, v11
	v_subrev_u32_e32 v12, 28, v11
	v_bfe_u32 v10, v7, 3, 4
	v_lshlrev_b32_e32 v7, v12, v7
	v_sub_u32_e32 v11, 29, v11
	v_and_b32_e32 v7, 7, v7
	v_cmp_eq_u32_e32 vcc, 0, v10
	v_cndmask_b32_e32 v10, v10, v11, vcc
	v_cndmask_b32_e32 v7, v9, v7, vcc
	v_mov_b32_e32 v9, 0x3b800000
	v_lshlrev_b32_e32 v7, 20, v7
	v_and_b32_e32 v1, 0x80000000, v1
	v_lshl_add_u32 v9, v10, 23, v9
	v_or3_b32 v1, v1, v9, v7
	v_cvt_f16_f32_e32 v1, v1
.LBB7_179:
	s_or_b64 exec, exec, s[8:9]
.LBB7_180:
	s_mov_b64 s[0:1], -1
.LBB7_181:
	s_branch .LBB7_216
.LBB7_182:
	v_cmp_lt_i16_e32 vcc, 22, v6
	s_cbranch_vccz .LBB7_192
; %bb.183:
	v_cmp_gt_i16_e32 vcc, 24, v6
	s_cbranch_vccnz .LBB7_195
; %bb.184:
	v_cmp_lt_i16_e32 vcc, 24, v6
	s_cbranch_vccz .LBB7_196
; %bb.185:
	global_load_ubyte v7, v[2:3], off
	s_movk_i32 s0, 0x7f
                                        ; implicit-def: $sgpr12
	s_waitcnt vmcnt(0)
	v_cmp_lt_i16_e32 vcc, s0, v7
	s_mov_b64 s[0:1], 0
	s_and_saveexec_b64 s[8:9], vcc
	s_xor_b64 s[8:9], exec, s[8:9]
	s_cbranch_execz .LBB7_208
; %bb.186:
	s_movk_i32 s0, 0x80
	v_cmp_eq_u16_e32 vcc, s0, v7
	s_mov_b64 s[0:1], -1
                                        ; implicit-def: $sgpr12
	s_and_saveexec_b64 s[10:11], vcc
; %bb.187:
	s_movk_i32 s12, 0x7e00
	s_xor_b64 s[0:1], exec, -1
; %bb.188:
	s_or_b64 exec, exec, s[10:11]
	s_and_b64 s[0:1], s[0:1], exec
	s_or_saveexec_b64 s[8:9], s[8:9]
	v_mov_b32_e32 v1, s12
	s_xor_b64 exec, exec, s[8:9]
	s_cbranch_execnz .LBB7_209
.LBB7_189:
	s_or_b64 exec, exec, s[8:9]
	s_and_saveexec_b64 s[8:9], s[0:1]
	s_cbranch_execz .LBB7_191
.LBB7_190:
	v_lshlrev_b32_e32 v1, 24, v7
	v_and_b32_e32 v7, 0xffff, v7
	v_and_b32_e32 v9, 3, v7
	v_ffbh_u32_e32 v11, v9
	v_min_u32_e32 v11, 32, v11
	v_subrev_u32_e32 v12, 29, v11
	v_bfe_u32 v10, v7, 2, 5
	v_lshlrev_b32_e32 v7, v12, v7
	v_sub_u32_e32 v11, 30, v11
	v_and_b32_e32 v7, 3, v7
	v_cmp_eq_u32_e32 vcc, 0, v10
	v_cndmask_b32_e32 v10, v10, v11, vcc
	v_cndmask_b32_e32 v7, v9, v7, vcc
	v_mov_b32_e32 v9, 0x37800000
	v_lshlrev_b32_e32 v7, 21, v7
	v_and_b32_e32 v1, 0x80000000, v1
	v_lshl_add_u32 v9, v10, 23, v9
	v_or3_b32 v1, v1, v9, v7
	v_cvt_f16_f32_e32 v1, v1
.LBB7_191:
	s_or_b64 exec, exec, s[8:9]
	s_mov_b64 s[0:1], 0
	s_branch .LBB7_197
.LBB7_192:
	s_mov_b64 s[8:9], -1
                                        ; implicit-def: $vgpr1
	s_branch .LBB7_203
.LBB7_193:
	s_or_saveexec_b64 s[8:9], s[8:9]
	v_mov_b32_e32 v1, s12
	s_xor_b64 exec, exec, s[8:9]
	s_cbranch_execz .LBB7_177
.LBB7_194:
	v_cmp_ne_u16_e32 vcc, 0, v7
	s_andn2_b64 s[0:1], s[0:1], exec
	s_and_b64 s[10:11], vcc, exec
	s_or_b64 s[0:1], s[0:1], s[10:11]
	v_mov_b32_e32 v1, v7
	s_or_b64 exec, exec, s[8:9]
	s_and_saveexec_b64 s[8:9], s[0:1]
	s_cbranch_execnz .LBB7_178
	s_branch .LBB7_179
.LBB7_195:
	s_mov_b64 s[0:1], -1
                                        ; implicit-def: $vgpr1
	s_branch .LBB7_200
.LBB7_196:
	s_mov_b64 s[0:1], -1
                                        ; implicit-def: $vgpr1
.LBB7_197:
	s_and_b64 vcc, exec, s[0:1]
	s_cbranch_vccz .LBB7_199
; %bb.198:
	global_load_ubyte v1, v[2:3], off
	s_mov_b32 s0, 0x7f800000
	s_waitcnt vmcnt(0)
	v_lshlrev_b32_e32 v1, 24, v1
	v_and_b32_e32 v7, 0x7f000000, v1
	v_ffbh_u32_e32 v9, v7
	v_min_u32_e32 v9, 32, v9
	v_sub_u32_e64 v9, v9, 4 clamp
	v_lshlrev_b32_e32 v11, v9, v7
	v_lshlrev_b32_e32 v9, 23, v9
	v_lshrrev_b32_e32 v11, 4, v11
	v_add_u32_e32 v10, 0x1000000, v7
	v_sub_u32_e32 v9, v11, v9
	v_ashrrev_i32_e32 v10, 8, v10
	v_add_u32_e32 v9, 0x3c000000, v9
	v_and_or_b32 v9, v10, s0, v9
	v_cmp_ne_u32_e32 vcc, 0, v7
	v_cndmask_b32_e32 v7, 0, v9, vcc
	s_brev_b32 s0, 1
	v_and_or_b32 v1, v1, s0, v7
	v_cvt_f16_f32_e32 v1, v1
.LBB7_199:
	s_mov_b64 s[0:1], 0
.LBB7_200:
	s_andn2_b64 vcc, exec, s[0:1]
	s_cbranch_vccnz .LBB7_202
; %bb.201:
	global_load_ubyte v1, v[2:3], off
	s_movk_i32 s0, 0x7f00
	s_brev_b32 s1, 16
	s_waitcnt vmcnt(0)
	v_lshlrev_b16_e32 v7, 8, v1
	v_lshlrev_b32_e32 v1, 25, v1
	v_lshrrev_b32_e32 v9, 4, v1
	v_and_or_b32 v10, v7, s0, 0.5
	v_or_b32_e32 v9, 0x70000000, v9
	v_add_f32_e32 v10, -0.5, v10
	v_mul_f32_e32 v9, 0x7800000, v9
	v_cmp_gt_u32_e32 vcc, s1, v1
	v_bfe_i32 v7, v7, 0, 16
	v_cndmask_b32_e32 v1, v9, v10, vcc
	s_brev_b32 s0, 1
	v_and_or_b32 v1, v7, s0, v1
	v_cvt_f16_f32_e32 v1, v1
.LBB7_202:
	s_mov_b64 s[8:9], 0
	s_mov_b64 s[0:1], -1
.LBB7_203:
	s_andn2_b64 vcc, exec, s[8:9]
	s_cbranch_vccnz .LBB7_216
; %bb.204:
	v_cmp_lt_i16_e32 vcc, 14, v6
	s_cbranch_vccz .LBB7_207
; %bb.205:
	v_cmp_eq_u16_e32 vcc, 15, v6
	s_cbranch_vccz .LBB7_210
; %bb.206:
	global_load_ushort v1, v[2:3], off
	s_mov_b64 s[0:1], -1
	s_mov_b64 s[2:3], 0
	s_waitcnt vmcnt(0)
	v_lshlrev_b32_e32 v1, 16, v1
	v_cvt_f16_f32_e32 v1, v1
	s_branch .LBB7_211
.LBB7_207:
	s_mov_b64 s[8:9], -1
                                        ; implicit-def: $vgpr1
	s_branch .LBB7_212
.LBB7_208:
	s_or_saveexec_b64 s[8:9], s[8:9]
	v_mov_b32_e32 v1, s12
	s_xor_b64 exec, exec, s[8:9]
	s_cbranch_execz .LBB7_189
.LBB7_209:
	v_cmp_ne_u16_e32 vcc, 0, v7
	s_andn2_b64 s[0:1], s[0:1], exec
	s_and_b64 s[10:11], vcc, exec
	s_or_b64 s[0:1], s[0:1], s[10:11]
	v_mov_b32_e32 v1, v7
	s_or_b64 exec, exec, s[8:9]
	s_and_saveexec_b64 s[8:9], s[0:1]
	s_cbranch_execnz .LBB7_190
	s_branch .LBB7_191
.LBB7_210:
	s_mov_b64 s[2:3], -1
                                        ; implicit-def: $vgpr1
.LBB7_211:
	s_mov_b64 s[8:9], 0
.LBB7_212:
	s_and_b64 vcc, exec, s[8:9]
	s_cbranch_vccz .LBB7_216
; %bb.213:
	v_cmp_eq_u16_e32 vcc, 11, v6
	s_cbranch_vccz .LBB7_215
; %bb.214:
	global_load_ubyte v1, v[2:3], off
	v_mov_b32_e32 v7, 0x3c00
	s_mov_b64 s[0:1], -1
	s_mov_b64 s[2:3], 0
	s_waitcnt vmcnt(0)
	v_cmp_ne_u16_e32 vcc, 0, v1
	v_cndmask_b32_e32 v1, 0, v7, vcc
	s_branch .LBB7_216
.LBB7_215:
	s_mov_b64 s[2:3], -1
                                        ; implicit-def: $vgpr1
.LBB7_216:
	s_branch .LBB7_25
.LBB7_217:
	v_cmp_gt_i16_e32 vcc, 5, v6
	s_cbranch_vccnz .LBB7_222
; %bb.218:
	v_cmp_gt_i16_e32 vcc, 8, v6
	s_cbranch_vccnz .LBB7_223
; %bb.219:
	;; [unrolled: 3-line block ×3, first 2 shown]
	v_cmp_lt_i16_e32 vcc, 9, v6
	s_cbranch_vccz .LBB7_225
; %bb.221:
	global_load_dwordx2 v[10:11], v[2:3], off
	s_mov_b64 s[0:1], 0
	s_waitcnt vmcnt(0)
	v_cvt_f32_f64_e32 v1, v[10:11]
	v_cvt_f16_f32_e32 v1, v1
	s_branch .LBB7_226
.LBB7_222:
                                        ; implicit-def: $vgpr1
	s_branch .LBB7_244
.LBB7_223:
	s_mov_b64 s[0:1], -1
                                        ; implicit-def: $vgpr1
	s_branch .LBB7_232
.LBB7_224:
	s_mov_b64 s[0:1], -1
                                        ; implicit-def: $vgpr1
	s_branch .LBB7_229
.LBB7_225:
	s_mov_b64 s[0:1], -1
                                        ; implicit-def: $vgpr1
.LBB7_226:
	s_andn2_b64 vcc, exec, s[0:1]
	s_cbranch_vccnz .LBB7_228
; %bb.227:
	global_load_dword v1, v[2:3], off
	s_waitcnt vmcnt(0)
	v_cvt_f16_f32_e32 v1, v1
.LBB7_228:
	s_mov_b64 s[0:1], 0
.LBB7_229:
	s_andn2_b64 vcc, exec, s[0:1]
	s_cbranch_vccnz .LBB7_231
; %bb.230:
	global_load_dword v1, v[2:3], off
.LBB7_231:
	s_mov_b64 s[0:1], 0
.LBB7_232:
	s_andn2_b64 vcc, exec, s[0:1]
	s_cbranch_vccnz .LBB7_243
; %bb.233:
	v_cmp_gt_i16_e32 vcc, 6, v6
	s_cbranch_vccnz .LBB7_236
; %bb.234:
	v_cmp_lt_i16_e32 vcc, 6, v6
	s_cbranch_vccz .LBB7_237
; %bb.235:
	global_load_dwordx2 v[10:11], v[2:3], off
	s_mov_b64 s[0:1], 0
	s_waitcnt vmcnt(0)
	v_cvt_f32_f64_e32 v1, v[10:11]
	v_cvt_f16_f32_e32 v1, v1
	s_branch .LBB7_238
.LBB7_236:
	s_mov_b64 s[0:1], -1
                                        ; implicit-def: $vgpr1
	s_branch .LBB7_241
.LBB7_237:
	s_mov_b64 s[0:1], -1
                                        ; implicit-def: $vgpr1
.LBB7_238:
	s_andn2_b64 vcc, exec, s[0:1]
	s_cbranch_vccnz .LBB7_240
; %bb.239:
	global_load_dword v1, v[2:3], off
	s_waitcnt vmcnt(0)
	v_cvt_f16_f32_e32 v1, v1
.LBB7_240:
	s_mov_b64 s[0:1], 0
.LBB7_241:
	s_andn2_b64 vcc, exec, s[0:1]
	s_cbranch_vccnz .LBB7_243
; %bb.242:
	global_load_ushort v1, v[2:3], off
.LBB7_243:
	s_cbranch_execnz .LBB7_263
.LBB7_244:
	v_cmp_gt_i16_e32 vcc, 2, v6
	s_cbranch_vccnz .LBB7_248
; %bb.245:
	v_cmp_gt_i16_e32 vcc, 3, v6
	s_cbranch_vccnz .LBB7_249
; %bb.246:
	v_cmp_lt_i16_e32 vcc, 3, v6
	s_cbranch_vccz .LBB7_250
; %bb.247:
	global_load_dwordx2 v[10:11], v[2:3], off
	s_mov_b64 s[0:1], 0
	s_waitcnt vmcnt(0)
	v_xor_b32_e32 v7, v10, v11
	v_ffbh_i32_e32 v1, v11
	v_ashrrev_i32_e32 v7, 31, v7
	v_add_u32_e32 v1, -1, v1
	v_add_u32_e32 v7, 32, v7
	v_min_u32_e32 v1, v1, v7
	v_lshlrev_b64 v[10:11], v1, v[10:11]
	v_min_u32_e32 v7, 1, v10
	v_or_b32_e32 v7, v11, v7
	v_cvt_f32_i32_e32 v7, v7
	v_sub_u32_e32 v1, 32, v1
	v_ldexp_f32 v1, v7, v1
	v_cvt_f16_f32_e32 v1, v1
	s_branch .LBB7_251
.LBB7_248:
	s_mov_b64 s[0:1], -1
                                        ; implicit-def: $vgpr1
	s_branch .LBB7_257
.LBB7_249:
	s_mov_b64 s[0:1], -1
                                        ; implicit-def: $vgpr1
	s_branch .LBB7_254
.LBB7_250:
	s_mov_b64 s[0:1], -1
                                        ; implicit-def: $vgpr1
.LBB7_251:
	s_andn2_b64 vcc, exec, s[0:1]
	s_cbranch_vccnz .LBB7_253
; %bb.252:
	global_load_dword v1, v[2:3], off
	s_waitcnt vmcnt(0)
	v_cvt_f32_i32_e32 v1, v1
	v_cvt_f16_f32_e32 v1, v1
.LBB7_253:
	s_mov_b64 s[0:1], 0
.LBB7_254:
	s_andn2_b64 vcc, exec, s[0:1]
	s_cbranch_vccnz .LBB7_256
; %bb.255:
	global_load_ushort v1, v[2:3], off
	s_waitcnt vmcnt(0)
	v_cvt_f16_i16_e32 v1, v1
.LBB7_256:
	s_mov_b64 s[0:1], 0
.LBB7_257:
	s_andn2_b64 vcc, exec, s[0:1]
	s_cbranch_vccnz .LBB7_263
; %bb.258:
	v_cmp_lt_i16_e32 vcc, 0, v6
	s_cbranch_vccz .LBB7_260
; %bb.259:
	global_load_sbyte v1, v[2:3], off
	s_mov_b64 s[0:1], 0
	s_waitcnt vmcnt(0)
	v_cvt_f16_i16_e32 v1, v1
	s_branch .LBB7_261
.LBB7_260:
	s_mov_b64 s[0:1], -1
                                        ; implicit-def: $vgpr1
.LBB7_261:
	s_andn2_b64 vcc, exec, s[0:1]
	s_cbranch_vccnz .LBB7_263
; %bb.262:
	global_load_ubyte v1, v[2:3], off
	s_waitcnt vmcnt(0)
	v_cvt_f16_u16_e32 v1, v1
.LBB7_263:
	s_branch .LBB7_26
.LBB7_264:
	s_mov_b64 s[0:1], 0
.LBB7_265:
	s_mov_b64 s[8:9], 0
                                        ; implicit-def: $vgpr8
.LBB7_266:
	s_and_b64 s[52:53], s[0:1], exec
	s_and_b64 s[54:55], s[2:3], exec
	s_orn2_b64 s[2:3], s[8:9], exec
.LBB7_267:
	s_or_b64 exec, exec, s[56:57]
	s_mov_b64 s[10:11], 0
	s_mov_b64 s[0:1], 0
                                        ; implicit-def: $vgpr2_vgpr3
                                        ; implicit-def: $vgpr0
                                        ; implicit-def: $vgpr7
	s_and_saveexec_b64 s[56:57], s[2:3]
	s_cbranch_execz .LBB7_275
; %bb.268:
	v_cmp_gt_i32_e32 vcc, s72, v8
	s_mov_b64 s[0:1], -1
	s_mov_b64 s[58:59], s[54:55]
	s_mov_b64 s[60:61], s[52:53]
	s_and_saveexec_b64 s[62:63], vcc
	s_cbranch_execz .LBB7_544
; %bb.269:
	s_andn2_b64 vcc, exec, s[40:41]
	s_cbranch_vccnz .LBB7_278
; %bb.270:
	s_mov_b32 s58, 0
	s_andn2_b64 vcc, exec, s[50:51]
	v_mov_b32_e32 v2, 0
	v_mov_b32_e32 v0, 0
	s_cbranch_vccnz .LBB7_284
; %bb.271:
	s_add_i32 s66, s73, 1
	s_cmp_eq_u32 s74, 2
	s_cbranch_scc1 .LBB7_279
; %bb.272:
	s_and_b32 s58, s66, 28
	s_mov_b32 s59, 0
	v_mov_b32_e32 v0, 0
	s_mov_b64 s[60:61], s[34:35]
	s_mov_b64 s[64:65], s[48:49]
	v_mov_b32_e32 v3, v8
	v_mov_b32_e32 v2, 0
.LBB7_273:                              ; =>This Inner Loop Header: Depth=1
	s_load_dwordx8 s[16:23], s[60:61], 0x4
	s_load_dwordx4 s[0:3], s[60:61], 0x24
	s_load_dwordx8 s[8:15], s[64:65], 0x0
	s_add_u32 s60, s60, 48
	s_addc_u32 s61, s61, 0
	s_waitcnt vmcnt(0) lgkmcnt(0)
	v_mul_hi_u32 v1, s17, v3
	v_add_u32_e32 v1, v3, v1
	v_lshrrev_b32_e32 v1, s18, v1
	v_mul_lo_u32 v7, v1, s16
	v_mul_hi_u32 v9, s20, v1
	v_sub_u32_e32 v3, v3, v7
	v_add_u32_e32 v7, v1, v9
	v_lshrrev_b32_e32 v7, s21, v7
	v_mul_lo_u32 v10, v7, s19
	v_mul_hi_u32 v11, s23, v7
	v_sub_u32_e32 v1, v1, v10
	v_add_u32_e32 v10, v7, v11
	v_mul_lo_u32 v9, v3, s9
	v_mul_lo_u32 v3, v3, s8
	;; [unrolled: 1-line block ×4, first 2 shown]
	v_lshrrev_b32_e32 v10, s0, v10
	v_add3_u32 v0, v3, v0, v1
	v_mul_hi_u32 v3, s2, v10
	v_add_u32_e32 v3, v10, v3
	v_lshrrev_b32_e32 v3, s3, v3
	s_add_i32 s59, s59, 4
	v_add3_u32 v1, v9, v2, v11
	v_mul_lo_u32 v2, v10, s22
	v_mul_lo_u32 v9, v3, s1
	s_add_u32 s64, s64, 32
	v_sub_u32_e32 v2, v7, v2
	v_sub_u32_e32 v9, v10, v9
	s_addc_u32 s65, s65, 0
	v_mul_lo_u32 v7, v2, s12
	v_mul_lo_u32 v2, v2, s13
	;; [unrolled: 1-line block ×4, first 2 shown]
	s_cmp_eq_u32 s58, s59
	v_add3_u32 v2, v2, v1, v9
	v_add3_u32 v0, v7, v0, v10
	s_cbranch_scc0 .LBB7_273
; %bb.274:
	v_mov_b32_e32 v1, v2
	s_branch .LBB7_280
.LBB7_275:
	s_or_b64 exec, exec, s[56:57]
	s_mov_b64 s[2:3], 0
	s_and_saveexec_b64 s[8:9], s[54:55]
	s_cbranch_execnz .LBB7_922
.LBB7_276:
	s_or_b64 exec, exec, s[8:9]
	s_and_saveexec_b64 s[8:9], s[60:61]
	s_xor_b64 s[8:9], exec, s[8:9]
	s_cbranch_execz .LBB7_923
.LBB7_277:
	global_load_ubyte v1, v[2:3], off
	v_mov_b32_e32 v7, 0x3c00
	s_or_b64 s[0:1], s[0:1], exec
	s_waitcnt vmcnt(0)
	v_cmp_ne_u16_e32 vcc, 0, v1
	v_cndmask_b32_e32 v7, 0, v7, vcc
	s_or_b64 exec, exec, s[8:9]
	s_and_saveexec_b64 s[8:9], s[10:11]
	s_cbranch_execz .LBB7_969
	s_branch .LBB7_924
.LBB7_278:
                                        ; implicit-def: $vgpr2
                                        ; implicit-def: $vgpr0
	s_andn2_b64 vcc, exec, s[0:1]
	s_cbranch_vccz .LBB7_285
	s_branch .LBB7_287
.LBB7_279:
	s_mov_b32 s59, s58
	s_waitcnt vmcnt(0)
	v_pk_mov_b32 v[0:1], s[58:59], s[58:59] op_sel:[0,1]
                                        ; implicit-def: $vgpr2
	v_mov_b32_e32 v3, v8
.LBB7_280:
	s_and_b32 s8, s66, 3
	s_cmp_eq_u32 s8, 0
	s_cbranch_scc1 .LBB7_284
; %bb.281:
	s_lshl_b32 s0, s58, 3
	s_add_u32 s0, s0, s34
	s_addc_u32 s1, s35, 0
	s_add_u32 s0, s0, 0xc4
	s_addc_u32 s1, s1, 0
	s_mul_i32 s2, s58, 12
	s_add_u32 s2, s34, s2
	s_addc_u32 s3, s35, 0
.LBB7_282:                              ; =>This Inner Loop Header: Depth=1
	s_load_dwordx2 s[10:11], s[2:3], 0x4
	s_load_dword s9, s[2:3], 0xc
	s_load_dwordx2 s[12:13], s[0:1], 0x0
	v_mov_b32_e32 v2, v1
	s_add_u32 s2, s2, 12
	s_waitcnt lgkmcnt(0)
	v_mul_hi_u32 v1, s11, v3
	v_add_u32_e32 v1, v3, v1
	v_lshrrev_b32_e32 v1, s9, v1
	s_addc_u32 s3, s3, 0
	v_mul_lo_u32 v7, v1, s10
	s_add_u32 s0, s0, 8
	v_sub_u32_e32 v7, v3, v7
	v_mov_b32_e32 v3, v1
	s_addc_u32 s1, s1, 0
	s_add_i32 s8, s8, -1
	v_mad_u64_u32 v[10:11], s[10:11], v7, s13, v[2:3]
	v_mad_u64_u32 v[0:1], s[10:11], v7, s12, v[0:1]
	s_cmp_lg_u32 s8, 0
	v_mov_b32_e32 v1, v10
	s_cbranch_scc1 .LBB7_282
; %bb.283:
	v_mov_b32_e32 v2, v1
.LBB7_284:
	s_cbranch_execnz .LBB7_287
.LBB7_285:
	v_mul_hi_u32 v0, s29, v8
	v_add_u32_e32 v0, v8, v0
	s_waitcnt vmcnt(0)
	v_lshrrev_b32_e32 v1, s30, v0
	v_mul_lo_u32 v0, v1, s28
	v_sub_u32_e32 v0, v8, v0
	v_mul_lo_u32 v2, v0, s37
	s_andn2_b64 vcc, exec, s[46:47]
	v_mul_lo_u32 v0, v0, s36
	s_cbranch_vccnz .LBB7_287
; %bb.286:
	v_mul_hi_u32 v3, s44, v1
	v_add_u32_e32 v3, v1, v3
	v_lshrrev_b32_e32 v3, s45, v3
	v_mul_lo_u32 v3, v3, s31
	v_sub_u32_e32 v3, v1, v3
	v_mad_u64_u32 v[0:1], s[0:1], v3, s38, v[0:1]
	v_mad_u64_u32 v[2:3], s[0:1], v3, s39, v[2:3]
.LBB7_287:
	s_waitcnt vmcnt(0)
	v_mov_b32_e32 v1, s27
	v_add_co_u32_e32 v2, vcc, s26, v2
	v_addc_co_u32_e32 v3, vcc, 0, v1, vcc
	v_cmp_gt_i16_e32 vcc, 11, v6
	s_cbranch_vccnz .LBB7_294
; %bb.288:
	v_cmp_lt_i16_e32 vcc, 25, v6
	s_cbranch_vccz .LBB7_303
; %bb.289:
	v_cmp_lt_i16_e32 vcc, 28, v6
	s_cbranch_vccz .LBB7_305
	;; [unrolled: 3-line block ×4, first 2 shown]
; %bb.292:
	v_cmp_eq_u16_e32 vcc, 46, v6
	s_mov_b64 s[8:9], 0
	s_cbranch_vccz .LBB7_315
; %bb.293:
	global_load_dword v1, v[2:3], off
	s_mov_b64 s[0:1], -1
	s_mov_b64 s[2:3], 0
	s_waitcnt vmcnt(0)
	v_lshlrev_b32_e32 v1, 16, v1
	v_cvt_f16_f32_e32 v1, v1
	s_branch .LBB7_316
.LBB7_294:
	s_mov_b64 s[0:1], 0
                                        ; implicit-def: $vgpr1
	s_mov_b64 s[2:3], s[54:55]
	s_cbranch_execnz .LBB7_493
.LBB7_295:
	s_andn2_b64 vcc, exec, s[0:1]
	s_cbranch_vccnz .LBB7_541
.LBB7_296:
	s_waitcnt vmcnt(0)
	v_and_b32_e32 v1, 0xffff8000, v1
	v_or_b32_e32 v2, v1, v5
	v_mov_b32_e32 v1, s25
	v_add_co_u32_e32 v0, vcc, s24, v0
	v_mov_b32_e32 v3, 11
	v_addc_co_u32_e32 v1, vcc, 0, v1, vcc
	v_cmp_lt_i16_sdwa s[0:1], s75, v3 src0_sel:BYTE_0 src1_sel:DWORD
	s_and_b64 vcc, exec, s[0:1]
	s_cbranch_vccnz .LBB7_304
; %bb.297:
	v_mov_b32_e32 v3, 25
	v_cmp_gt_i16_sdwa s[0:1], s75, v3 src0_sel:BYTE_0 src1_sel:DWORD
	s_and_b64 vcc, exec, s[0:1]
	s_cbranch_vccz .LBB7_306
; %bb.298:
	v_mov_b32_e32 v3, 28
	v_cmp_gt_i16_sdwa s[0:1], s75, v3 src0_sel:BYTE_0 src1_sel:DWORD
	s_and_b64 vcc, exec, s[0:1]
	s_cbranch_vccz .LBB7_308
	;; [unrolled: 5-line block ×4, first 2 shown]
; %bb.301:
	v_mov_b32_e32 v3, 46
	v_cmp_eq_u16_sdwa s[8:9], s75, v3 src0_sel:BYTE_0 src1_sel:DWORD
	s_mov_b64 s[10:11], 0
	s_mov_b64 s[0:1], -1
	s_and_b64 vcc, exec, s[8:9]
	s_mov_b64 s[8:9], 0
	s_cbranch_vccz .LBB7_320
; %bb.302:
	v_cvt_f32_f16_e32 v3, v2
	s_movk_i32 s0, 0x7fff
	v_mov_b32_e32 v7, 0x7fc0
	v_cmp_o_f16_e32 vcc, v2, v2
	v_bfe_u32 v9, v3, 16, 1
	v_add3_u32 v3, v3, v9, s0
	v_lshrrev_b32_e32 v3, 16, v3
	v_cndmask_b32_e32 v3, v7, v3, vcc
	global_store_dword v[0:1], v3, off
	s_mov_b64 s[8:9], -1
	s_mov_b64 s[0:1], 0
	s_branch .LBB7_320
.LBB7_303:
	s_mov_b64 s[8:9], -1
	s_mov_b64 s[0:1], 0
	s_mov_b64 s[2:3], s[54:55]
                                        ; implicit-def: $vgpr1
	s_branch .LBB7_457
.LBB7_304:
	s_mov_b64 s[10:11], -1
	s_mov_b64 s[8:9], 0
	s_mov_b64 s[0:1], s[52:53]
	s_branch .LBB7_389
.LBB7_305:
	s_mov_b64 s[8:9], -1
	s_mov_b64 s[0:1], 0
	s_mov_b64 s[2:3], s[54:55]
                                        ; implicit-def: $vgpr1
	s_branch .LBB7_438
.LBB7_306:
	s_mov_b64 s[10:11], -1
	s_mov_b64 s[8:9], 0
	s_mov_b64 s[0:1], s[52:53]
	s_branch .LBB7_347
.LBB7_307:
	s_mov_b64 s[8:9], -1
	s_mov_b64 s[0:1], 0
	s_mov_b64 s[2:3], s[54:55]
                                        ; implicit-def: $vgpr1
	s_branch .LBB7_433
.LBB7_308:
	s_mov_b64 s[10:11], -1
	s_mov_b64 s[8:9], 0
	s_mov_b64 s[0:1], s[52:53]
	s_branch .LBB7_330
.LBB7_309:
	s_or_saveexec_b64 s[12:13], s[12:13]
                                        ; implicit-def: $sgpr14
	s_xor_b64 exec, exec, s[12:13]
	s_cbranch_execz .LBB7_69
.LBB7_310:
	s_mov_b32 s14, 0x46000000
	v_add_f32_e64 v7, |v3|, s14
	v_and_b32_e32 v7, 0xff, v7
	v_cmp_ne_u32_e32 vcc, 0, v7
	s_andn2_b64 s[10:11], s[10:11], exec
	s_and_b64 s[16:17], vcc, exec
	s_mov_b32 s14, 0
	s_or_b64 s[10:11], s[10:11], s[16:17]
	s_or_b64 exec, exec, s[12:13]
	v_mov_b32_e32 v9, s14
	s_and_saveexec_b64 s[12:13], s[10:11]
	s_cbranch_execnz .LBB7_70
	s_branch .LBB7_71
.LBB7_311:
	s_mov_b64 s[8:9], -1
	s_mov_b64 s[0:1], 0
	s_mov_b64 s[2:3], s[54:55]
                                        ; implicit-def: $vgpr1
	s_branch .LBB7_316
.LBB7_312:
	s_mov_b64 s[10:11], -1
	s_mov_b64 s[8:9], 0
	s_mov_b64 s[0:1], s[52:53]
	s_branch .LBB7_326
.LBB7_313:
	s_or_saveexec_b64 s[12:13], s[12:13]
                                        ; implicit-def: $sgpr14
	s_xor_b64 exec, exec, s[12:13]
	s_cbranch_execz .LBB7_82
.LBB7_314:
	s_mov_b32 s14, 0x42800000
	v_add_f32_e64 v7, |v3|, s14
	v_and_b32_e32 v7, 0xff, v7
	v_cmp_ne_u32_e32 vcc, 0, v7
	s_andn2_b64 s[10:11], s[10:11], exec
	s_and_b64 s[16:17], vcc, exec
	s_mov_b32 s14, 0
	s_or_b64 s[10:11], s[10:11], s[16:17]
	s_or_b64 exec, exec, s[12:13]
	v_mov_b32_e32 v9, s14
	s_and_saveexec_b64 s[12:13], s[10:11]
	s_cbranch_execnz .LBB7_83
	s_branch .LBB7_84
.LBB7_315:
	s_mov_b64 s[2:3], -1
                                        ; implicit-def: $vgpr1
	s_mov_b64 s[0:1], 0
.LBB7_316:
	s_and_b64 vcc, exec, s[8:9]
	s_cbranch_vccz .LBB7_432
; %bb.317:
	v_cmp_eq_u16_e32 vcc, 44, v6
	s_cbranch_vccz .LBB7_431
; %bb.318:
	global_load_ubyte v1, v[2:3], off
	s_movk_i32 s2, 0xff
	v_mov_b32_e32 v9, 0x7e00
	s_mov_b64 s[0:1], -1
	s_waitcnt vmcnt(0)
	v_lshlrev_b32_e32 v7, 23, v1
	v_cvt_f16_f32_e32 v7, v7
	v_cmp_ne_u32_e32 vcc, s2, v1
	s_mov_b64 s[2:3], 0
	v_cndmask_b32_e32 v7, v9, v7, vcc
	v_cmp_ne_u32_e32 vcc, 0, v1
	v_cndmask_b32_e32 v1, 0, v7, vcc
	s_branch .LBB7_432
.LBB7_319:
	s_mov_b64 s[10:11], -1
	s_mov_b64 s[8:9], 0
	s_mov_b64 s[0:1], s[52:53]
.LBB7_320:
	s_and_b64 vcc, exec, s[10:11]
	s_cbranch_vccz .LBB7_325
; %bb.321:
	v_mov_b32_e32 v3, 44
	v_cmp_eq_u16_sdwa s[10:11], s75, v3 src0_sel:BYTE_0 src1_sel:DWORD
	s_mov_b64 s[0:1], -1
	s_and_b64 vcc, exec, s[10:11]
	s_cbranch_vccz .LBB7_325
; %bb.322:
	v_cvt_f32_f16_e32 v3, v2
	s_movk_i32 s0, 0xff
	v_mov_b32_e32 v9, 0xff
	v_bfe_u32 v7, v3, 23, 8
	v_cmp_ne_u32_e32 vcc, s0, v7
	s_and_saveexec_b64 s[8:9], vcc
; %bb.323:
	s_mov_b32 s0, 0x3fffff
	v_lshrrev_b32_e32 v9, 23, v3
	v_and_b32_e32 v10, 0x400000, v3
	v_and_or_b32 v3, v3, s0, v7
	v_cmp_ne_u32_e32 vcc, 0, v10
	v_cmp_ne_u32_e64 s[0:1], 0, v3
	s_and_b64 s[0:1], vcc, s[0:1]
	v_cndmask_b32_e64 v3, 0, 1, s[0:1]
	v_add_u32_e32 v9, v9, v3
; %bb.324:
	s_or_b64 exec, exec, s[8:9]
	s_mov_b64 s[8:9], -1
	s_mov_b64 s[0:1], 0
	global_store_byte v[0:1], v9, off
.LBB7_325:
	s_mov_b64 s[10:11], 0
.LBB7_326:
	s_and_b64 vcc, exec, s[10:11]
	s_cbranch_vccz .LBB7_329
; %bb.327:
	v_mov_b32_e32 v3, 29
	v_cmp_eq_u16_sdwa s[10:11], s75, v3 src0_sel:BYTE_0 src1_sel:DWORD
	s_mov_b64 s[0:1], -1
	s_and_b64 vcc, exec, s[10:11]
	s_cbranch_vccz .LBB7_329
; %bb.328:
	v_cvt_f32_f16_e32 v3, v2
	v_mov_b32_e32 v11, 0
	s_mov_b64 s[8:9], -1
	s_mov_b64 s[0:1], 0
	v_cvt_u32_f32_e32 v10, v3
	s_mov_b64 s[10:11], 0
	global_store_dwordx2 v[0:1], v[10:11], off
	s_branch .LBB7_330
.LBB7_329:
	s_mov_b64 s[10:11], 0
.LBB7_330:
	s_and_b64 vcc, exec, s[10:11]
	s_cbranch_vccz .LBB7_346
; %bb.331:
	v_mov_b32_e32 v3, 27
	v_cmp_lt_i16_sdwa s[10:11], s75, v3 src0_sel:BYTE_0 src1_sel:DWORD
	s_mov_b64 s[8:9], -1
	s_and_b64 vcc, exec, s[10:11]
	s_cbranch_vccnz .LBB7_337
; %bb.332:
	v_cmp_gt_i16_sdwa s[10:11], s75, v3 src0_sel:BYTE_0 src1_sel:DWORD
	s_and_b64 vcc, exec, s[10:11]
	s_cbranch_vccz .LBB7_334
; %bb.333:
	v_cvt_f32_f16_e32 v3, v2
	s_mov_b64 s[8:9], 0
	v_cvt_u32_f32_e32 v3, v3
	global_store_dword v[0:1], v3, off
.LBB7_334:
	s_andn2_b64 vcc, exec, s[8:9]
	s_cbranch_vccnz .LBB7_336
; %bb.335:
	v_cvt_u16_f16_e32 v3, v2
	global_store_short v[0:1], v3, off
.LBB7_336:
	s_mov_b64 s[8:9], 0
.LBB7_337:
	s_andn2_b64 vcc, exec, s[8:9]
	s_cbranch_vccnz .LBB7_345
; %bb.338:
	v_cvt_f32_f16_e32 v3, v2
	s_mov_b32 s8, 0x43800000
	v_mov_b32_e32 v9, 0x80
	v_and_b32_e32 v7, 0x7fffffff, v3
	v_cmp_gt_u32_e32 vcc, s8, v7
	s_and_saveexec_b64 s[8:9], vcc
	s_cbranch_execz .LBB7_344
; %bb.339:
	s_mov_b32 s10, 0x3bffffff
	v_cmp_lt_u32_e32 vcc, s10, v7
	s_mov_b64 s[10:11], 0
                                        ; implicit-def: $vgpr7
	s_and_saveexec_b64 s[12:13], vcc
	s_xor_b64 s[12:13], exec, s[12:13]
	s_cbranch_execz .LBB7_573
; %bb.340:
	v_bfe_u32 v7, v3, 20, 1
	s_mov_b32 s14, 0x487ffff
	v_add3_u32 v7, v3, v7, s14
	s_mov_b64 s[10:11], exec
	v_lshrrev_b32_e32 v7, 20, v7
	s_or_saveexec_b64 s[12:13], s[12:13]
                                        ; implicit-def: $sgpr14
	s_xor_b64 exec, exec, s[12:13]
	s_cbranch_execnz .LBB7_574
.LBB7_341:
	s_or_b64 exec, exec, s[12:13]
	v_mov_b32_e32 v9, s14
	s_and_saveexec_b64 s[12:13], s[10:11]
.LBB7_342:
	v_lshrrev_b32_e32 v3, 24, v3
	s_movk_i32 s10, 0x80
	v_and_or_b32 v9, v3, s10, v7
.LBB7_343:
	s_or_b64 exec, exec, s[12:13]
.LBB7_344:
	s_or_b64 exec, exec, s[8:9]
	global_store_byte v[0:1], v9, off
.LBB7_345:
	s_mov_b64 s[8:9], -1
.LBB7_346:
	s_mov_b64 s[10:11], 0
.LBB7_347:
	s_and_b64 vcc, exec, s[10:11]
	s_cbranch_vccz .LBB7_388
; %bb.348:
	v_mov_b32_e32 v3, 22
	v_cmp_gt_i16_sdwa s[12:13], s75, v3 src0_sel:BYTE_0 src1_sel:DWORD
	s_mov_b64 s[10:11], -1
	s_and_b64 vcc, exec, s[12:13]
	s_cbranch_vccz .LBB7_380
; %bb.349:
	v_mov_b32_e32 v3, 24
	v_cmp_lt_i16_sdwa s[10:11], s75, v3 src0_sel:BYTE_0 src1_sel:DWORD
	s_mov_b64 s[8:9], -1
	s_and_b64 vcc, exec, s[10:11]
	s_cbranch_vccnz .LBB7_369
; %bb.350:
	v_cmp_gt_i16_sdwa s[10:11], s75, v3 src0_sel:BYTE_0 src1_sel:DWORD
	s_and_b64 vcc, exec, s[10:11]
	s_cbranch_vccz .LBB7_358
; %bb.351:
	v_cvt_f32_f16_e32 v3, v2
	s_mov_b32 s8, 0x47800000
	v_mov_b32_e32 v9, 0x80
	v_and_b32_e32 v7, 0x7fffffff, v3
	v_cmp_gt_u32_e32 vcc, s8, v7
	s_and_saveexec_b64 s[8:9], vcc
	s_cbranch_execz .LBB7_357
; %bb.352:
	s_mov_b32 s10, 0x37ffffff
	v_cmp_lt_u32_e32 vcc, s10, v7
	s_mov_b64 s[10:11], 0
                                        ; implicit-def: $vgpr7
	s_and_saveexec_b64 s[12:13], vcc
	s_xor_b64 s[12:13], exec, s[12:13]
	s_cbranch_execz .LBB7_576
; %bb.353:
	v_bfe_u32 v7, v3, 21, 1
	s_mov_b32 s14, 0x88fffff
	v_add3_u32 v7, v3, v7, s14
	s_mov_b64 s[10:11], exec
	v_lshrrev_b32_e32 v7, 21, v7
	s_or_saveexec_b64 s[12:13], s[12:13]
                                        ; implicit-def: $sgpr14
	s_xor_b64 exec, exec, s[12:13]
	s_cbranch_execnz .LBB7_577
.LBB7_354:
	s_or_b64 exec, exec, s[12:13]
	v_mov_b32_e32 v9, s14
	s_and_saveexec_b64 s[12:13], s[10:11]
.LBB7_355:
	v_lshrrev_b32_e32 v3, 24, v3
	s_movk_i32 s10, 0x80
	v_and_or_b32 v9, v3, s10, v7
.LBB7_356:
	s_or_b64 exec, exec, s[12:13]
.LBB7_357:
	s_or_b64 exec, exec, s[8:9]
	s_mov_b64 s[8:9], 0
	global_store_byte v[0:1], v9, off
.LBB7_358:
	s_and_b64 vcc, exec, s[8:9]
	s_cbranch_vccz .LBB7_368
; %bb.359:
	v_cvt_f32_f16_e32 v3, v2
	s_mov_b32 s8, 0x43f00000
                                        ; implicit-def: $vgpr7
	v_and_b32_e32 v9, 0x7fffffff, v3
	v_cmp_gt_u32_e32 vcc, s8, v9
	s_and_saveexec_b64 s[8:9], vcc
	s_xor_b64 s[8:9], exec, s[8:9]
	s_cbranch_execz .LBB7_365
; %bb.360:
	s_mov_b32 s10, 0x3c7fffff
	v_cmp_lt_u32_e32 vcc, s10, v9
                                        ; implicit-def: $vgpr7
	s_and_saveexec_b64 s[10:11], vcc
	s_xor_b64 s[10:11], exec, s[10:11]
; %bb.361:
	v_bfe_u32 v7, v3, 20, 1
	s_mov_b32 s12, 0x407ffff
	v_add3_u32 v7, v3, v7, s12
	v_lshrrev_b32_e32 v9, 20, v7
	v_and_b32_e32 v7, 0xff00000, v7
	s_mov_b32 s12, 0x7f00000
	v_mov_b32_e32 v10, 0x7e
	v_cmp_ne_u32_e32 vcc, s12, v7
	v_cndmask_b32_e32 v7, v10, v9, vcc
; %bb.362:
	s_andn2_saveexec_b64 s[10:11], s[10:11]
; %bb.363:
	s_mov_b32 s12, 0x46800000
	v_add_f32_e64 v7, |v3|, s12
; %bb.364:
	s_or_b64 exec, exec, s[10:11]
                                        ; implicit-def: $vgpr9
.LBB7_365:
	s_andn2_saveexec_b64 s[8:9], s[8:9]
; %bb.366:
	s_mov_b32 s10, 0x7f800000
	v_mov_b32_e32 v7, 0x7e
	v_mov_b32_e32 v10, 0x7f
	v_cmp_lt_u32_e32 vcc, s10, v9
	v_cndmask_b32_e32 v7, v7, v10, vcc
; %bb.367:
	s_or_b64 exec, exec, s[8:9]
	v_lshrrev_b32_e32 v3, 24, v3
	s_movk_i32 s8, 0x80
	v_and_or_b32 v3, v3, s8, v7
	global_store_byte v[0:1], v3, off
.LBB7_368:
	s_mov_b64 s[8:9], 0
.LBB7_369:
	s_andn2_b64 vcc, exec, s[8:9]
	s_cbranch_vccnz .LBB7_379
; %bb.370:
	v_cvt_f32_f16_e32 v3, v2
	s_mov_b32 s8, 0x47800000
                                        ; implicit-def: $vgpr7
	v_and_b32_e32 v9, 0x7fffffff, v3
	v_cmp_gt_u32_e32 vcc, s8, v9
	s_and_saveexec_b64 s[8:9], vcc
	s_xor_b64 s[8:9], exec, s[8:9]
	s_cbranch_execz .LBB7_376
; %bb.371:
	s_mov_b32 s10, 0x387fffff
	v_cmp_lt_u32_e32 vcc, s10, v9
                                        ; implicit-def: $vgpr7
	s_and_saveexec_b64 s[10:11], vcc
	s_xor_b64 s[10:11], exec, s[10:11]
; %bb.372:
	v_bfe_u32 v7, v3, 21, 1
	s_mov_b32 s12, 0x80fffff
	v_add3_u32 v7, v3, v7, s12
	v_lshrrev_b32_e32 v7, 21, v7
; %bb.373:
	s_andn2_saveexec_b64 s[10:11], s[10:11]
; %bb.374:
	s_mov_b32 s12, 0x43000000
	v_add_f32_e64 v7, |v3|, s12
; %bb.375:
	s_or_b64 exec, exec, s[10:11]
                                        ; implicit-def: $vgpr9
.LBB7_376:
	s_andn2_saveexec_b64 s[8:9], s[8:9]
; %bb.377:
	s_mov_b32 s10, 0x7f800000
	v_mov_b32_e32 v7, 0x7c
	v_mov_b32_e32 v10, 0x7f
	v_cmp_lt_u32_e32 vcc, s10, v9
	v_cndmask_b32_e32 v7, v7, v10, vcc
; %bb.378:
	s_or_b64 exec, exec, s[8:9]
	v_lshrrev_b32_e32 v3, 24, v3
	s_movk_i32 s8, 0x80
	v_and_or_b32 v3, v3, s8, v7
	global_store_byte v[0:1], v3, off
.LBB7_379:
	s_mov_b64 s[10:11], 0
	s_mov_b64 s[8:9], -1
.LBB7_380:
	s_andn2_b64 vcc, exec, s[10:11]
	s_cbranch_vccnz .LBB7_388
; %bb.381:
	v_mov_b32_e32 v3, 14
	v_cmp_gt_i16_sdwa s[12:13], s75, v3 src0_sel:BYTE_0 src1_sel:DWORD
	s_mov_b64 s[10:11], -1
	s_and_b64 vcc, exec, s[12:13]
	s_cbranch_vccz .LBB7_385
; %bb.382:
	v_mov_b32_e32 v3, 15
	v_cmp_eq_u16_sdwa s[10:11], s75, v3 src0_sel:BYTE_0 src1_sel:DWORD
	s_mov_b64 s[0:1], -1
	s_and_b64 vcc, exec, s[10:11]
	s_cbranch_vccz .LBB7_384
; %bb.383:
	v_cvt_f32_f16_e32 v3, v2
	s_movk_i32 s0, 0x7fff
	v_mov_b32_e32 v7, 0x7fc0
	v_cmp_o_f16_e32 vcc, v2, v2
	v_bfe_u32 v9, v3, 16, 1
	v_add3_u32 v3, v3, v9, s0
	v_lshrrev_b32_e32 v3, 16, v3
	v_cndmask_b32_e32 v3, v7, v3, vcc
	global_store_short v[0:1], v3, off
	s_mov_b64 s[8:9], -1
	s_mov_b64 s[0:1], 0
.LBB7_384:
	s_mov_b64 s[10:11], 0
.LBB7_385:
	s_and_b64 vcc, exec, s[10:11]
	s_cbranch_vccz .LBB7_388
; %bb.386:
	v_mov_b32_e32 v3, 11
	v_cmp_eq_u16_sdwa s[10:11], s75, v3 src0_sel:BYTE_0 src1_sel:DWORD
	s_mov_b64 s[0:1], -1
	s_and_b64 vcc, exec, s[10:11]
	s_cbranch_vccz .LBB7_388
; %bb.387:
	s_mov_b64 s[8:9], -1
	s_mov_b64 s[0:1], 0
	global_store_byte v[0:1], v4, off
.LBB7_388:
	s_mov_b64 s[10:11], 0
.LBB7_389:
	s_and_b64 vcc, exec, s[10:11]
	s_cbranch_vccz .LBB7_428
; %bb.390:
	v_mov_b32_e32 v3, 5
	v_cmp_lt_i16_sdwa s[10:11], s75, v3 src0_sel:BYTE_0 src1_sel:DWORD
	s_mov_b64 s[8:9], -1
	s_and_b64 vcc, exec, s[10:11]
	s_cbranch_vccnz .LBB7_411
; %bb.391:
	v_mov_b32_e32 v3, 8
	v_cmp_lt_i16_sdwa s[10:11], s75, v3 src0_sel:BYTE_0 src1_sel:DWORD
	s_and_b64 vcc, exec, s[10:11]
	s_cbranch_vccnz .LBB7_401
; %bb.392:
	v_mov_b32_e32 v3, 9
	v_cmp_lt_i16_sdwa s[10:11], s75, v3 src0_sel:BYTE_0 src1_sel:DWORD
	s_and_b64 vcc, exec, s[10:11]
	s_cbranch_vccnz .LBB7_398
; %bb.393:
	v_cmp_gt_i16_sdwa s[10:11], s75, v3 src0_sel:BYTE_0 src1_sel:DWORD
	s_and_b64 vcc, exec, s[10:11]
	s_cbranch_vccz .LBB7_395
; %bb.394:
	v_cvt_f32_f16_e32 v3, v2
	v_mov_b32_e32 v12, 0
	v_mov_b32_e32 v13, v12
	s_mov_b64 s[8:9], 0
	v_cvt_f64_f32_e32 v[10:11], v3
	global_store_dwordx4 v[0:1], v[10:13], off
.LBB7_395:
	s_andn2_b64 vcc, exec, s[8:9]
	s_cbranch_vccnz .LBB7_397
; %bb.396:
	v_cvt_f32_f16_e32 v10, v2
	v_mov_b32_e32 v11, 0
	global_store_dwordx2 v[0:1], v[10:11], off
.LBB7_397:
	s_mov_b64 s[8:9], 0
.LBB7_398:
	s_andn2_b64 vcc, exec, s[8:9]
	s_cbranch_vccnz .LBB7_400
; %bb.399:
	v_and_b32_e32 v3, 0xffff, v2
	global_store_dword v[0:1], v3, off
.LBB7_400:
	s_mov_b64 s[8:9], 0
.LBB7_401:
	s_andn2_b64 vcc, exec, s[8:9]
	s_cbranch_vccnz .LBB7_410
; %bb.402:
	v_mov_b32_e32 v3, 6
	v_cmp_lt_i16_sdwa s[10:11], s75, v3 src0_sel:BYTE_0 src1_sel:DWORD
	s_mov_b64 s[8:9], -1
	s_and_b64 vcc, exec, s[10:11]
	s_cbranch_vccnz .LBB7_408
; %bb.403:
	v_cmp_gt_i16_sdwa s[10:11], s75, v3 src0_sel:BYTE_0 src1_sel:DWORD
	s_and_b64 vcc, exec, s[10:11]
	s_cbranch_vccz .LBB7_405
; %bb.404:
	v_cvt_f32_f16_e32 v3, v2
	s_mov_b64 s[8:9], 0
	v_cvt_f64_f32_e32 v[10:11], v3
	global_store_dwordx2 v[0:1], v[10:11], off
.LBB7_405:
	s_andn2_b64 vcc, exec, s[8:9]
	s_cbranch_vccnz .LBB7_407
; %bb.406:
	v_cvt_f32_f16_e32 v3, v2
	global_store_dword v[0:1], v3, off
.LBB7_407:
	s_mov_b64 s[8:9], 0
.LBB7_408:
	s_andn2_b64 vcc, exec, s[8:9]
	s_cbranch_vccnz .LBB7_410
; %bb.409:
	global_store_short v[0:1], v2, off
.LBB7_410:
	s_mov_b64 s[8:9], 0
.LBB7_411:
	s_andn2_b64 vcc, exec, s[8:9]
	s_cbranch_vccnz .LBB7_427
; %bb.412:
	v_mov_b32_e32 v3, 2
	v_cmp_lt_i16_sdwa s[10:11], s75, v3 src0_sel:BYTE_0 src1_sel:DWORD
	s_mov_b64 s[8:9], -1
	s_and_b64 vcc, exec, s[10:11]
	s_cbranch_vccnz .LBB7_422
; %bb.413:
	v_mov_b32_e32 v3, 3
	v_cmp_lt_i16_sdwa s[10:11], s75, v3 src0_sel:BYTE_0 src1_sel:DWORD
	s_and_b64 vcc, exec, s[10:11]
	s_cbranch_vccnz .LBB7_419
; %bb.414:
	v_cmp_gt_i16_sdwa s[10:11], s75, v3 src0_sel:BYTE_0 src1_sel:DWORD
	s_and_b64 vcc, exec, s[10:11]
	s_cbranch_vccz .LBB7_416
; %bb.415:
	v_cvt_f32_f16_e32 v3, v2
	s_mov_b64 s[8:9], 0
	v_cvt_i32_f32_e32 v10, v3
	v_ashrrev_i32_e32 v11, 31, v10
	global_store_dwordx2 v[0:1], v[10:11], off
.LBB7_416:
	s_andn2_b64 vcc, exec, s[8:9]
	s_cbranch_vccnz .LBB7_418
; %bb.417:
	v_cvt_f32_f16_e32 v3, v2
	v_cvt_i32_f32_e32 v3, v3
	global_store_dword v[0:1], v3, off
.LBB7_418:
	s_mov_b64 s[8:9], 0
.LBB7_419:
	s_andn2_b64 vcc, exec, s[8:9]
	s_cbranch_vccnz .LBB7_421
; %bb.420:
	v_cvt_i16_f16_e32 v3, v2
	global_store_short v[0:1], v3, off
.LBB7_421:
	s_mov_b64 s[8:9], 0
.LBB7_422:
	s_andn2_b64 vcc, exec, s[8:9]
	s_cbranch_vccnz .LBB7_427
; %bb.423:
	v_mov_b32_e32 v3, 0
	v_cmp_gt_i16_sdwa s[10:11], s75, v3 src0_sel:BYTE_0 src1_sel:DWORD
	s_mov_b64 s[8:9], -1
	s_and_b64 vcc, exec, s[10:11]
	s_cbranch_vccz .LBB7_425
; %bb.424:
	v_cvt_i16_f16_e32 v3, v2
	s_mov_b64 s[8:9], 0
	global_store_byte v[0:1], v3, off
.LBB7_425:
	s_andn2_b64 vcc, exec, s[8:9]
	s_cbranch_vccnz .LBB7_427
; %bb.426:
	v_cvt_f32_f16_e32 v2, v2
	v_cvt_i32_f32_e32 v2, v2
	global_store_byte v[0:1], v2, off
.LBB7_427:
	s_mov_b64 s[8:9], -1
.LBB7_428:
	s_andn2_b64 vcc, exec, s[8:9]
	s_cbranch_vccnz .LBB7_430
; %bb.429:
	v_add_u32_e32 v8, 0x80, v8
	s_mov_b64 s[8:9], -1
	s_branch .LBB7_543
.LBB7_430:
	s_mov_b64 s[8:9], 0
	s_branch .LBB7_542
.LBB7_431:
	s_mov_b64 s[2:3], -1
                                        ; implicit-def: $vgpr1
.LBB7_432:
	s_mov_b64 s[8:9], 0
.LBB7_433:
	s_and_b64 vcc, exec, s[8:9]
	s_cbranch_vccz .LBB7_437
; %bb.434:
	v_cmp_eq_u16_e32 vcc, 29, v6
	s_cbranch_vccz .LBB7_436
; %bb.435:
	global_load_dwordx2 v[10:11], v[2:3], off
	s_mov_b64 s[0:1], -1
	s_mov_b64 s[2:3], 0
	s_mov_b64 s[8:9], 0
	s_waitcnt vmcnt(0)
	v_ffbh_u32_e32 v1, v11
	v_min_u32_e32 v1, 32, v1
	v_lshlrev_b64 v[10:11], v1, v[10:11]
	v_min_u32_e32 v7, 1, v10
	v_or_b32_e32 v7, v11, v7
	v_cvt_f32_u32_e32 v7, v7
	v_sub_u32_e32 v1, 32, v1
	v_ldexp_f32 v1, v7, v1
	v_cvt_f16_f32_e32 v1, v1
	s_branch .LBB7_438
.LBB7_436:
	s_mov_b64 s[2:3], -1
                                        ; implicit-def: $vgpr1
.LBB7_437:
	s_mov_b64 s[8:9], 0
.LBB7_438:
	s_and_b64 vcc, exec, s[8:9]
	s_cbranch_vccz .LBB7_456
; %bb.439:
	v_cmp_gt_i16_e32 vcc, 27, v6
	s_cbranch_vccnz .LBB7_442
; %bb.440:
	v_cmp_lt_i16_e32 vcc, 27, v6
	s_cbranch_vccz .LBB7_443
; %bb.441:
	global_load_dword v1, v[2:3], off
	s_mov_b64 s[0:1], 0
	s_waitcnt vmcnt(0)
	v_cvt_f32_u32_e32 v1, v1
	v_cvt_f16_f32_e32 v1, v1
	s_branch .LBB7_444
.LBB7_442:
	s_mov_b64 s[0:1], -1
                                        ; implicit-def: $vgpr1
	s_branch .LBB7_447
.LBB7_443:
	s_mov_b64 s[0:1], -1
                                        ; implicit-def: $vgpr1
.LBB7_444:
	s_andn2_b64 vcc, exec, s[0:1]
	s_cbranch_vccnz .LBB7_446
; %bb.445:
	global_load_ushort v1, v[2:3], off
	s_waitcnt vmcnt(0)
	v_cvt_f16_u16_e32 v1, v1
.LBB7_446:
	s_mov_b64 s[0:1], 0
.LBB7_447:
	s_andn2_b64 vcc, exec, s[0:1]
	s_cbranch_vccnz .LBB7_455
; %bb.448:
	global_load_ubyte v7, v[2:3], off
	s_movk_i32 s0, 0x7f
                                        ; implicit-def: $sgpr12
	s_waitcnt vmcnt(0)
	v_cmp_lt_i16_e32 vcc, s0, v7
	s_mov_b64 s[0:1], 0
	s_and_saveexec_b64 s[8:9], vcc
	s_xor_b64 s[8:9], exec, s[8:9]
	s_cbranch_execz .LBB7_469
; %bb.449:
	s_movk_i32 s0, 0x80
	v_cmp_eq_u16_e32 vcc, s0, v7
	s_mov_b64 s[0:1], -1
                                        ; implicit-def: $sgpr12
	s_and_saveexec_b64 s[10:11], vcc
; %bb.450:
	s_movk_i32 s12, 0x7e00
	s_xor_b64 s[0:1], exec, -1
; %bb.451:
	s_or_b64 exec, exec, s[10:11]
	s_and_b64 s[0:1], s[0:1], exec
	s_or_saveexec_b64 s[8:9], s[8:9]
	v_mov_b32_e32 v1, s12
	s_xor_b64 exec, exec, s[8:9]
	s_cbranch_execnz .LBB7_470
.LBB7_452:
	s_or_b64 exec, exec, s[8:9]
	s_and_saveexec_b64 s[8:9], s[0:1]
	s_cbranch_execz .LBB7_454
.LBB7_453:
	v_lshlrev_b32_e32 v1, 24, v7
	v_and_b32_e32 v7, 0xffff, v7
	v_and_b32_e32 v9, 7, v7
	v_ffbh_u32_e32 v11, v9
	v_min_u32_e32 v11, 32, v11
	v_subrev_u32_e32 v12, 28, v11
	v_bfe_u32 v10, v7, 3, 4
	v_lshlrev_b32_e32 v7, v12, v7
	v_sub_u32_e32 v11, 29, v11
	v_and_b32_e32 v7, 7, v7
	v_cmp_eq_u32_e32 vcc, 0, v10
	v_cndmask_b32_e32 v10, v10, v11, vcc
	v_cndmask_b32_e32 v7, v9, v7, vcc
	v_mov_b32_e32 v9, 0x3b800000
	v_lshlrev_b32_e32 v7, 20, v7
	v_and_b32_e32 v1, 0x80000000, v1
	v_lshl_add_u32 v9, v10, 23, v9
	v_or3_b32 v1, v1, v9, v7
	v_cvt_f16_f32_e32 v1, v1
.LBB7_454:
	s_or_b64 exec, exec, s[8:9]
.LBB7_455:
	s_mov_b64 s[0:1], -1
.LBB7_456:
	s_mov_b64 s[8:9], 0
.LBB7_457:
	s_and_b64 vcc, exec, s[8:9]
	s_cbranch_vccz .LBB7_492
; %bb.458:
	v_cmp_lt_i16_e32 vcc, 22, v6
	s_cbranch_vccz .LBB7_468
; %bb.459:
	v_cmp_gt_i16_e32 vcc, 24, v6
	s_cbranch_vccnz .LBB7_471
; %bb.460:
	v_cmp_lt_i16_e32 vcc, 24, v6
	s_cbranch_vccz .LBB7_472
; %bb.461:
	global_load_ubyte v7, v[2:3], off
	s_movk_i32 s0, 0x7f
                                        ; implicit-def: $sgpr12
	s_waitcnt vmcnt(0)
	v_cmp_lt_i16_e32 vcc, s0, v7
	s_mov_b64 s[0:1], 0
	s_and_saveexec_b64 s[8:9], vcc
	s_xor_b64 s[8:9], exec, s[8:9]
	s_cbranch_execz .LBB7_484
; %bb.462:
	s_movk_i32 s0, 0x80
	v_cmp_eq_u16_e32 vcc, s0, v7
	s_mov_b64 s[0:1], -1
                                        ; implicit-def: $sgpr12
	s_and_saveexec_b64 s[10:11], vcc
; %bb.463:
	s_movk_i32 s12, 0x7e00
	s_xor_b64 s[0:1], exec, -1
; %bb.464:
	s_or_b64 exec, exec, s[10:11]
	s_and_b64 s[0:1], s[0:1], exec
	s_or_saveexec_b64 s[8:9], s[8:9]
	v_mov_b32_e32 v1, s12
	s_xor_b64 exec, exec, s[8:9]
	s_cbranch_execnz .LBB7_485
.LBB7_465:
	s_or_b64 exec, exec, s[8:9]
	s_and_saveexec_b64 s[8:9], s[0:1]
	s_cbranch_execz .LBB7_467
.LBB7_466:
	v_lshlrev_b32_e32 v1, 24, v7
	v_and_b32_e32 v7, 0xffff, v7
	v_and_b32_e32 v9, 3, v7
	v_ffbh_u32_e32 v11, v9
	v_min_u32_e32 v11, 32, v11
	v_subrev_u32_e32 v12, 29, v11
	v_bfe_u32 v10, v7, 2, 5
	v_lshlrev_b32_e32 v7, v12, v7
	v_sub_u32_e32 v11, 30, v11
	v_and_b32_e32 v7, 3, v7
	v_cmp_eq_u32_e32 vcc, 0, v10
	v_cndmask_b32_e32 v10, v10, v11, vcc
	v_cndmask_b32_e32 v7, v9, v7, vcc
	v_mov_b32_e32 v9, 0x37800000
	v_lshlrev_b32_e32 v7, 21, v7
	v_and_b32_e32 v1, 0x80000000, v1
	v_lshl_add_u32 v9, v10, 23, v9
	v_or3_b32 v1, v1, v9, v7
	v_cvt_f16_f32_e32 v1, v1
.LBB7_467:
	s_or_b64 exec, exec, s[8:9]
	s_mov_b64 s[0:1], 0
	s_branch .LBB7_473
.LBB7_468:
	s_mov_b64 s[8:9], -1
                                        ; implicit-def: $vgpr1
	s_branch .LBB7_479
.LBB7_469:
	s_or_saveexec_b64 s[8:9], s[8:9]
	v_mov_b32_e32 v1, s12
	s_xor_b64 exec, exec, s[8:9]
	s_cbranch_execz .LBB7_452
.LBB7_470:
	v_cmp_ne_u16_e32 vcc, 0, v7
	s_andn2_b64 s[0:1], s[0:1], exec
	s_and_b64 s[10:11], vcc, exec
	s_or_b64 s[0:1], s[0:1], s[10:11]
	v_mov_b32_e32 v1, v7
	s_or_b64 exec, exec, s[8:9]
	s_and_saveexec_b64 s[8:9], s[0:1]
	s_cbranch_execnz .LBB7_453
	s_branch .LBB7_454
.LBB7_471:
	s_mov_b64 s[0:1], -1
                                        ; implicit-def: $vgpr1
	s_branch .LBB7_476
.LBB7_472:
	s_mov_b64 s[0:1], -1
                                        ; implicit-def: $vgpr1
.LBB7_473:
	s_and_b64 vcc, exec, s[0:1]
	s_cbranch_vccz .LBB7_475
; %bb.474:
	global_load_ubyte v1, v[2:3], off
	s_mov_b32 s0, 0x7f800000
	s_waitcnt vmcnt(0)
	v_lshlrev_b32_e32 v1, 24, v1
	v_and_b32_e32 v7, 0x7f000000, v1
	v_ffbh_u32_e32 v9, v7
	v_min_u32_e32 v9, 32, v9
	v_sub_u32_e64 v9, v9, 4 clamp
	v_lshlrev_b32_e32 v11, v9, v7
	v_lshlrev_b32_e32 v9, 23, v9
	v_lshrrev_b32_e32 v11, 4, v11
	v_add_u32_e32 v10, 0x1000000, v7
	v_sub_u32_e32 v9, v11, v9
	v_ashrrev_i32_e32 v10, 8, v10
	v_add_u32_e32 v9, 0x3c000000, v9
	v_and_or_b32 v9, v10, s0, v9
	v_cmp_ne_u32_e32 vcc, 0, v7
	v_cndmask_b32_e32 v7, 0, v9, vcc
	s_brev_b32 s0, 1
	v_and_or_b32 v1, v1, s0, v7
	v_cvt_f16_f32_e32 v1, v1
.LBB7_475:
	s_mov_b64 s[0:1], 0
.LBB7_476:
	s_andn2_b64 vcc, exec, s[0:1]
	s_cbranch_vccnz .LBB7_478
; %bb.477:
	global_load_ubyte v1, v[2:3], off
	s_movk_i32 s0, 0x7f00
	s_brev_b32 s1, 16
	s_waitcnt vmcnt(0)
	v_lshlrev_b16_e32 v7, 8, v1
	v_lshlrev_b32_e32 v1, 25, v1
	v_lshrrev_b32_e32 v9, 4, v1
	v_and_or_b32 v10, v7, s0, 0.5
	v_or_b32_e32 v9, 0x70000000, v9
	v_add_f32_e32 v10, -0.5, v10
	v_mul_f32_e32 v9, 0x7800000, v9
	v_cmp_gt_u32_e32 vcc, s1, v1
	v_bfe_i32 v7, v7, 0, 16
	v_cndmask_b32_e32 v1, v9, v10, vcc
	s_brev_b32 s0, 1
	v_and_or_b32 v1, v7, s0, v1
	v_cvt_f16_f32_e32 v1, v1
.LBB7_478:
	s_mov_b64 s[8:9], 0
	s_mov_b64 s[0:1], -1
.LBB7_479:
	s_andn2_b64 vcc, exec, s[8:9]
	s_cbranch_vccnz .LBB7_492
; %bb.480:
	v_cmp_lt_i16_e32 vcc, 14, v6
	s_cbranch_vccz .LBB7_483
; %bb.481:
	v_cmp_eq_u16_e32 vcc, 15, v6
	s_cbranch_vccz .LBB7_486
; %bb.482:
	global_load_ushort v1, v[2:3], off
	s_mov_b64 s[0:1], -1
	s_mov_b64 s[2:3], 0
	s_waitcnt vmcnt(0)
	v_lshlrev_b32_e32 v1, 16, v1
	v_cvt_f16_f32_e32 v1, v1
	s_branch .LBB7_487
.LBB7_483:
	s_mov_b64 s[8:9], -1
                                        ; implicit-def: $vgpr1
	s_branch .LBB7_488
.LBB7_484:
	s_or_saveexec_b64 s[8:9], s[8:9]
	v_mov_b32_e32 v1, s12
	s_xor_b64 exec, exec, s[8:9]
	s_cbranch_execz .LBB7_465
.LBB7_485:
	v_cmp_ne_u16_e32 vcc, 0, v7
	s_andn2_b64 s[0:1], s[0:1], exec
	s_and_b64 s[10:11], vcc, exec
	s_or_b64 s[0:1], s[0:1], s[10:11]
	v_mov_b32_e32 v1, v7
	s_or_b64 exec, exec, s[8:9]
	s_and_saveexec_b64 s[8:9], s[0:1]
	s_cbranch_execnz .LBB7_466
	s_branch .LBB7_467
.LBB7_486:
	s_mov_b64 s[2:3], -1
                                        ; implicit-def: $vgpr1
.LBB7_487:
	s_mov_b64 s[8:9], 0
.LBB7_488:
	s_and_b64 vcc, exec, s[8:9]
	s_cbranch_vccz .LBB7_492
; %bb.489:
	v_cmp_eq_u16_e32 vcc, 11, v6
	s_cbranch_vccz .LBB7_491
; %bb.490:
	global_load_ubyte v1, v[2:3], off
	v_mov_b32_e32 v7, 0x3c00
	s_mov_b64 s[0:1], -1
	s_mov_b64 s[2:3], 0
	s_waitcnt vmcnt(0)
	v_cmp_ne_u16_e32 vcc, 0, v1
	v_cndmask_b32_e32 v1, 0, v7, vcc
	s_branch .LBB7_492
.LBB7_491:
	s_mov_b64 s[2:3], -1
                                        ; implicit-def: $vgpr1
.LBB7_492:
	s_branch .LBB7_295
.LBB7_493:
	v_cmp_gt_i16_e32 vcc, 5, v6
	s_cbranch_vccnz .LBB7_498
; %bb.494:
	v_cmp_gt_i16_e32 vcc, 8, v6
	s_cbranch_vccnz .LBB7_499
; %bb.495:
	;; [unrolled: 3-line block ×3, first 2 shown]
	v_cmp_lt_i16_e32 vcc, 9, v6
	s_cbranch_vccz .LBB7_501
; %bb.497:
	global_load_dwordx2 v[10:11], v[2:3], off
	s_mov_b64 s[0:1], 0
	s_waitcnt vmcnt(0)
	v_cvt_f32_f64_e32 v1, v[10:11]
	v_cvt_f16_f32_e32 v1, v1
	s_branch .LBB7_502
.LBB7_498:
	s_mov_b64 s[0:1], -1
                                        ; implicit-def: $vgpr1
	s_branch .LBB7_520
.LBB7_499:
	s_mov_b64 s[0:1], -1
                                        ; implicit-def: $vgpr1
	s_branch .LBB7_508
.LBB7_500:
	s_mov_b64 s[0:1], -1
                                        ; implicit-def: $vgpr1
	s_branch .LBB7_505
.LBB7_501:
	s_mov_b64 s[0:1], -1
                                        ; implicit-def: $vgpr1
.LBB7_502:
	s_andn2_b64 vcc, exec, s[0:1]
	s_cbranch_vccnz .LBB7_504
; %bb.503:
	global_load_dword v1, v[2:3], off
	s_waitcnt vmcnt(0)
	v_cvt_f16_f32_e32 v1, v1
.LBB7_504:
	s_mov_b64 s[0:1], 0
.LBB7_505:
	s_andn2_b64 vcc, exec, s[0:1]
	s_cbranch_vccnz .LBB7_507
; %bb.506:
	global_load_dword v1, v[2:3], off
.LBB7_507:
	s_mov_b64 s[0:1], 0
.LBB7_508:
	s_andn2_b64 vcc, exec, s[0:1]
	s_cbranch_vccnz .LBB7_519
; %bb.509:
	v_cmp_gt_i16_e32 vcc, 6, v6
	s_cbranch_vccnz .LBB7_512
; %bb.510:
	v_cmp_lt_i16_e32 vcc, 6, v6
	s_cbranch_vccz .LBB7_513
; %bb.511:
	global_load_dwordx2 v[10:11], v[2:3], off
	s_mov_b64 s[0:1], 0
	s_waitcnt vmcnt(0)
	v_cvt_f32_f64_e32 v1, v[10:11]
	v_cvt_f16_f32_e32 v1, v1
	s_branch .LBB7_514
.LBB7_512:
	s_mov_b64 s[0:1], -1
                                        ; implicit-def: $vgpr1
	s_branch .LBB7_517
.LBB7_513:
	s_mov_b64 s[0:1], -1
                                        ; implicit-def: $vgpr1
.LBB7_514:
	s_andn2_b64 vcc, exec, s[0:1]
	s_cbranch_vccnz .LBB7_516
; %bb.515:
	global_load_dword v1, v[2:3], off
	s_waitcnt vmcnt(0)
	v_cvt_f16_f32_e32 v1, v1
.LBB7_516:
	s_mov_b64 s[0:1], 0
.LBB7_517:
	s_andn2_b64 vcc, exec, s[0:1]
	s_cbranch_vccnz .LBB7_519
; %bb.518:
	global_load_ushort v1, v[2:3], off
.LBB7_519:
	s_mov_b64 s[0:1], 0
.LBB7_520:
	s_andn2_b64 vcc, exec, s[0:1]
	s_cbranch_vccnz .LBB7_540
; %bb.521:
	v_cmp_gt_i16_e32 vcc, 2, v6
	s_cbranch_vccnz .LBB7_525
; %bb.522:
	v_cmp_gt_i16_e32 vcc, 3, v6
	s_cbranch_vccnz .LBB7_526
; %bb.523:
	v_cmp_lt_i16_e32 vcc, 3, v6
	s_cbranch_vccz .LBB7_527
; %bb.524:
	global_load_dwordx2 v[10:11], v[2:3], off
	s_mov_b64 s[0:1], 0
	s_waitcnt vmcnt(0)
	v_xor_b32_e32 v7, v10, v11
	v_ffbh_i32_e32 v1, v11
	v_ashrrev_i32_e32 v7, 31, v7
	v_add_u32_e32 v1, -1, v1
	v_add_u32_e32 v7, 32, v7
	v_min_u32_e32 v1, v1, v7
	v_lshlrev_b64 v[10:11], v1, v[10:11]
	v_min_u32_e32 v7, 1, v10
	v_or_b32_e32 v7, v11, v7
	v_cvt_f32_i32_e32 v7, v7
	v_sub_u32_e32 v1, 32, v1
	v_ldexp_f32 v1, v7, v1
	v_cvt_f16_f32_e32 v1, v1
	s_branch .LBB7_528
.LBB7_525:
	s_mov_b64 s[0:1], -1
                                        ; implicit-def: $vgpr1
	s_branch .LBB7_534
.LBB7_526:
	s_mov_b64 s[0:1], -1
                                        ; implicit-def: $vgpr1
	s_branch .LBB7_531
.LBB7_527:
	s_mov_b64 s[0:1], -1
                                        ; implicit-def: $vgpr1
.LBB7_528:
	s_andn2_b64 vcc, exec, s[0:1]
	s_cbranch_vccnz .LBB7_530
; %bb.529:
	global_load_dword v1, v[2:3], off
	s_waitcnt vmcnt(0)
	v_cvt_f32_i32_e32 v1, v1
	v_cvt_f16_f32_e32 v1, v1
.LBB7_530:
	s_mov_b64 s[0:1], 0
.LBB7_531:
	s_andn2_b64 vcc, exec, s[0:1]
	s_cbranch_vccnz .LBB7_533
; %bb.532:
	global_load_ushort v1, v[2:3], off
	s_waitcnt vmcnt(0)
	v_cvt_f16_i16_e32 v1, v1
.LBB7_533:
	s_mov_b64 s[0:1], 0
.LBB7_534:
	s_andn2_b64 vcc, exec, s[0:1]
	s_cbranch_vccnz .LBB7_540
; %bb.535:
	v_cmp_lt_i16_e32 vcc, 0, v6
	s_cbranch_vccz .LBB7_537
; %bb.536:
	global_load_sbyte v1, v[2:3], off
	s_mov_b64 s[0:1], 0
	s_waitcnt vmcnt(0)
	v_cvt_f16_i16_e32 v1, v1
	s_branch .LBB7_538
.LBB7_537:
	s_mov_b64 s[0:1], -1
                                        ; implicit-def: $vgpr1
.LBB7_538:
	s_andn2_b64 vcc, exec, s[0:1]
	s_cbranch_vccnz .LBB7_540
; %bb.539:
	global_load_ubyte v1, v[2:3], off
	s_waitcnt vmcnt(0)
	v_cvt_f16_u16_e32 v1, v1
.LBB7_540:
	s_branch .LBB7_296
.LBB7_541:
	s_mov_b64 s[8:9], 0
	s_mov_b64 s[0:1], s[52:53]
.LBB7_542:
                                        ; implicit-def: $vgpr8
.LBB7_543:
	s_andn2_b64 s[10:11], s[52:53], exec
	s_and_b64 s[0:1], s[0:1], exec
	s_or_b64 s[60:61], s[10:11], s[0:1]
	s_andn2_b64 s[0:1], s[54:55], exec
	s_and_b64 s[2:3], s[2:3], exec
	s_or_b64 s[58:59], s[0:1], s[2:3]
	s_orn2_b64 s[0:1], s[8:9], exec
.LBB7_544:
	s_or_b64 exec, exec, s[62:63]
	s_mov_b64 s[2:3], 0
	s_mov_b64 s[8:9], 0
	;; [unrolled: 1-line block ×3, first 2 shown]
                                        ; implicit-def: $vgpr2_vgpr3
                                        ; implicit-def: $vgpr0
                                        ; implicit-def: $vgpr7
	s_and_saveexec_b64 s[62:63], s[0:1]
	s_cbranch_execz .LBB7_921
; %bb.545:
	v_cmp_gt_i32_e32 vcc, s72, v8
	s_mov_b64 s[2:3], -1
	s_mov_b64 s[66:67], s[58:59]
	s_mov_b64 s[68:69], s[60:61]
	s_and_saveexec_b64 s[64:65], vcc
	s_cbranch_execz .LBB7_820
; %bb.546:
	s_andn2_b64 vcc, exec, s[40:41]
	s_cbranch_vccnz .LBB7_552
; %bb.547:
	s_mov_b32 s66, 0
	s_andn2_b64 vcc, exec, s[50:51]
	v_mov_b32_e32 v2, 0
	v_mov_b32_e32 v0, 0
	s_cbranch_vccnz .LBB7_558
; %bb.548:
	s_add_i32 s76, s73, 1
	s_cmp_eq_u32 s74, 2
	s_cbranch_scc1 .LBB7_553
; %bb.549:
	s_and_b32 s66, s76, 28
	s_mov_b32 s67, 0
	v_mov_b32_e32 v0, 0
	s_mov_b64 s[68:69], s[34:35]
	s_mov_b64 s[70:71], s[48:49]
	v_mov_b32_e32 v3, v8
	v_mov_b32_e32 v2, 0
.LBB7_550:                              ; =>This Inner Loop Header: Depth=1
	s_load_dwordx8 s[16:23], s[68:69], 0x4
	s_load_dwordx4 s[0:3], s[68:69], 0x24
	s_load_dwordx8 s[8:15], s[70:71], 0x0
	s_add_u32 s68, s68, 48
	s_addc_u32 s69, s69, 0
	s_waitcnt vmcnt(0) lgkmcnt(0)
	v_mul_hi_u32 v1, s17, v3
	v_add_u32_e32 v1, v3, v1
	v_lshrrev_b32_e32 v1, s18, v1
	v_mul_lo_u32 v7, v1, s16
	v_mul_hi_u32 v9, s20, v1
	v_sub_u32_e32 v3, v3, v7
	v_add_u32_e32 v7, v1, v9
	v_lshrrev_b32_e32 v7, s21, v7
	v_mul_lo_u32 v10, v7, s19
	v_mul_hi_u32 v11, s23, v7
	v_sub_u32_e32 v1, v1, v10
	v_add_u32_e32 v10, v7, v11
	v_mul_lo_u32 v9, v3, s9
	v_mul_lo_u32 v3, v3, s8
	;; [unrolled: 1-line block ×4, first 2 shown]
	v_lshrrev_b32_e32 v10, s0, v10
	v_add3_u32 v0, v3, v0, v1
	v_mul_hi_u32 v3, s2, v10
	v_add_u32_e32 v3, v10, v3
	v_lshrrev_b32_e32 v3, s3, v3
	s_add_i32 s67, s67, 4
	v_add3_u32 v1, v9, v2, v11
	v_mul_lo_u32 v2, v10, s22
	v_mul_lo_u32 v9, v3, s1
	s_add_u32 s70, s70, 32
	v_sub_u32_e32 v2, v7, v2
	v_sub_u32_e32 v9, v10, v9
	s_addc_u32 s71, s71, 0
	v_mul_lo_u32 v7, v2, s12
	v_mul_lo_u32 v2, v2, s13
	;; [unrolled: 1-line block ×4, first 2 shown]
	s_cmp_eq_u32 s66, s67
	v_add3_u32 v2, v2, v1, v9
	v_add3_u32 v0, v7, v0, v10
	s_cbranch_scc0 .LBB7_550
; %bb.551:
	v_mov_b32_e32 v1, v2
	s_branch .LBB7_554
.LBB7_552:
	s_mov_b64 s[0:1], -1
                                        ; implicit-def: $vgpr2
                                        ; implicit-def: $vgpr0
	s_branch .LBB7_559
.LBB7_553:
	s_mov_b32 s67, s66
	s_waitcnt vmcnt(0)
	v_pk_mov_b32 v[0:1], s[66:67], s[66:67] op_sel:[0,1]
                                        ; implicit-def: $vgpr2
	v_mov_b32_e32 v3, v8
.LBB7_554:
	s_and_b32 s8, s76, 3
	s_cmp_eq_u32 s8, 0
	s_cbranch_scc1 .LBB7_558
; %bb.555:
	s_lshl_b32 s0, s66, 3
	s_add_u32 s0, s0, s34
	s_addc_u32 s1, s35, 0
	s_add_u32 s0, s0, 0xc4
	s_addc_u32 s1, s1, 0
	s_mul_i32 s2, s66, 12
	s_add_u32 s2, s34, s2
	s_addc_u32 s3, s35, 0
.LBB7_556:                              ; =>This Inner Loop Header: Depth=1
	s_load_dwordx2 s[10:11], s[2:3], 0x4
	s_load_dword s9, s[2:3], 0xc
	s_load_dwordx2 s[12:13], s[0:1], 0x0
	v_mov_b32_e32 v2, v1
	s_add_u32 s2, s2, 12
	s_waitcnt lgkmcnt(0)
	v_mul_hi_u32 v1, s11, v3
	v_add_u32_e32 v1, v3, v1
	v_lshrrev_b32_e32 v1, s9, v1
	s_addc_u32 s3, s3, 0
	v_mul_lo_u32 v7, v1, s10
	s_add_u32 s0, s0, 8
	v_sub_u32_e32 v7, v3, v7
	v_mov_b32_e32 v3, v1
	s_addc_u32 s1, s1, 0
	s_add_i32 s8, s8, -1
	v_mad_u64_u32 v[10:11], s[10:11], v7, s13, v[2:3]
	v_mad_u64_u32 v[0:1], s[10:11], v7, s12, v[0:1]
	s_cmp_lg_u32 s8, 0
	v_mov_b32_e32 v1, v10
	s_cbranch_scc1 .LBB7_556
; %bb.557:
	v_mov_b32_e32 v2, v1
.LBB7_558:
	s_mov_b64 s[0:1], 0
.LBB7_559:
	s_andn2_b64 vcc, exec, s[0:1]
	s_cbranch_vccnz .LBB7_562
; %bb.560:
	v_mul_hi_u32 v0, s29, v8
	v_add_u32_e32 v0, v8, v0
	s_waitcnt vmcnt(0)
	v_lshrrev_b32_e32 v1, s30, v0
	v_mul_lo_u32 v0, v1, s28
	v_sub_u32_e32 v0, v8, v0
	v_mul_lo_u32 v2, v0, s37
	s_andn2_b64 vcc, exec, s[46:47]
	v_mul_lo_u32 v0, v0, s36
	s_cbranch_vccnz .LBB7_562
; %bb.561:
	v_mul_hi_u32 v3, s44, v1
	v_add_u32_e32 v3, v1, v3
	v_lshrrev_b32_e32 v3, s45, v3
	v_mul_lo_u32 v3, v3, s31
	v_sub_u32_e32 v3, v1, v3
	v_mad_u64_u32 v[0:1], s[0:1], v3, s38, v[0:1]
	v_mad_u64_u32 v[2:3], s[0:1], v3, s39, v[2:3]
.LBB7_562:
	s_waitcnt vmcnt(0)
	v_mov_b32_e32 v1, s27
	v_add_co_u32_e32 v2, vcc, s26, v2
	v_addc_co_u32_e32 v3, vcc, 0, v1, vcc
	v_cmp_gt_i16_e32 vcc, 11, v6
	s_cbranch_vccnz .LBB7_569
; %bb.563:
	v_cmp_lt_i16_e32 vcc, 25, v6
	s_cbranch_vccz .LBB7_570
; %bb.564:
	v_cmp_lt_i16_e32 vcc, 28, v6
	s_cbranch_vccz .LBB7_571
	;; [unrolled: 3-line block ×4, first 2 shown]
; %bb.567:
	v_cmp_eq_u16_e32 vcc, 46, v6
	s_mov_b64 s[8:9], 0
	s_cbranch_vccz .LBB7_578
; %bb.568:
	global_load_dword v1, v[2:3], off
	s_mov_b64 s[0:1], -1
	s_mov_b64 s[2:3], 0
	s_waitcnt vmcnt(0)
	v_lshlrev_b32_e32 v1, 16, v1
	v_cvt_f16_f32_e32 v1, v1
	s_branch .LBB7_579
.LBB7_569:
	s_mov_b64 s[8:9], -1
	s_mov_b64 s[0:1], 0
                                        ; implicit-def: $vgpr1
	s_mov_b64 s[2:3], s[58:59]
	s_branch .LBB7_644
.LBB7_570:
	s_mov_b64 s[8:9], -1
	s_mov_b64 s[0:1], 0
	s_mov_b64 s[2:3], s[58:59]
                                        ; implicit-def: $vgpr1
	s_branch .LBB7_608
.LBB7_571:
	s_mov_b64 s[8:9], -1
	s_mov_b64 s[0:1], 0
	s_mov_b64 s[2:3], s[58:59]
                                        ; implicit-def: $vgpr1
	s_branch .LBB7_589
.LBB7_572:
	s_mov_b64 s[8:9], -1
	s_mov_b64 s[0:1], 0
	s_mov_b64 s[2:3], s[58:59]
                                        ; implicit-def: $vgpr1
	s_branch .LBB7_584
.LBB7_573:
	s_or_saveexec_b64 s[12:13], s[12:13]
                                        ; implicit-def: $sgpr14
	s_xor_b64 exec, exec, s[12:13]
	s_cbranch_execz .LBB7_341
.LBB7_574:
	s_mov_b32 s14, 0x46000000
	v_add_f32_e64 v7, |v3|, s14
	v_and_b32_e32 v7, 0xff, v7
	v_cmp_ne_u32_e32 vcc, 0, v7
	s_andn2_b64 s[10:11], s[10:11], exec
	s_and_b64 s[16:17], vcc, exec
	s_mov_b32 s14, 0
	s_or_b64 s[10:11], s[10:11], s[16:17]
	s_or_b64 exec, exec, s[12:13]
	v_mov_b32_e32 v9, s14
	s_and_saveexec_b64 s[12:13], s[10:11]
	s_cbranch_execnz .LBB7_342
	s_branch .LBB7_343
.LBB7_575:
	s_mov_b64 s[8:9], -1
	s_mov_b64 s[0:1], 0
	s_mov_b64 s[2:3], s[58:59]
                                        ; implicit-def: $vgpr1
	s_branch .LBB7_579
.LBB7_576:
	s_or_saveexec_b64 s[12:13], s[12:13]
                                        ; implicit-def: $sgpr14
	s_xor_b64 exec, exec, s[12:13]
	s_cbranch_execz .LBB7_354
.LBB7_577:
	s_mov_b32 s14, 0x42800000
	v_add_f32_e64 v7, |v3|, s14
	v_and_b32_e32 v7, 0xff, v7
	v_cmp_ne_u32_e32 vcc, 0, v7
	s_andn2_b64 s[10:11], s[10:11], exec
	s_and_b64 s[16:17], vcc, exec
	s_mov_b32 s14, 0
	s_or_b64 s[10:11], s[10:11], s[16:17]
	s_or_b64 exec, exec, s[12:13]
	v_mov_b32_e32 v9, s14
	s_and_saveexec_b64 s[12:13], s[10:11]
	s_cbranch_execnz .LBB7_355
	s_branch .LBB7_356
.LBB7_578:
	s_mov_b64 s[2:3], -1
                                        ; implicit-def: $vgpr1
	s_mov_b64 s[0:1], 0
.LBB7_579:
	s_and_b64 vcc, exec, s[8:9]
	s_cbranch_vccz .LBB7_583
; %bb.580:
	v_cmp_eq_u16_e32 vcc, 44, v6
	s_cbranch_vccz .LBB7_582
; %bb.581:
	global_load_ubyte v1, v[2:3], off
	s_movk_i32 s2, 0xff
	v_mov_b32_e32 v9, 0x7e00
	s_mov_b64 s[0:1], -1
	s_waitcnt vmcnt(0)
	v_lshlrev_b32_e32 v7, 23, v1
	v_cvt_f16_f32_e32 v7, v7
	v_cmp_ne_u32_e32 vcc, s2, v1
	s_mov_b64 s[2:3], 0
	v_cndmask_b32_e32 v7, v9, v7, vcc
	v_cmp_ne_u32_e32 vcc, 0, v1
	v_cndmask_b32_e32 v1, 0, v7, vcc
	s_branch .LBB7_583
.LBB7_582:
	s_mov_b64 s[2:3], -1
                                        ; implicit-def: $vgpr1
.LBB7_583:
	s_mov_b64 s[8:9], 0
.LBB7_584:
	s_and_b64 vcc, exec, s[8:9]
	s_cbranch_vccz .LBB7_588
; %bb.585:
	v_cmp_eq_u16_e32 vcc, 29, v6
	s_cbranch_vccz .LBB7_587
; %bb.586:
	global_load_dwordx2 v[10:11], v[2:3], off
	s_mov_b64 s[0:1], -1
	s_mov_b64 s[2:3], 0
	s_mov_b64 s[8:9], 0
	s_waitcnt vmcnt(0)
	v_ffbh_u32_e32 v1, v11
	v_min_u32_e32 v1, 32, v1
	v_lshlrev_b64 v[10:11], v1, v[10:11]
	v_min_u32_e32 v7, 1, v10
	v_or_b32_e32 v7, v11, v7
	v_cvt_f32_u32_e32 v7, v7
	v_sub_u32_e32 v1, 32, v1
	v_ldexp_f32 v1, v7, v1
	v_cvt_f16_f32_e32 v1, v1
	s_branch .LBB7_589
.LBB7_587:
	s_mov_b64 s[2:3], -1
                                        ; implicit-def: $vgpr1
.LBB7_588:
	s_mov_b64 s[8:9], 0
.LBB7_589:
	s_and_b64 vcc, exec, s[8:9]
	s_cbranch_vccz .LBB7_607
; %bb.590:
	v_cmp_gt_i16_e32 vcc, 27, v6
	s_cbranch_vccnz .LBB7_593
; %bb.591:
	v_cmp_lt_i16_e32 vcc, 27, v6
	s_cbranch_vccz .LBB7_594
; %bb.592:
	global_load_dword v1, v[2:3], off
	s_mov_b64 s[0:1], 0
	s_waitcnt vmcnt(0)
	v_cvt_f32_u32_e32 v1, v1
	v_cvt_f16_f32_e32 v1, v1
	s_branch .LBB7_595
.LBB7_593:
	s_mov_b64 s[0:1], -1
                                        ; implicit-def: $vgpr1
	s_branch .LBB7_598
.LBB7_594:
	s_mov_b64 s[0:1], -1
                                        ; implicit-def: $vgpr1
.LBB7_595:
	s_andn2_b64 vcc, exec, s[0:1]
	s_cbranch_vccnz .LBB7_597
; %bb.596:
	global_load_ushort v1, v[2:3], off
	s_waitcnt vmcnt(0)
	v_cvt_f16_u16_e32 v1, v1
.LBB7_597:
	s_mov_b64 s[0:1], 0
.LBB7_598:
	s_andn2_b64 vcc, exec, s[0:1]
	s_cbranch_vccnz .LBB7_606
; %bb.599:
	global_load_ubyte v7, v[2:3], off
	s_movk_i32 s0, 0x7f
                                        ; implicit-def: $sgpr12
	s_waitcnt vmcnt(0)
	v_cmp_lt_i16_e32 vcc, s0, v7
	s_mov_b64 s[0:1], 0
	s_and_saveexec_b64 s[8:9], vcc
	s_xor_b64 s[8:9], exec, s[8:9]
	s_cbranch_execz .LBB7_620
; %bb.600:
	s_movk_i32 s0, 0x80
	v_cmp_eq_u16_e32 vcc, s0, v7
	s_mov_b64 s[0:1], -1
                                        ; implicit-def: $sgpr12
	s_and_saveexec_b64 s[10:11], vcc
; %bb.601:
	s_movk_i32 s12, 0x7e00
	s_xor_b64 s[0:1], exec, -1
; %bb.602:
	s_or_b64 exec, exec, s[10:11]
	s_and_b64 s[0:1], s[0:1], exec
	s_or_saveexec_b64 s[8:9], s[8:9]
	v_mov_b32_e32 v1, s12
	s_xor_b64 exec, exec, s[8:9]
	s_cbranch_execnz .LBB7_621
.LBB7_603:
	s_or_b64 exec, exec, s[8:9]
	s_and_saveexec_b64 s[8:9], s[0:1]
	s_cbranch_execz .LBB7_605
.LBB7_604:
	v_lshlrev_b32_e32 v1, 24, v7
	v_and_b32_e32 v7, 0xffff, v7
	v_and_b32_e32 v9, 7, v7
	v_ffbh_u32_e32 v11, v9
	v_min_u32_e32 v11, 32, v11
	v_subrev_u32_e32 v12, 28, v11
	v_bfe_u32 v10, v7, 3, 4
	v_lshlrev_b32_e32 v7, v12, v7
	v_sub_u32_e32 v11, 29, v11
	v_and_b32_e32 v7, 7, v7
	v_cmp_eq_u32_e32 vcc, 0, v10
	v_cndmask_b32_e32 v10, v10, v11, vcc
	v_cndmask_b32_e32 v7, v9, v7, vcc
	v_mov_b32_e32 v9, 0x3b800000
	v_lshlrev_b32_e32 v7, 20, v7
	v_and_b32_e32 v1, 0x80000000, v1
	v_lshl_add_u32 v9, v10, 23, v9
	v_or3_b32 v1, v1, v9, v7
	v_cvt_f16_f32_e32 v1, v1
.LBB7_605:
	s_or_b64 exec, exec, s[8:9]
.LBB7_606:
	s_mov_b64 s[0:1], -1
.LBB7_607:
	s_mov_b64 s[8:9], 0
.LBB7_608:
	s_and_b64 vcc, exec, s[8:9]
	s_cbranch_vccz .LBB7_643
; %bb.609:
	v_cmp_lt_i16_e32 vcc, 22, v6
	s_cbranch_vccz .LBB7_619
; %bb.610:
	v_cmp_gt_i16_e32 vcc, 24, v6
	s_cbranch_vccnz .LBB7_622
; %bb.611:
	v_cmp_lt_i16_e32 vcc, 24, v6
	s_cbranch_vccz .LBB7_623
; %bb.612:
	global_load_ubyte v7, v[2:3], off
	s_movk_i32 s0, 0x7f
                                        ; implicit-def: $sgpr12
	s_waitcnt vmcnt(0)
	v_cmp_lt_i16_e32 vcc, s0, v7
	s_mov_b64 s[0:1], 0
	s_and_saveexec_b64 s[8:9], vcc
	s_xor_b64 s[8:9], exec, s[8:9]
	s_cbranch_execz .LBB7_635
; %bb.613:
	s_movk_i32 s0, 0x80
	v_cmp_eq_u16_e32 vcc, s0, v7
	s_mov_b64 s[0:1], -1
                                        ; implicit-def: $sgpr12
	s_and_saveexec_b64 s[10:11], vcc
; %bb.614:
	s_movk_i32 s12, 0x7e00
	s_xor_b64 s[0:1], exec, -1
; %bb.615:
	s_or_b64 exec, exec, s[10:11]
	s_and_b64 s[0:1], s[0:1], exec
	s_or_saveexec_b64 s[8:9], s[8:9]
	v_mov_b32_e32 v1, s12
	s_xor_b64 exec, exec, s[8:9]
	s_cbranch_execnz .LBB7_636
.LBB7_616:
	s_or_b64 exec, exec, s[8:9]
	s_and_saveexec_b64 s[8:9], s[0:1]
	s_cbranch_execz .LBB7_618
.LBB7_617:
	v_lshlrev_b32_e32 v1, 24, v7
	v_and_b32_e32 v7, 0xffff, v7
	v_and_b32_e32 v9, 3, v7
	v_ffbh_u32_e32 v11, v9
	v_min_u32_e32 v11, 32, v11
	v_subrev_u32_e32 v12, 29, v11
	v_bfe_u32 v10, v7, 2, 5
	v_lshlrev_b32_e32 v7, v12, v7
	v_sub_u32_e32 v11, 30, v11
	v_and_b32_e32 v7, 3, v7
	v_cmp_eq_u32_e32 vcc, 0, v10
	v_cndmask_b32_e32 v10, v10, v11, vcc
	v_cndmask_b32_e32 v7, v9, v7, vcc
	v_mov_b32_e32 v9, 0x37800000
	v_lshlrev_b32_e32 v7, 21, v7
	v_and_b32_e32 v1, 0x80000000, v1
	v_lshl_add_u32 v9, v10, 23, v9
	v_or3_b32 v1, v1, v9, v7
	v_cvt_f16_f32_e32 v1, v1
.LBB7_618:
	s_or_b64 exec, exec, s[8:9]
	s_mov_b64 s[0:1], 0
	s_branch .LBB7_624
.LBB7_619:
	s_mov_b64 s[8:9], -1
                                        ; implicit-def: $vgpr1
	s_branch .LBB7_630
.LBB7_620:
	s_or_saveexec_b64 s[8:9], s[8:9]
	v_mov_b32_e32 v1, s12
	s_xor_b64 exec, exec, s[8:9]
	s_cbranch_execz .LBB7_603
.LBB7_621:
	v_cmp_ne_u16_e32 vcc, 0, v7
	s_andn2_b64 s[0:1], s[0:1], exec
	s_and_b64 s[10:11], vcc, exec
	s_or_b64 s[0:1], s[0:1], s[10:11]
	v_mov_b32_e32 v1, v7
	s_or_b64 exec, exec, s[8:9]
	s_and_saveexec_b64 s[8:9], s[0:1]
	s_cbranch_execnz .LBB7_604
	s_branch .LBB7_605
.LBB7_622:
	s_mov_b64 s[0:1], -1
                                        ; implicit-def: $vgpr1
	s_branch .LBB7_627
.LBB7_623:
	s_mov_b64 s[0:1], -1
                                        ; implicit-def: $vgpr1
.LBB7_624:
	s_and_b64 vcc, exec, s[0:1]
	s_cbranch_vccz .LBB7_626
; %bb.625:
	global_load_ubyte v1, v[2:3], off
	s_mov_b32 s0, 0x7f800000
	s_waitcnt vmcnt(0)
	v_lshlrev_b32_e32 v1, 24, v1
	v_and_b32_e32 v7, 0x7f000000, v1
	v_ffbh_u32_e32 v9, v7
	v_min_u32_e32 v9, 32, v9
	v_sub_u32_e64 v9, v9, 4 clamp
	v_lshlrev_b32_e32 v11, v9, v7
	v_lshlrev_b32_e32 v9, 23, v9
	v_lshrrev_b32_e32 v11, 4, v11
	v_add_u32_e32 v10, 0x1000000, v7
	v_sub_u32_e32 v9, v11, v9
	v_ashrrev_i32_e32 v10, 8, v10
	v_add_u32_e32 v9, 0x3c000000, v9
	v_and_or_b32 v9, v10, s0, v9
	v_cmp_ne_u32_e32 vcc, 0, v7
	v_cndmask_b32_e32 v7, 0, v9, vcc
	s_brev_b32 s0, 1
	v_and_or_b32 v1, v1, s0, v7
	v_cvt_f16_f32_e32 v1, v1
.LBB7_626:
	s_mov_b64 s[0:1], 0
.LBB7_627:
	s_andn2_b64 vcc, exec, s[0:1]
	s_cbranch_vccnz .LBB7_629
; %bb.628:
	global_load_ubyte v1, v[2:3], off
	s_movk_i32 s0, 0x7f00
	s_brev_b32 s1, 16
	s_waitcnt vmcnt(0)
	v_lshlrev_b16_e32 v7, 8, v1
	v_lshlrev_b32_e32 v1, 25, v1
	v_lshrrev_b32_e32 v9, 4, v1
	v_and_or_b32 v10, v7, s0, 0.5
	v_or_b32_e32 v9, 0x70000000, v9
	v_add_f32_e32 v10, -0.5, v10
	v_mul_f32_e32 v9, 0x7800000, v9
	v_cmp_gt_u32_e32 vcc, s1, v1
	v_bfe_i32 v7, v7, 0, 16
	v_cndmask_b32_e32 v1, v9, v10, vcc
	s_brev_b32 s0, 1
	v_and_or_b32 v1, v7, s0, v1
	v_cvt_f16_f32_e32 v1, v1
.LBB7_629:
	s_mov_b64 s[8:9], 0
	s_mov_b64 s[0:1], -1
.LBB7_630:
	s_andn2_b64 vcc, exec, s[8:9]
	s_cbranch_vccnz .LBB7_643
; %bb.631:
	v_cmp_lt_i16_e32 vcc, 14, v6
	s_cbranch_vccz .LBB7_634
; %bb.632:
	v_cmp_eq_u16_e32 vcc, 15, v6
	s_cbranch_vccz .LBB7_637
; %bb.633:
	global_load_ushort v1, v[2:3], off
	s_mov_b64 s[0:1], -1
	s_mov_b64 s[2:3], 0
	s_waitcnt vmcnt(0)
	v_lshlrev_b32_e32 v1, 16, v1
	v_cvt_f16_f32_e32 v1, v1
	s_branch .LBB7_638
.LBB7_634:
	s_mov_b64 s[8:9], -1
                                        ; implicit-def: $vgpr1
	s_branch .LBB7_639
.LBB7_635:
	s_or_saveexec_b64 s[8:9], s[8:9]
	v_mov_b32_e32 v1, s12
	s_xor_b64 exec, exec, s[8:9]
	s_cbranch_execz .LBB7_616
.LBB7_636:
	v_cmp_ne_u16_e32 vcc, 0, v7
	s_andn2_b64 s[0:1], s[0:1], exec
	s_and_b64 s[10:11], vcc, exec
	s_or_b64 s[0:1], s[0:1], s[10:11]
	v_mov_b32_e32 v1, v7
	s_or_b64 exec, exec, s[8:9]
	s_and_saveexec_b64 s[8:9], s[0:1]
	s_cbranch_execnz .LBB7_617
	s_branch .LBB7_618
.LBB7_637:
	s_mov_b64 s[2:3], -1
                                        ; implicit-def: $vgpr1
.LBB7_638:
	s_mov_b64 s[8:9], 0
.LBB7_639:
	s_and_b64 vcc, exec, s[8:9]
	s_cbranch_vccz .LBB7_643
; %bb.640:
	v_cmp_eq_u16_e32 vcc, 11, v6
	s_cbranch_vccz .LBB7_642
; %bb.641:
	global_load_ubyte v1, v[2:3], off
	v_mov_b32_e32 v7, 0x3c00
	s_mov_b64 s[0:1], -1
	s_mov_b64 s[2:3], 0
	s_waitcnt vmcnt(0)
	v_cmp_ne_u16_e32 vcc, 0, v1
	v_cndmask_b32_e32 v1, 0, v7, vcc
	s_branch .LBB7_643
.LBB7_642:
	s_mov_b64 s[2:3], -1
                                        ; implicit-def: $vgpr1
.LBB7_643:
	s_mov_b64 s[8:9], 0
.LBB7_644:
	s_and_b64 vcc, exec, s[8:9]
	s_cbranch_vccz .LBB7_693
; %bb.645:
	v_cmp_gt_i16_e32 vcc, 5, v6
	s_cbranch_vccnz .LBB7_650
; %bb.646:
	v_cmp_gt_i16_e32 vcc, 8, v6
	s_cbranch_vccnz .LBB7_651
	;; [unrolled: 3-line block ×3, first 2 shown]
; %bb.648:
	v_cmp_lt_i16_e32 vcc, 9, v6
	s_cbranch_vccz .LBB7_653
; %bb.649:
	global_load_dwordx2 v[10:11], v[2:3], off
	s_mov_b64 s[0:1], 0
	s_waitcnt vmcnt(0)
	v_cvt_f32_f64_e32 v1, v[10:11]
	v_cvt_f16_f32_e32 v1, v1
	s_branch .LBB7_654
.LBB7_650:
	s_mov_b64 s[0:1], -1
                                        ; implicit-def: $vgpr1
	s_branch .LBB7_672
.LBB7_651:
	s_mov_b64 s[0:1], -1
                                        ; implicit-def: $vgpr1
	s_branch .LBB7_660
.LBB7_652:
	s_mov_b64 s[0:1], -1
                                        ; implicit-def: $vgpr1
	s_branch .LBB7_657
.LBB7_653:
	s_mov_b64 s[0:1], -1
                                        ; implicit-def: $vgpr1
.LBB7_654:
	s_andn2_b64 vcc, exec, s[0:1]
	s_cbranch_vccnz .LBB7_656
; %bb.655:
	global_load_dword v1, v[2:3], off
	s_waitcnt vmcnt(0)
	v_cvt_f16_f32_e32 v1, v1
.LBB7_656:
	s_mov_b64 s[0:1], 0
.LBB7_657:
	s_andn2_b64 vcc, exec, s[0:1]
	s_cbranch_vccnz .LBB7_659
; %bb.658:
	global_load_dword v1, v[2:3], off
.LBB7_659:
	s_mov_b64 s[0:1], 0
.LBB7_660:
	s_andn2_b64 vcc, exec, s[0:1]
	s_cbranch_vccnz .LBB7_671
; %bb.661:
	v_cmp_gt_i16_e32 vcc, 6, v6
	s_cbranch_vccnz .LBB7_664
; %bb.662:
	v_cmp_lt_i16_e32 vcc, 6, v6
	s_cbranch_vccz .LBB7_665
; %bb.663:
	global_load_dwordx2 v[10:11], v[2:3], off
	s_mov_b64 s[0:1], 0
	s_waitcnt vmcnt(0)
	v_cvt_f32_f64_e32 v1, v[10:11]
	v_cvt_f16_f32_e32 v1, v1
	s_branch .LBB7_666
.LBB7_664:
	s_mov_b64 s[0:1], -1
                                        ; implicit-def: $vgpr1
	s_branch .LBB7_669
.LBB7_665:
	s_mov_b64 s[0:1], -1
                                        ; implicit-def: $vgpr1
.LBB7_666:
	s_andn2_b64 vcc, exec, s[0:1]
	s_cbranch_vccnz .LBB7_668
; %bb.667:
	global_load_dword v1, v[2:3], off
	s_waitcnt vmcnt(0)
	v_cvt_f16_f32_e32 v1, v1
.LBB7_668:
	s_mov_b64 s[0:1], 0
.LBB7_669:
	s_andn2_b64 vcc, exec, s[0:1]
	s_cbranch_vccnz .LBB7_671
; %bb.670:
	global_load_ushort v1, v[2:3], off
.LBB7_671:
	s_mov_b64 s[0:1], 0
.LBB7_672:
	s_andn2_b64 vcc, exec, s[0:1]
	s_cbranch_vccnz .LBB7_692
; %bb.673:
	v_cmp_gt_i16_e32 vcc, 2, v6
	s_cbranch_vccnz .LBB7_677
; %bb.674:
	v_cmp_gt_i16_e32 vcc, 3, v6
	s_cbranch_vccnz .LBB7_678
; %bb.675:
	v_cmp_lt_i16_e32 vcc, 3, v6
	s_cbranch_vccz .LBB7_679
; %bb.676:
	global_load_dwordx2 v[10:11], v[2:3], off
	s_mov_b64 s[0:1], 0
	s_waitcnt vmcnt(0)
	v_xor_b32_e32 v7, v10, v11
	v_ffbh_i32_e32 v1, v11
	v_ashrrev_i32_e32 v7, 31, v7
	v_add_u32_e32 v1, -1, v1
	v_add_u32_e32 v7, 32, v7
	v_min_u32_e32 v1, v1, v7
	v_lshlrev_b64 v[10:11], v1, v[10:11]
	v_min_u32_e32 v7, 1, v10
	v_or_b32_e32 v7, v11, v7
	v_cvt_f32_i32_e32 v7, v7
	v_sub_u32_e32 v1, 32, v1
	v_ldexp_f32 v1, v7, v1
	v_cvt_f16_f32_e32 v1, v1
	s_branch .LBB7_680
.LBB7_677:
	s_mov_b64 s[0:1], -1
                                        ; implicit-def: $vgpr1
	s_branch .LBB7_686
.LBB7_678:
	s_mov_b64 s[0:1], -1
                                        ; implicit-def: $vgpr1
	s_branch .LBB7_683
.LBB7_679:
	s_mov_b64 s[0:1], -1
                                        ; implicit-def: $vgpr1
.LBB7_680:
	s_andn2_b64 vcc, exec, s[0:1]
	s_cbranch_vccnz .LBB7_682
; %bb.681:
	global_load_dword v1, v[2:3], off
	s_waitcnt vmcnt(0)
	v_cvt_f32_i32_e32 v1, v1
	v_cvt_f16_f32_e32 v1, v1
.LBB7_682:
	s_mov_b64 s[0:1], 0
.LBB7_683:
	s_andn2_b64 vcc, exec, s[0:1]
	s_cbranch_vccnz .LBB7_685
; %bb.684:
	global_load_ushort v1, v[2:3], off
	s_waitcnt vmcnt(0)
	v_cvt_f16_i16_e32 v1, v1
.LBB7_685:
	s_mov_b64 s[0:1], 0
.LBB7_686:
	s_andn2_b64 vcc, exec, s[0:1]
	s_cbranch_vccnz .LBB7_692
; %bb.687:
	v_cmp_lt_i16_e32 vcc, 0, v6
	s_cbranch_vccz .LBB7_689
; %bb.688:
	global_load_sbyte v1, v[2:3], off
	s_mov_b64 s[0:1], 0
	s_waitcnt vmcnt(0)
	v_cvt_f16_i16_e32 v1, v1
	s_branch .LBB7_690
.LBB7_689:
	s_mov_b64 s[0:1], -1
                                        ; implicit-def: $vgpr1
.LBB7_690:
	s_andn2_b64 vcc, exec, s[0:1]
	s_cbranch_vccnz .LBB7_692
; %bb.691:
	global_load_ubyte v1, v[2:3], off
	s_waitcnt vmcnt(0)
	v_cvt_f16_u16_e32 v1, v1
.LBB7_692:
	s_mov_b64 s[0:1], -1
.LBB7_693:
	s_andn2_b64 vcc, exec, s[0:1]
	s_cbranch_vccnz .LBB7_701
; %bb.694:
	s_waitcnt vmcnt(0)
	v_and_b32_e32 v1, 0xffff8000, v1
	v_or_b32_e32 v2, v1, v5
	v_mov_b32_e32 v1, s25
	v_add_co_u32_e32 v0, vcc, s24, v0
	v_mov_b32_e32 v3, 11
	v_addc_co_u32_e32 v1, vcc, 0, v1, vcc
	v_cmp_lt_i16_sdwa s[0:1], s75, v3 src0_sel:BYTE_0 src1_sel:DWORD
	s_and_b64 vcc, exec, s[0:1]
	s_cbranch_vccnz .LBB7_702
; %bb.695:
	v_mov_b32_e32 v3, 25
	v_cmp_gt_i16_sdwa s[0:1], s75, v3 src0_sel:BYTE_0 src1_sel:DWORD
	s_and_b64 vcc, exec, s[0:1]
	s_cbranch_vccz .LBB7_703
; %bb.696:
	v_mov_b32_e32 v3, 28
	v_cmp_gt_i16_sdwa s[0:1], s75, v3 src0_sel:BYTE_0 src1_sel:DWORD
	s_and_b64 vcc, exec, s[0:1]
	s_cbranch_vccz .LBB7_704
	;; [unrolled: 5-line block ×4, first 2 shown]
; %bb.699:
	v_mov_b32_e32 v3, 46
	v_cmp_eq_u16_sdwa s[8:9], s75, v3 src0_sel:BYTE_0 src1_sel:DWORD
	s_mov_b64 s[10:11], 0
	s_mov_b64 s[0:1], -1
	s_and_b64 vcc, exec, s[8:9]
	s_mov_b64 s[8:9], 0
	s_cbranch_vccz .LBB7_707
; %bb.700:
	v_cvt_f32_f16_e32 v3, v2
	s_movk_i32 s0, 0x7fff
	v_mov_b32_e32 v7, 0x7fc0
	v_cmp_o_f16_e32 vcc, v2, v2
	v_bfe_u32 v9, v3, 16, 1
	v_add3_u32 v3, v3, v9, s0
	v_lshrrev_b32_e32 v3, 16, v3
	v_cndmask_b32_e32 v3, v7, v3, vcc
	global_store_dword v[0:1], v3, off
	s_mov_b64 s[8:9], -1
	s_mov_b64 s[0:1], 0
	s_branch .LBB7_707
.LBB7_701:
	s_mov_b64 s[8:9], 0
	s_mov_b64 s[0:1], s[60:61]
	s_branch .LBB7_818
.LBB7_702:
	s_mov_b64 s[10:11], -1
	s_mov_b64 s[8:9], 0
	s_mov_b64 s[0:1], s[60:61]
	s_branch .LBB7_776
.LBB7_703:
	s_mov_b64 s[10:11], -1
	s_mov_b64 s[8:9], 0
	s_mov_b64 s[0:1], s[60:61]
	s_branch .LBB7_734
.LBB7_704:
	s_mov_b64 s[10:11], -1
	s_mov_b64 s[8:9], 0
	s_mov_b64 s[0:1], s[60:61]
	s_branch .LBB7_717
.LBB7_705:
	s_mov_b64 s[10:11], -1
	s_mov_b64 s[8:9], 0
	s_mov_b64 s[0:1], s[60:61]
	s_branch .LBB7_713
.LBB7_706:
	s_mov_b64 s[10:11], -1
	s_mov_b64 s[8:9], 0
	s_mov_b64 s[0:1], s[60:61]
.LBB7_707:
	s_and_b64 vcc, exec, s[10:11]
	s_cbranch_vccz .LBB7_712
; %bb.708:
	v_mov_b32_e32 v3, 44
	v_cmp_eq_u16_sdwa s[10:11], s75, v3 src0_sel:BYTE_0 src1_sel:DWORD
	s_mov_b64 s[0:1], -1
	s_and_b64 vcc, exec, s[10:11]
	s_cbranch_vccz .LBB7_712
; %bb.709:
	v_cvt_f32_f16_e32 v3, v2
	s_movk_i32 s0, 0xff
	v_mov_b32_e32 v9, 0xff
	v_bfe_u32 v7, v3, 23, 8
	v_cmp_ne_u32_e32 vcc, s0, v7
	s_and_saveexec_b64 s[8:9], vcc
; %bb.710:
	s_mov_b32 s0, 0x3fffff
	v_lshrrev_b32_e32 v9, 23, v3
	v_and_b32_e32 v10, 0x400000, v3
	v_and_or_b32 v3, v3, s0, v7
	v_cmp_ne_u32_e32 vcc, 0, v10
	v_cmp_ne_u32_e64 s[0:1], 0, v3
	s_and_b64 s[0:1], vcc, s[0:1]
	v_cndmask_b32_e64 v3, 0, 1, s[0:1]
	v_add_u32_e32 v9, v9, v3
; %bb.711:
	s_or_b64 exec, exec, s[8:9]
	s_mov_b64 s[8:9], -1
	s_mov_b64 s[0:1], 0
	global_store_byte v[0:1], v9, off
.LBB7_712:
	s_mov_b64 s[10:11], 0
.LBB7_713:
	s_and_b64 vcc, exec, s[10:11]
	s_cbranch_vccz .LBB7_716
; %bb.714:
	v_mov_b32_e32 v3, 29
	v_cmp_eq_u16_sdwa s[10:11], s75, v3 src0_sel:BYTE_0 src1_sel:DWORD
	s_mov_b64 s[0:1], -1
	s_and_b64 vcc, exec, s[10:11]
	s_cbranch_vccz .LBB7_716
; %bb.715:
	v_cvt_f32_f16_e32 v3, v2
	v_mov_b32_e32 v11, 0
	s_mov_b64 s[8:9], -1
	s_mov_b64 s[0:1], 0
	v_cvt_u32_f32_e32 v10, v3
	s_mov_b64 s[10:11], 0
	global_store_dwordx2 v[0:1], v[10:11], off
	s_branch .LBB7_717
.LBB7_716:
	s_mov_b64 s[10:11], 0
.LBB7_717:
	s_and_b64 vcc, exec, s[10:11]
	s_cbranch_vccz .LBB7_733
; %bb.718:
	v_mov_b32_e32 v3, 27
	v_cmp_lt_i16_sdwa s[10:11], s75, v3 src0_sel:BYTE_0 src1_sel:DWORD
	s_mov_b64 s[8:9], -1
	s_and_b64 vcc, exec, s[10:11]
	s_cbranch_vccnz .LBB7_724
; %bb.719:
	v_cmp_gt_i16_sdwa s[10:11], s75, v3 src0_sel:BYTE_0 src1_sel:DWORD
	s_and_b64 vcc, exec, s[10:11]
	s_cbranch_vccz .LBB7_721
; %bb.720:
	v_cvt_f32_f16_e32 v3, v2
	s_mov_b64 s[8:9], 0
	v_cvt_u32_f32_e32 v3, v3
	global_store_dword v[0:1], v3, off
.LBB7_721:
	s_andn2_b64 vcc, exec, s[8:9]
	s_cbranch_vccnz .LBB7_723
; %bb.722:
	v_cvt_u16_f16_e32 v3, v2
	global_store_short v[0:1], v3, off
.LBB7_723:
	s_mov_b64 s[8:9], 0
.LBB7_724:
	s_andn2_b64 vcc, exec, s[8:9]
	s_cbranch_vccnz .LBB7_732
; %bb.725:
	v_cvt_f32_f16_e32 v3, v2
	s_mov_b32 s8, 0x43800000
	v_mov_b32_e32 v9, 0x80
	v_and_b32_e32 v7, 0x7fffffff, v3
	v_cmp_gt_u32_e32 vcc, s8, v7
	s_and_saveexec_b64 s[8:9], vcc
	s_cbranch_execz .LBB7_731
; %bb.726:
	s_mov_b32 s10, 0x3bffffff
	v_cmp_lt_u32_e32 vcc, s10, v7
	s_mov_b64 s[10:11], 0
                                        ; implicit-def: $vgpr7
	s_and_saveexec_b64 s[12:13], vcc
	s_xor_b64 s[12:13], exec, s[12:13]
	s_cbranch_execz .LBB7_849
; %bb.727:
	v_bfe_u32 v7, v3, 20, 1
	s_mov_b32 s14, 0x487ffff
	v_add3_u32 v7, v3, v7, s14
	s_mov_b64 s[10:11], exec
	v_lshrrev_b32_e32 v7, 20, v7
	s_or_saveexec_b64 s[12:13], s[12:13]
                                        ; implicit-def: $sgpr14
	s_xor_b64 exec, exec, s[12:13]
	s_cbranch_execnz .LBB7_850
.LBB7_728:
	s_or_b64 exec, exec, s[12:13]
	v_mov_b32_e32 v9, s14
	s_and_saveexec_b64 s[12:13], s[10:11]
.LBB7_729:
	v_lshrrev_b32_e32 v3, 24, v3
	s_movk_i32 s10, 0x80
	v_and_or_b32 v9, v3, s10, v7
.LBB7_730:
	s_or_b64 exec, exec, s[12:13]
.LBB7_731:
	s_or_b64 exec, exec, s[8:9]
	global_store_byte v[0:1], v9, off
.LBB7_732:
	s_mov_b64 s[8:9], -1
.LBB7_733:
	s_mov_b64 s[10:11], 0
.LBB7_734:
	s_and_b64 vcc, exec, s[10:11]
	s_cbranch_vccz .LBB7_775
; %bb.735:
	v_mov_b32_e32 v3, 22
	v_cmp_gt_i16_sdwa s[12:13], s75, v3 src0_sel:BYTE_0 src1_sel:DWORD
	s_mov_b64 s[10:11], -1
	s_and_b64 vcc, exec, s[12:13]
	s_cbranch_vccz .LBB7_767
; %bb.736:
	v_mov_b32_e32 v3, 24
	v_cmp_lt_i16_sdwa s[10:11], s75, v3 src0_sel:BYTE_0 src1_sel:DWORD
	s_mov_b64 s[8:9], -1
	s_and_b64 vcc, exec, s[10:11]
	s_cbranch_vccnz .LBB7_756
; %bb.737:
	v_cmp_gt_i16_sdwa s[10:11], s75, v3 src0_sel:BYTE_0 src1_sel:DWORD
	s_and_b64 vcc, exec, s[10:11]
	s_cbranch_vccz .LBB7_745
; %bb.738:
	v_cvt_f32_f16_e32 v3, v2
	s_mov_b32 s8, 0x47800000
	v_mov_b32_e32 v9, 0x80
	v_and_b32_e32 v7, 0x7fffffff, v3
	v_cmp_gt_u32_e32 vcc, s8, v7
	s_and_saveexec_b64 s[8:9], vcc
	s_cbranch_execz .LBB7_744
; %bb.739:
	s_mov_b32 s10, 0x37ffffff
	v_cmp_lt_u32_e32 vcc, s10, v7
	s_mov_b64 s[10:11], 0
                                        ; implicit-def: $vgpr7
	s_and_saveexec_b64 s[12:13], vcc
	s_xor_b64 s[12:13], exec, s[12:13]
	s_cbranch_execz .LBB7_852
; %bb.740:
	v_bfe_u32 v7, v3, 21, 1
	s_mov_b32 s14, 0x88fffff
	v_add3_u32 v7, v3, v7, s14
	s_mov_b64 s[10:11], exec
	v_lshrrev_b32_e32 v7, 21, v7
	s_or_saveexec_b64 s[12:13], s[12:13]
                                        ; implicit-def: $sgpr14
	s_xor_b64 exec, exec, s[12:13]
	s_cbranch_execnz .LBB7_853
.LBB7_741:
	s_or_b64 exec, exec, s[12:13]
	v_mov_b32_e32 v9, s14
	s_and_saveexec_b64 s[12:13], s[10:11]
.LBB7_742:
	v_lshrrev_b32_e32 v3, 24, v3
	s_movk_i32 s10, 0x80
	v_and_or_b32 v9, v3, s10, v7
.LBB7_743:
	s_or_b64 exec, exec, s[12:13]
.LBB7_744:
	s_or_b64 exec, exec, s[8:9]
	s_mov_b64 s[8:9], 0
	global_store_byte v[0:1], v9, off
.LBB7_745:
	s_and_b64 vcc, exec, s[8:9]
	s_cbranch_vccz .LBB7_755
; %bb.746:
	v_cvt_f32_f16_e32 v3, v2
	s_mov_b32 s8, 0x43f00000
                                        ; implicit-def: $vgpr7
	v_and_b32_e32 v9, 0x7fffffff, v3
	v_cmp_gt_u32_e32 vcc, s8, v9
	s_and_saveexec_b64 s[8:9], vcc
	s_xor_b64 s[8:9], exec, s[8:9]
	s_cbranch_execz .LBB7_752
; %bb.747:
	s_mov_b32 s10, 0x3c7fffff
	v_cmp_lt_u32_e32 vcc, s10, v9
                                        ; implicit-def: $vgpr7
	s_and_saveexec_b64 s[10:11], vcc
	s_xor_b64 s[10:11], exec, s[10:11]
; %bb.748:
	v_bfe_u32 v7, v3, 20, 1
	s_mov_b32 s12, 0x407ffff
	v_add3_u32 v7, v3, v7, s12
	v_lshrrev_b32_e32 v9, 20, v7
	v_and_b32_e32 v7, 0xff00000, v7
	s_mov_b32 s12, 0x7f00000
	v_mov_b32_e32 v10, 0x7e
	v_cmp_ne_u32_e32 vcc, s12, v7
	v_cndmask_b32_e32 v7, v10, v9, vcc
; %bb.749:
	s_andn2_saveexec_b64 s[10:11], s[10:11]
; %bb.750:
	s_mov_b32 s12, 0x46800000
	v_add_f32_e64 v7, |v3|, s12
; %bb.751:
	s_or_b64 exec, exec, s[10:11]
                                        ; implicit-def: $vgpr9
.LBB7_752:
	s_andn2_saveexec_b64 s[8:9], s[8:9]
; %bb.753:
	s_mov_b32 s10, 0x7f800000
	v_mov_b32_e32 v7, 0x7e
	v_mov_b32_e32 v10, 0x7f
	v_cmp_lt_u32_e32 vcc, s10, v9
	v_cndmask_b32_e32 v7, v7, v10, vcc
; %bb.754:
	s_or_b64 exec, exec, s[8:9]
	v_lshrrev_b32_e32 v3, 24, v3
	s_movk_i32 s8, 0x80
	v_and_or_b32 v3, v3, s8, v7
	global_store_byte v[0:1], v3, off
.LBB7_755:
	s_mov_b64 s[8:9], 0
.LBB7_756:
	s_andn2_b64 vcc, exec, s[8:9]
	s_cbranch_vccnz .LBB7_766
; %bb.757:
	v_cvt_f32_f16_e32 v3, v2
	s_mov_b32 s8, 0x47800000
                                        ; implicit-def: $vgpr7
	v_and_b32_e32 v9, 0x7fffffff, v3
	v_cmp_gt_u32_e32 vcc, s8, v9
	s_and_saveexec_b64 s[8:9], vcc
	s_xor_b64 s[8:9], exec, s[8:9]
	s_cbranch_execz .LBB7_763
; %bb.758:
	s_mov_b32 s10, 0x387fffff
	v_cmp_lt_u32_e32 vcc, s10, v9
                                        ; implicit-def: $vgpr7
	s_and_saveexec_b64 s[10:11], vcc
	s_xor_b64 s[10:11], exec, s[10:11]
; %bb.759:
	v_bfe_u32 v7, v3, 21, 1
	s_mov_b32 s12, 0x80fffff
	v_add3_u32 v7, v3, v7, s12
	v_lshrrev_b32_e32 v7, 21, v7
; %bb.760:
	s_andn2_saveexec_b64 s[10:11], s[10:11]
; %bb.761:
	s_mov_b32 s12, 0x43000000
	v_add_f32_e64 v7, |v3|, s12
; %bb.762:
	s_or_b64 exec, exec, s[10:11]
                                        ; implicit-def: $vgpr9
.LBB7_763:
	s_andn2_saveexec_b64 s[8:9], s[8:9]
; %bb.764:
	s_mov_b32 s10, 0x7f800000
	v_mov_b32_e32 v7, 0x7c
	v_mov_b32_e32 v10, 0x7f
	v_cmp_lt_u32_e32 vcc, s10, v9
	v_cndmask_b32_e32 v7, v7, v10, vcc
; %bb.765:
	s_or_b64 exec, exec, s[8:9]
	v_lshrrev_b32_e32 v3, 24, v3
	s_movk_i32 s8, 0x80
	v_and_or_b32 v3, v3, s8, v7
	global_store_byte v[0:1], v3, off
.LBB7_766:
	s_mov_b64 s[10:11], 0
	s_mov_b64 s[8:9], -1
.LBB7_767:
	s_andn2_b64 vcc, exec, s[10:11]
	s_cbranch_vccnz .LBB7_775
; %bb.768:
	v_mov_b32_e32 v3, 14
	v_cmp_gt_i16_sdwa s[12:13], s75, v3 src0_sel:BYTE_0 src1_sel:DWORD
	s_mov_b64 s[10:11], -1
	s_and_b64 vcc, exec, s[12:13]
	s_cbranch_vccz .LBB7_772
; %bb.769:
	v_mov_b32_e32 v3, 15
	v_cmp_eq_u16_sdwa s[10:11], s75, v3 src0_sel:BYTE_0 src1_sel:DWORD
	s_mov_b64 s[0:1], -1
	s_and_b64 vcc, exec, s[10:11]
	s_cbranch_vccz .LBB7_771
; %bb.770:
	v_cvt_f32_f16_e32 v3, v2
	s_movk_i32 s0, 0x7fff
	v_mov_b32_e32 v7, 0x7fc0
	v_cmp_o_f16_e32 vcc, v2, v2
	v_bfe_u32 v9, v3, 16, 1
	v_add3_u32 v3, v3, v9, s0
	v_lshrrev_b32_e32 v3, 16, v3
	v_cndmask_b32_e32 v3, v7, v3, vcc
	global_store_short v[0:1], v3, off
	s_mov_b64 s[8:9], -1
	s_mov_b64 s[0:1], 0
.LBB7_771:
	s_mov_b64 s[10:11], 0
.LBB7_772:
	s_and_b64 vcc, exec, s[10:11]
	s_cbranch_vccz .LBB7_775
; %bb.773:
	v_mov_b32_e32 v3, 11
	v_cmp_eq_u16_sdwa s[10:11], s75, v3 src0_sel:BYTE_0 src1_sel:DWORD
	s_mov_b64 s[0:1], -1
	s_and_b64 vcc, exec, s[10:11]
	s_cbranch_vccz .LBB7_775
; %bb.774:
	s_mov_b64 s[8:9], -1
	s_mov_b64 s[0:1], 0
	global_store_byte v[0:1], v4, off
.LBB7_775:
	s_mov_b64 s[10:11], 0
.LBB7_776:
	s_and_b64 vcc, exec, s[10:11]
	s_cbranch_vccz .LBB7_815
; %bb.777:
	v_mov_b32_e32 v3, 5
	v_cmp_lt_i16_sdwa s[10:11], s75, v3 src0_sel:BYTE_0 src1_sel:DWORD
	s_mov_b64 s[8:9], -1
	s_and_b64 vcc, exec, s[10:11]
	s_cbranch_vccnz .LBB7_798
; %bb.778:
	v_mov_b32_e32 v3, 8
	v_cmp_lt_i16_sdwa s[10:11], s75, v3 src0_sel:BYTE_0 src1_sel:DWORD
	s_and_b64 vcc, exec, s[10:11]
	s_cbranch_vccnz .LBB7_788
; %bb.779:
	v_mov_b32_e32 v3, 9
	v_cmp_lt_i16_sdwa s[10:11], s75, v3 src0_sel:BYTE_0 src1_sel:DWORD
	s_and_b64 vcc, exec, s[10:11]
	s_cbranch_vccnz .LBB7_785
; %bb.780:
	v_cmp_gt_i16_sdwa s[10:11], s75, v3 src0_sel:BYTE_0 src1_sel:DWORD
	s_and_b64 vcc, exec, s[10:11]
	s_cbranch_vccz .LBB7_782
; %bb.781:
	v_cvt_f32_f16_e32 v3, v2
	v_mov_b32_e32 v12, 0
	v_mov_b32_e32 v13, v12
	s_mov_b64 s[8:9], 0
	v_cvt_f64_f32_e32 v[10:11], v3
	global_store_dwordx4 v[0:1], v[10:13], off
.LBB7_782:
	s_andn2_b64 vcc, exec, s[8:9]
	s_cbranch_vccnz .LBB7_784
; %bb.783:
	v_cvt_f32_f16_e32 v10, v2
	v_mov_b32_e32 v11, 0
	global_store_dwordx2 v[0:1], v[10:11], off
.LBB7_784:
	s_mov_b64 s[8:9], 0
.LBB7_785:
	s_andn2_b64 vcc, exec, s[8:9]
	s_cbranch_vccnz .LBB7_787
; %bb.786:
	v_and_b32_e32 v3, 0xffff, v2
	global_store_dword v[0:1], v3, off
.LBB7_787:
	s_mov_b64 s[8:9], 0
.LBB7_788:
	s_andn2_b64 vcc, exec, s[8:9]
	s_cbranch_vccnz .LBB7_797
; %bb.789:
	v_mov_b32_e32 v3, 6
	v_cmp_lt_i16_sdwa s[10:11], s75, v3 src0_sel:BYTE_0 src1_sel:DWORD
	s_mov_b64 s[8:9], -1
	s_and_b64 vcc, exec, s[10:11]
	s_cbranch_vccnz .LBB7_795
; %bb.790:
	v_cmp_gt_i16_sdwa s[10:11], s75, v3 src0_sel:BYTE_0 src1_sel:DWORD
	s_and_b64 vcc, exec, s[10:11]
	s_cbranch_vccz .LBB7_792
; %bb.791:
	v_cvt_f32_f16_e32 v3, v2
	s_mov_b64 s[8:9], 0
	v_cvt_f64_f32_e32 v[10:11], v3
	global_store_dwordx2 v[0:1], v[10:11], off
.LBB7_792:
	s_andn2_b64 vcc, exec, s[8:9]
	s_cbranch_vccnz .LBB7_794
; %bb.793:
	v_cvt_f32_f16_e32 v3, v2
	global_store_dword v[0:1], v3, off
.LBB7_794:
	s_mov_b64 s[8:9], 0
.LBB7_795:
	s_andn2_b64 vcc, exec, s[8:9]
	s_cbranch_vccnz .LBB7_797
; %bb.796:
	global_store_short v[0:1], v2, off
.LBB7_797:
	s_mov_b64 s[8:9], 0
.LBB7_798:
	s_andn2_b64 vcc, exec, s[8:9]
	s_cbranch_vccnz .LBB7_814
; %bb.799:
	v_mov_b32_e32 v3, 2
	v_cmp_lt_i16_sdwa s[10:11], s75, v3 src0_sel:BYTE_0 src1_sel:DWORD
	s_mov_b64 s[8:9], -1
	s_and_b64 vcc, exec, s[10:11]
	s_cbranch_vccnz .LBB7_809
; %bb.800:
	v_mov_b32_e32 v3, 3
	v_cmp_lt_i16_sdwa s[10:11], s75, v3 src0_sel:BYTE_0 src1_sel:DWORD
	s_and_b64 vcc, exec, s[10:11]
	s_cbranch_vccnz .LBB7_806
; %bb.801:
	v_cmp_gt_i16_sdwa s[10:11], s75, v3 src0_sel:BYTE_0 src1_sel:DWORD
	s_and_b64 vcc, exec, s[10:11]
	s_cbranch_vccz .LBB7_803
; %bb.802:
	v_cvt_f32_f16_e32 v3, v2
	s_mov_b64 s[8:9], 0
	v_cvt_i32_f32_e32 v10, v3
	v_ashrrev_i32_e32 v11, 31, v10
	global_store_dwordx2 v[0:1], v[10:11], off
.LBB7_803:
	s_andn2_b64 vcc, exec, s[8:9]
	s_cbranch_vccnz .LBB7_805
; %bb.804:
	v_cvt_f32_f16_e32 v3, v2
	v_cvt_i32_f32_e32 v3, v3
	global_store_dword v[0:1], v3, off
.LBB7_805:
	s_mov_b64 s[8:9], 0
.LBB7_806:
	s_andn2_b64 vcc, exec, s[8:9]
	s_cbranch_vccnz .LBB7_808
; %bb.807:
	v_cvt_i16_f16_e32 v3, v2
	global_store_short v[0:1], v3, off
.LBB7_808:
	s_mov_b64 s[8:9], 0
.LBB7_809:
	s_andn2_b64 vcc, exec, s[8:9]
	s_cbranch_vccnz .LBB7_814
; %bb.810:
	v_mov_b32_e32 v3, 0
	v_cmp_gt_i16_sdwa s[10:11], s75, v3 src0_sel:BYTE_0 src1_sel:DWORD
	s_mov_b64 s[8:9], -1
	s_and_b64 vcc, exec, s[10:11]
	s_cbranch_vccz .LBB7_812
; %bb.811:
	v_cvt_i16_f16_e32 v3, v2
	s_mov_b64 s[8:9], 0
	global_store_byte v[0:1], v3, off
.LBB7_812:
	s_andn2_b64 vcc, exec, s[8:9]
	s_cbranch_vccnz .LBB7_814
; %bb.813:
	v_cvt_f32_f16_e32 v2, v2
	v_cvt_i32_f32_e32 v2, v2
	global_store_byte v[0:1], v2, off
.LBB7_814:
	s_mov_b64 s[8:9], -1
.LBB7_815:
	s_andn2_b64 vcc, exec, s[8:9]
	s_cbranch_vccnz .LBB7_817
; %bb.816:
	v_add_u32_e32 v8, 0x80, v8
	s_mov_b64 s[8:9], -1
	s_branch .LBB7_819
.LBB7_817:
	s_mov_b64 s[8:9], 0
.LBB7_818:
                                        ; implicit-def: $vgpr8
.LBB7_819:
	s_andn2_b64 s[10:11], s[60:61], exec
	s_and_b64 s[0:1], s[0:1], exec
	s_or_b64 s[68:69], s[10:11], s[0:1]
	s_andn2_b64 s[0:1], s[58:59], exec
	s_and_b64 s[2:3], s[2:3], exec
	s_or_b64 s[66:67], s[0:1], s[2:3]
	s_orn2_b64 s[2:3], s[8:9], exec
.LBB7_820:
	s_or_b64 exec, exec, s[64:65]
	s_mov_b64 s[0:1], 0
	s_mov_b64 s[8:9], 0
	;; [unrolled: 1-line block ×3, first 2 shown]
                                        ; implicit-def: $vgpr2_vgpr3
                                        ; implicit-def: $vgpr0
                                        ; implicit-def: $vgpr7
	s_and_saveexec_b64 s[64:65], s[2:3]
	s_cbranch_execz .LBB7_920
; %bb.821:
	v_cmp_gt_i32_e32 vcc, s72, v8
	s_mov_b64 s[2:3], 0
	s_mov_b64 s[12:13], s[66:67]
                                        ; implicit-def: $vgpr2_vgpr3
                                        ; implicit-def: $vgpr0
                                        ; implicit-def: $vgpr7
	s_and_saveexec_b64 s[70:71], vcc
	s_cbranch_execz .LBB7_919
; %bb.822:
	s_andn2_b64 vcc, exec, s[40:41]
	s_cbranch_vccnz .LBB7_828
; %bb.823:
	s_mov_b32 s72, 0
	s_andn2_b64 vcc, exec, s[50:51]
	v_mov_b32_e32 v2, 0
	v_mov_b32_e32 v0, 0
	s_cbranch_vccnz .LBB7_834
; %bb.824:
	s_add_i32 s76, s73, 1
	s_cmp_eq_u32 s74, 2
	s_cbranch_scc1 .LBB7_829
; %bb.825:
	s_and_b32 s72, s76, 28
	s_mov_b32 s73, 0
	v_mov_b32_e32 v0, 0
	s_mov_b64 s[50:51], s[34:35]
	v_mov_b32_e32 v3, v8
	v_mov_b32_e32 v2, 0
.LBB7_826:                              ; =>This Inner Loop Header: Depth=1
	s_load_dwordx8 s[16:23], s[50:51], 0x4
	s_load_dwordx4 s[0:3], s[50:51], 0x24
	s_load_dwordx8 s[8:15], s[48:49], 0x0
	s_add_u32 s50, s50, 48
	s_addc_u32 s51, s51, 0
	s_waitcnt vmcnt(0) lgkmcnt(0)
	v_mul_hi_u32 v1, s17, v3
	v_add_u32_e32 v1, v3, v1
	v_lshrrev_b32_e32 v1, s18, v1
	v_mul_lo_u32 v7, v1, s16
	v_mul_hi_u32 v9, s20, v1
	v_sub_u32_e32 v3, v3, v7
	v_add_u32_e32 v7, v1, v9
	v_lshrrev_b32_e32 v7, s21, v7
	v_mul_lo_u32 v10, v7, s19
	v_mul_hi_u32 v11, s23, v7
	v_sub_u32_e32 v1, v1, v10
	v_add_u32_e32 v10, v7, v11
	v_mul_lo_u32 v9, v3, s9
	v_mul_lo_u32 v3, v3, s8
	;; [unrolled: 1-line block ×4, first 2 shown]
	v_lshrrev_b32_e32 v10, s0, v10
	v_add3_u32 v0, v3, v0, v1
	v_mul_hi_u32 v3, s2, v10
	v_add_u32_e32 v3, v10, v3
	v_lshrrev_b32_e32 v3, s3, v3
	s_add_i32 s73, s73, 4
	v_add3_u32 v1, v9, v2, v11
	v_mul_lo_u32 v2, v10, s22
	v_mul_lo_u32 v9, v3, s1
	s_add_u32 s48, s48, 32
	v_sub_u32_e32 v2, v7, v2
	v_sub_u32_e32 v9, v10, v9
	s_addc_u32 s49, s49, 0
	v_mul_lo_u32 v7, v2, s12
	v_mul_lo_u32 v2, v2, s13
	;; [unrolled: 1-line block ×4, first 2 shown]
	s_cmp_eq_u32 s72, s73
	v_add3_u32 v2, v2, v1, v9
	v_add3_u32 v0, v7, v0, v10
	s_cbranch_scc0 .LBB7_826
; %bb.827:
	v_mov_b32_e32 v1, v2
	s_branch .LBB7_830
.LBB7_828:
	s_mov_b64 s[0:1], -1
                                        ; implicit-def: $vgpr2
                                        ; implicit-def: $vgpr0
	s_branch .LBB7_835
.LBB7_829:
	s_mov_b32 s73, s72
	s_waitcnt vmcnt(0)
	v_pk_mov_b32 v[0:1], s[72:73], s[72:73] op_sel:[0,1]
                                        ; implicit-def: $vgpr2
	v_mov_b32_e32 v3, v8
.LBB7_830:
	s_and_b32 s8, s76, 3
	s_cmp_eq_u32 s8, 0
	s_cbranch_scc1 .LBB7_834
; %bb.831:
	s_lshl_b32 s0, s72, 3
	s_add_u32 s0, s0, s34
	s_addc_u32 s1, s35, 0
	s_add_u32 s0, s0, 0xc4
	s_addc_u32 s1, s1, 0
	s_mul_i32 s2, s72, 12
	s_add_u32 s2, s34, s2
	s_addc_u32 s3, s35, 0
.LBB7_832:                              ; =>This Inner Loop Header: Depth=1
	s_load_dwordx2 s[10:11], s[2:3], 0x4
	s_load_dword s9, s[2:3], 0xc
	s_load_dwordx2 s[12:13], s[0:1], 0x0
	v_mov_b32_e32 v2, v1
	s_add_u32 s2, s2, 12
	s_waitcnt lgkmcnt(0)
	v_mul_hi_u32 v1, s11, v3
	v_add_u32_e32 v1, v3, v1
	v_lshrrev_b32_e32 v1, s9, v1
	s_addc_u32 s3, s3, 0
	v_mul_lo_u32 v7, v1, s10
	s_add_u32 s0, s0, 8
	v_sub_u32_e32 v7, v3, v7
	v_mov_b32_e32 v3, v1
	s_addc_u32 s1, s1, 0
	s_add_i32 s8, s8, -1
	v_mad_u64_u32 v[10:11], s[10:11], v7, s13, v[2:3]
	v_mad_u64_u32 v[0:1], s[10:11], v7, s12, v[0:1]
	s_cmp_lg_u32 s8, 0
	v_mov_b32_e32 v1, v10
	s_cbranch_scc1 .LBB7_832
; %bb.833:
	v_mov_b32_e32 v2, v1
.LBB7_834:
	s_mov_b64 s[0:1], 0
.LBB7_835:
	s_andn2_b64 vcc, exec, s[0:1]
	s_cbranch_vccnz .LBB7_838
; %bb.836:
	v_mul_hi_u32 v0, s29, v8
	v_add_u32_e32 v0, v8, v0
	s_waitcnt vmcnt(0)
	v_lshrrev_b32_e32 v1, s30, v0
	v_mul_lo_u32 v0, v1, s28
	v_sub_u32_e32 v0, v8, v0
	v_mul_lo_u32 v2, v0, s37
	s_andn2_b64 vcc, exec, s[46:47]
	v_mul_lo_u32 v0, v0, s36
	s_cbranch_vccnz .LBB7_838
; %bb.837:
	v_mul_hi_u32 v3, s44, v1
	v_add_u32_e32 v3, v1, v3
	v_lshrrev_b32_e32 v3, s45, v3
	v_mul_lo_u32 v3, v3, s31
	v_sub_u32_e32 v3, v1, v3
	v_mad_u64_u32 v[0:1], s[0:1], v3, s38, v[0:1]
	v_mad_u64_u32 v[2:3], s[0:1], v3, s39, v[2:3]
.LBB7_838:
	s_waitcnt vmcnt(0)
	v_mov_b32_e32 v1, s27
	v_add_co_u32_e32 v2, vcc, s26, v2
	v_addc_co_u32_e32 v3, vcc, 0, v1, vcc
	v_cmp_gt_i16_e32 vcc, 11, v6
	s_cbranch_vccnz .LBB7_845
; %bb.839:
	v_cmp_lt_i16_e32 vcc, 25, v6
	s_mov_b64 s[2:3], 0
	s_cbranch_vccz .LBB7_846
; %bb.840:
	v_cmp_lt_i16_e32 vcc, 28, v6
	s_cbranch_vccz .LBB7_847
; %bb.841:
	v_cmp_lt_i16_e32 vcc, 43, v6
	s_cbranch_vccz .LBB7_848
; %bb.842:
	v_cmp_lt_i16_e32 vcc, 45, v6
	s_cbranch_vccz .LBB7_851
; %bb.843:
	v_cmp_eq_u16_e32 vcc, 46, v6
	s_mov_b64 s[10:11], 0
	s_cbranch_vccz .LBB7_854
; %bb.844:
	global_load_dword v1, v[2:3], off
	s_mov_b64 s[0:1], 0
	s_mov_b64 s[8:9], -1
	s_waitcnt vmcnt(0)
	v_lshlrev_b32_e32 v1, 16, v1
	v_cvt_f16_f32_e32 v7, v1
	s_branch .LBB7_855
.LBB7_845:
	s_mov_b64 s[12:13], -1
	s_mov_b64 s[8:9], 0
	s_mov_b64 s[2:3], 0
	;; [unrolled: 1-line block ×3, first 2 shown]
                                        ; implicit-def: $vgpr7
	s_branch .LBB7_918
.LBB7_846:
	s_mov_b64 s[10:11], -1
	s_mov_b64 s[8:9], 0
	s_mov_b64 s[0:1], s[66:67]
                                        ; implicit-def: $vgpr7
	s_branch .LBB7_884
.LBB7_847:
	s_mov_b64 s[10:11], -1
	s_mov_b64 s[8:9], 0
	s_mov_b64 s[0:1], s[66:67]
                                        ; implicit-def: $vgpr7
	s_branch .LBB7_865
.LBB7_848:
	s_mov_b64 s[10:11], -1
	s_mov_b64 s[8:9], 0
	s_mov_b64 s[0:1], s[66:67]
                                        ; implicit-def: $vgpr7
	s_branch .LBB7_860
.LBB7_849:
	s_or_saveexec_b64 s[12:13], s[12:13]
                                        ; implicit-def: $sgpr14
	s_xor_b64 exec, exec, s[12:13]
	s_cbranch_execz .LBB7_728
.LBB7_850:
	s_mov_b32 s14, 0x46000000
	v_add_f32_e64 v7, |v3|, s14
	v_and_b32_e32 v7, 0xff, v7
	v_cmp_ne_u32_e32 vcc, 0, v7
	s_andn2_b64 s[10:11], s[10:11], exec
	s_and_b64 s[16:17], vcc, exec
	s_mov_b32 s14, 0
	s_or_b64 s[10:11], s[10:11], s[16:17]
	s_or_b64 exec, exec, s[12:13]
	v_mov_b32_e32 v9, s14
	s_and_saveexec_b64 s[12:13], s[10:11]
	s_cbranch_execnz .LBB7_729
	s_branch .LBB7_730
.LBB7_851:
	s_mov_b64 s[10:11], -1
	s_mov_b64 s[8:9], 0
	s_mov_b64 s[0:1], s[66:67]
                                        ; implicit-def: $vgpr7
	s_branch .LBB7_855
.LBB7_852:
	s_or_saveexec_b64 s[12:13], s[12:13]
                                        ; implicit-def: $sgpr14
	s_xor_b64 exec, exec, s[12:13]
	s_cbranch_execz .LBB7_741
.LBB7_853:
	s_mov_b32 s14, 0x42800000
	v_add_f32_e64 v7, |v3|, s14
	v_and_b32_e32 v7, 0xff, v7
	v_cmp_ne_u32_e32 vcc, 0, v7
	s_andn2_b64 s[10:11], s[10:11], exec
	s_and_b64 s[16:17], vcc, exec
	s_mov_b32 s14, 0
	s_or_b64 s[10:11], s[10:11], s[16:17]
	s_or_b64 exec, exec, s[12:13]
	v_mov_b32_e32 v9, s14
	s_and_saveexec_b64 s[12:13], s[10:11]
	s_cbranch_execnz .LBB7_742
	s_branch .LBB7_743
.LBB7_854:
	s_mov_b64 s[0:1], -1
                                        ; implicit-def: $vgpr7
	s_mov_b64 s[8:9], 0
.LBB7_855:
	s_and_b64 vcc, exec, s[10:11]
	s_cbranch_vccz .LBB7_859
; %bb.856:
	v_cmp_eq_u16_e32 vcc, 44, v6
	s_cbranch_vccz .LBB7_858
; %bb.857:
	global_load_ubyte v1, v[2:3], off
	s_movk_i32 s8, 0xff
	v_mov_b32_e32 v8, 0x7e00
	s_mov_b64 s[0:1], 0
	s_waitcnt vmcnt(0)
	v_lshlrev_b32_e32 v7, 23, v1
	v_cvt_f16_f32_e32 v7, v7
	v_cmp_ne_u32_e32 vcc, s8, v1
	s_mov_b64 s[8:9], -1
	v_cndmask_b32_e32 v7, v8, v7, vcc
	v_cmp_ne_u32_e32 vcc, 0, v1
	v_cndmask_b32_e32 v7, 0, v7, vcc
	s_branch .LBB7_859
.LBB7_858:
	s_mov_b64 s[0:1], -1
                                        ; implicit-def: $vgpr7
.LBB7_859:
	s_mov_b64 s[10:11], 0
.LBB7_860:
	s_and_b64 vcc, exec, s[10:11]
	s_cbranch_vccz .LBB7_864
; %bb.861:
	v_cmp_eq_u16_e32 vcc, 29, v6
	s_cbranch_vccz .LBB7_863
; %bb.862:
	global_load_dwordx2 v[8:9], v[2:3], off
	s_mov_b64 s[0:1], 0
	s_mov_b64 s[8:9], -1
	s_mov_b64 s[10:11], 0
	s_waitcnt vmcnt(0)
	v_ffbh_u32_e32 v1, v9
	v_min_u32_e32 v1, 32, v1
	v_lshlrev_b64 v[8:9], v1, v[8:9]
	v_min_u32_e32 v7, 1, v8
	v_or_b32_e32 v7, v9, v7
	v_cvt_f32_u32_e32 v7, v7
	v_sub_u32_e32 v1, 32, v1
	v_ldexp_f32 v1, v7, v1
	v_cvt_f16_f32_e32 v7, v1
	s_branch .LBB7_865
.LBB7_863:
	s_mov_b64 s[0:1], -1
                                        ; implicit-def: $vgpr7
.LBB7_864:
	s_mov_b64 s[10:11], 0
.LBB7_865:
	s_and_b64 vcc, exec, s[10:11]
	s_cbranch_vccz .LBB7_883
; %bb.866:
	v_cmp_gt_i16_e32 vcc, 27, v6
	s_cbranch_vccnz .LBB7_869
; %bb.867:
	v_cmp_lt_i16_e32 vcc, 27, v6
	s_cbranch_vccz .LBB7_870
; %bb.868:
	global_load_dword v1, v[2:3], off
	s_mov_b64 s[8:9], 0
	s_waitcnt vmcnt(0)
	v_cvt_f32_u32_e32 v1, v1
	v_cvt_f16_f32_e32 v7, v1
	s_branch .LBB7_871
.LBB7_869:
	s_mov_b64 s[8:9], -1
                                        ; implicit-def: $vgpr7
	s_branch .LBB7_874
.LBB7_870:
	s_mov_b64 s[8:9], -1
                                        ; implicit-def: $vgpr7
.LBB7_871:
	s_andn2_b64 vcc, exec, s[8:9]
	s_cbranch_vccnz .LBB7_873
; %bb.872:
	global_load_ushort v1, v[2:3], off
	s_waitcnt vmcnt(0)
	v_cvt_f16_u16_e32 v7, v1
.LBB7_873:
	s_mov_b64 s[8:9], 0
.LBB7_874:
	s_andn2_b64 vcc, exec, s[8:9]
	s_cbranch_vccnz .LBB7_882
; %bb.875:
	global_load_ubyte v1, v[2:3], off
	s_movk_i32 s8, 0x7f
                                        ; implicit-def: $sgpr14
	s_waitcnt vmcnt(0)
	v_cmp_lt_i16_e32 vcc, s8, v1
	s_mov_b64 s[8:9], 0
	s_and_saveexec_b64 s[10:11], vcc
	s_xor_b64 s[10:11], exec, s[10:11]
	s_cbranch_execz .LBB7_896
; %bb.876:
	s_movk_i32 s8, 0x80
	v_cmp_eq_u16_e32 vcc, s8, v1
	s_mov_b64 s[8:9], -1
                                        ; implicit-def: $sgpr14
	s_and_saveexec_b64 s[12:13], vcc
; %bb.877:
	s_movk_i32 s14, 0x7e00
	s_xor_b64 s[8:9], exec, -1
; %bb.878:
	s_or_b64 exec, exec, s[12:13]
	s_and_b64 s[8:9], s[8:9], exec
	s_or_saveexec_b64 s[10:11], s[10:11]
	v_mov_b32_e32 v7, s14
	s_xor_b64 exec, exec, s[10:11]
	s_cbranch_execnz .LBB7_897
.LBB7_879:
	s_or_b64 exec, exec, s[10:11]
	s_and_saveexec_b64 s[10:11], s[8:9]
	s_cbranch_execz .LBB7_881
.LBB7_880:
	v_lshlrev_b32_e32 v7, 24, v1
	v_and_b32_e32 v1, 0xffff, v1
	v_and_b32_e32 v8, 7, v1
	v_ffbh_u32_e32 v10, v8
	v_min_u32_e32 v10, 32, v10
	v_subrev_u32_e32 v11, 28, v10
	v_bfe_u32 v9, v1, 3, 4
	v_lshlrev_b32_e32 v1, v11, v1
	v_sub_u32_e32 v10, 29, v10
	v_and_b32_e32 v1, 7, v1
	v_cmp_eq_u32_e32 vcc, 0, v9
	v_cndmask_b32_e32 v9, v9, v10, vcc
	v_cndmask_b32_e32 v1, v8, v1, vcc
	v_mov_b32_e32 v8, 0x3b800000
	v_lshlrev_b32_e32 v1, 20, v1
	v_and_b32_e32 v7, 0x80000000, v7
	v_lshl_add_u32 v8, v9, 23, v8
	v_or3_b32 v1, v7, v8, v1
	v_cvt_f16_f32_e32 v7, v1
.LBB7_881:
	s_or_b64 exec, exec, s[10:11]
.LBB7_882:
	s_mov_b64 s[8:9], -1
.LBB7_883:
	s_mov_b64 s[10:11], 0
.LBB7_884:
	s_and_b64 vcc, exec, s[10:11]
	s_cbranch_vccz .LBB7_917
; %bb.885:
	v_cmp_lt_i16_e32 vcc, 22, v6
	s_cbranch_vccz .LBB7_895
; %bb.886:
	v_cmp_gt_i16_e32 vcc, 24, v6
	s_cbranch_vccnz .LBB7_898
; %bb.887:
	v_cmp_lt_i16_e32 vcc, 24, v6
	s_cbranch_vccz .LBB7_899
; %bb.888:
	global_load_ubyte v1, v[2:3], off
	s_movk_i32 s2, 0x7f
                                        ; implicit-def: $sgpr12
	s_waitcnt vmcnt(0)
	v_cmp_lt_i16_e32 vcc, s2, v1
	s_mov_b64 s[2:3], 0
	s_and_saveexec_b64 s[8:9], vcc
	s_xor_b64 s[8:9], exec, s[8:9]
	s_cbranch_execz .LBB7_911
; %bb.889:
	s_movk_i32 s2, 0x80
	v_cmp_eq_u16_e32 vcc, s2, v1
	s_mov_b64 s[2:3], -1
                                        ; implicit-def: $sgpr12
	s_and_saveexec_b64 s[10:11], vcc
; %bb.890:
	s_movk_i32 s12, 0x7e00
	s_xor_b64 s[2:3], exec, -1
; %bb.891:
	s_or_b64 exec, exec, s[10:11]
	s_and_b64 s[2:3], s[2:3], exec
	s_or_saveexec_b64 s[8:9], s[8:9]
	v_mov_b32_e32 v7, s12
	s_xor_b64 exec, exec, s[8:9]
	s_cbranch_execnz .LBB7_912
.LBB7_892:
	s_or_b64 exec, exec, s[8:9]
	s_and_saveexec_b64 s[8:9], s[2:3]
	s_cbranch_execz .LBB7_894
.LBB7_893:
	v_lshlrev_b32_e32 v7, 24, v1
	v_and_b32_e32 v1, 0xffff, v1
	v_and_b32_e32 v8, 3, v1
	v_ffbh_u32_e32 v10, v8
	v_min_u32_e32 v10, 32, v10
	v_subrev_u32_e32 v11, 29, v10
	v_bfe_u32 v9, v1, 2, 5
	v_lshlrev_b32_e32 v1, v11, v1
	v_sub_u32_e32 v10, 30, v10
	v_and_b32_e32 v1, 3, v1
	v_cmp_eq_u32_e32 vcc, 0, v9
	v_cndmask_b32_e32 v9, v9, v10, vcc
	v_cndmask_b32_e32 v1, v8, v1, vcc
	v_mov_b32_e32 v8, 0x37800000
	v_lshlrev_b32_e32 v1, 21, v1
	v_and_b32_e32 v7, 0x80000000, v7
	v_lshl_add_u32 v8, v9, 23, v8
	v_or3_b32 v1, v7, v8, v1
	v_cvt_f16_f32_e32 v7, v1
.LBB7_894:
	s_or_b64 exec, exec, s[8:9]
	s_mov_b64 s[2:3], 0
	s_branch .LBB7_900
.LBB7_895:
	s_mov_b64 s[2:3], -1
                                        ; implicit-def: $vgpr7
	s_branch .LBB7_906
.LBB7_896:
	s_or_saveexec_b64 s[10:11], s[10:11]
	v_mov_b32_e32 v7, s14
	s_xor_b64 exec, exec, s[10:11]
	s_cbranch_execz .LBB7_879
.LBB7_897:
	v_cmp_ne_u16_e32 vcc, 0, v1
	s_andn2_b64 s[8:9], s[8:9], exec
	s_and_b64 s[12:13], vcc, exec
	s_or_b64 s[8:9], s[8:9], s[12:13]
	v_mov_b32_e32 v7, v1
	s_or_b64 exec, exec, s[10:11]
	s_and_saveexec_b64 s[10:11], s[8:9]
	s_cbranch_execnz .LBB7_880
	s_branch .LBB7_881
.LBB7_898:
	s_mov_b64 s[2:3], -1
                                        ; implicit-def: $vgpr7
	s_branch .LBB7_903
.LBB7_899:
	s_mov_b64 s[2:3], -1
                                        ; implicit-def: $vgpr7
.LBB7_900:
	s_and_b64 vcc, exec, s[2:3]
	s_cbranch_vccz .LBB7_902
; %bb.901:
	global_load_ubyte v1, v[2:3], off
	s_mov_b32 s2, 0x7f800000
	s_waitcnt vmcnt(0)
	v_lshlrev_b32_e32 v1, 24, v1
	v_and_b32_e32 v7, 0x7f000000, v1
	v_ffbh_u32_e32 v8, v7
	v_min_u32_e32 v8, 32, v8
	v_sub_u32_e64 v8, v8, 4 clamp
	v_lshlrev_b32_e32 v10, v8, v7
	v_lshlrev_b32_e32 v8, 23, v8
	v_lshrrev_b32_e32 v10, 4, v10
	v_add_u32_e32 v9, 0x1000000, v7
	v_sub_u32_e32 v8, v10, v8
	v_ashrrev_i32_e32 v9, 8, v9
	v_add_u32_e32 v8, 0x3c000000, v8
	v_and_or_b32 v8, v9, s2, v8
	v_cmp_ne_u32_e32 vcc, 0, v7
	v_cndmask_b32_e32 v7, 0, v8, vcc
	s_brev_b32 s2, 1
	v_and_or_b32 v1, v1, s2, v7
	v_cvt_f16_f32_e32 v7, v1
.LBB7_902:
	s_mov_b64 s[2:3], 0
.LBB7_903:
	s_andn2_b64 vcc, exec, s[2:3]
	s_cbranch_vccnz .LBB7_905
; %bb.904:
	global_load_ubyte v1, v[2:3], off
	s_movk_i32 s2, 0x7f00
	s_brev_b32 s3, 16
	s_waitcnt vmcnt(0)
	v_lshlrev_b16_e32 v7, 8, v1
	v_lshlrev_b32_e32 v1, 25, v1
	v_lshrrev_b32_e32 v8, 4, v1
	v_and_or_b32 v9, v7, s2, 0.5
	v_or_b32_e32 v8, 0x70000000, v8
	v_add_f32_e32 v9, -0.5, v9
	v_mul_f32_e32 v8, 0x7800000, v8
	v_cmp_gt_u32_e32 vcc, s3, v1
	v_bfe_i32 v7, v7, 0, 16
	v_cndmask_b32_e32 v1, v8, v9, vcc
	s_brev_b32 s2, 1
	v_and_or_b32 v1, v7, s2, v1
	v_cvt_f16_f32_e32 v7, v1
.LBB7_905:
	s_mov_b64 s[2:3], 0
	s_mov_b64 s[8:9], -1
.LBB7_906:
	s_andn2_b64 vcc, exec, s[2:3]
	s_mov_b64 s[2:3], 0
	s_cbranch_vccnz .LBB7_917
; %bb.907:
	v_cmp_lt_i16_e32 vcc, 14, v6
	s_cbranch_vccz .LBB7_910
; %bb.908:
	v_cmp_eq_u16_e32 vcc, 15, v6
	s_cbranch_vccz .LBB7_913
; %bb.909:
	global_load_ushort v1, v[2:3], off
	s_mov_b64 s[0:1], 0
	s_mov_b64 s[8:9], -1
	s_waitcnt vmcnt(0)
	v_lshlrev_b32_e32 v1, 16, v1
	v_cvt_f16_f32_e32 v7, v1
	s_branch .LBB7_914
.LBB7_910:
	s_mov_b64 s[10:11], -1
                                        ; implicit-def: $vgpr7
	s_branch .LBB7_915
.LBB7_911:
	s_or_saveexec_b64 s[8:9], s[8:9]
	v_mov_b32_e32 v7, s12
	s_xor_b64 exec, exec, s[8:9]
	s_cbranch_execz .LBB7_892
.LBB7_912:
	v_cmp_ne_u16_e32 vcc, 0, v1
	s_andn2_b64 s[2:3], s[2:3], exec
	s_and_b64 s[10:11], vcc, exec
	s_or_b64 s[2:3], s[2:3], s[10:11]
	v_mov_b32_e32 v7, v1
	s_or_b64 exec, exec, s[8:9]
	s_and_saveexec_b64 s[8:9], s[2:3]
	s_cbranch_execnz .LBB7_893
	s_branch .LBB7_894
.LBB7_913:
	s_mov_b64 s[0:1], -1
                                        ; implicit-def: $vgpr7
.LBB7_914:
	s_mov_b64 s[10:11], 0
.LBB7_915:
	s_and_b64 vcc, exec, s[10:11]
	s_cbranch_vccz .LBB7_917
; %bb.916:
	v_cmp_ne_u16_e32 vcc, 11, v6
	s_andn2_b64 s[0:1], s[0:1], exec
	s_and_b64 s[10:11], vcc, exec
	s_mov_b64 s[2:3], -1
	s_or_b64 s[0:1], s[0:1], s[10:11]
                                        ; implicit-def: $vgpr7
.LBB7_917:
	s_mov_b64 s[12:13], 0
.LBB7_918:
	s_and_b64 s[10:11], s[8:9], exec
	s_and_b64 s[8:9], s[12:13], exec
	s_andn2_b64 s[12:13], s[66:67], exec
	s_and_b64 s[0:1], s[0:1], exec
	s_and_b64 s[2:3], s[2:3], exec
	s_or_b64 s[12:13], s[12:13], s[0:1]
.LBB7_919:
	s_or_b64 exec, exec, s[70:71]
	s_and_b64 s[0:1], s[2:3], exec
	s_andn2_b64 s[2:3], s[66:67], exec
	s_and_b64 s[12:13], s[12:13], exec
	s_and_b64 s[10:11], s[10:11], exec
	;; [unrolled: 1-line block ×3, first 2 shown]
	s_or_b64 s[66:67], s[2:3], s[12:13]
.LBB7_920:
	s_or_b64 exec, exec, s[64:65]
	s_andn2_b64 s[2:3], s[60:61], exec
	s_and_b64 s[12:13], s[68:69], exec
	s_or_b64 s[60:61], s[2:3], s[12:13]
	s_and_b64 s[2:3], s[0:1], exec
	s_andn2_b64 s[0:1], s[58:59], exec
	s_and_b64 s[12:13], s[66:67], exec
	s_and_b64 s[10:11], s[10:11], exec
	;; [unrolled: 1-line block ×3, first 2 shown]
	s_or_b64 s[58:59], s[0:1], s[12:13]
.LBB7_921:
	s_or_b64 exec, exec, s[62:63]
	s_andn2_b64 s[0:1], s[52:53], exec
	s_and_b64 s[12:13], s[60:61], exec
	s_or_b64 s[52:53], s[0:1], s[12:13]
	s_and_b64 s[0:1], s[10:11], exec
	s_and_b64 s[10:11], s[8:9], exec
	;; [unrolled: 1-line block ×3, first 2 shown]
	s_andn2_b64 s[2:3], s[54:55], exec
	s_and_b64 s[8:9], s[58:59], exec
	s_or_b64 s[54:55], s[2:3], s[8:9]
	s_or_b64 exec, exec, s[56:57]
	s_mov_b64 s[2:3], 0
	s_and_saveexec_b64 s[8:9], s[54:55]
	s_cbranch_execz .LBB7_276
.LBB7_922:
	s_mov_b64 s[2:3], exec
	s_andn2_b64 s[60:61], s[60:61], exec
	s_trap 2
                                        ; implicit-def: $vgpr7
	s_or_b64 exec, exec, s[8:9]
	s_and_saveexec_b64 s[8:9], s[60:61]
	s_xor_b64 s[8:9], exec, s[8:9]
	s_cbranch_execnz .LBB7_277
.LBB7_923:
	s_or_b64 exec, exec, s[8:9]
	s_and_saveexec_b64 s[8:9], s[10:11]
	s_cbranch_execz .LBB7_969
.LBB7_924:
	v_cmp_gt_i16_e32 vcc, 5, v6
	s_cbranch_vccnz .LBB7_929
; %bb.925:
	v_cmp_gt_i16_e32 vcc, 8, v6
	s_cbranch_vccnz .LBB7_930
; %bb.926:
	;; [unrolled: 3-line block ×3, first 2 shown]
	v_cmp_lt_i16_e32 vcc, 9, v6
	s_cbranch_vccz .LBB7_932
; %bb.928:
	global_load_dwordx2 v[8:9], v[2:3], off
	s_mov_b64 s[10:11], 0
	s_waitcnt vmcnt(0)
	v_cvt_f32_f64_e32 v1, v[8:9]
	v_cvt_f16_f32_e32 v7, v1
	s_branch .LBB7_933
.LBB7_929:
                                        ; implicit-def: $vgpr7
	s_branch .LBB7_950
.LBB7_930:
                                        ; implicit-def: $vgpr7
	s_branch .LBB7_939
.LBB7_931:
	s_mov_b64 s[10:11], -1
                                        ; implicit-def: $vgpr7
	s_branch .LBB7_936
.LBB7_932:
	s_mov_b64 s[10:11], -1
                                        ; implicit-def: $vgpr7
.LBB7_933:
	s_andn2_b64 vcc, exec, s[10:11]
	s_cbranch_vccnz .LBB7_935
; %bb.934:
	global_load_dword v1, v[2:3], off
	s_waitcnt vmcnt(0)
	v_cvt_f16_f32_e32 v7, v1
.LBB7_935:
	s_mov_b64 s[10:11], 0
.LBB7_936:
	s_andn2_b64 vcc, exec, s[10:11]
	s_cbranch_vccnz .LBB7_938
; %bb.937:
	global_load_dword v7, v[2:3], off
.LBB7_938:
	s_cbranch_execnz .LBB7_949
.LBB7_939:
	v_cmp_gt_i16_e32 vcc, 6, v6
	s_cbranch_vccnz .LBB7_942
; %bb.940:
	v_cmp_lt_i16_e32 vcc, 6, v6
	s_cbranch_vccz .LBB7_943
; %bb.941:
	global_load_dwordx2 v[8:9], v[2:3], off
	s_mov_b64 s[10:11], 0
	s_waitcnt vmcnt(0)
	v_cvt_f32_f64_e32 v1, v[8:9]
	v_cvt_f16_f32_e32 v7, v1
	s_branch .LBB7_944
.LBB7_942:
	s_mov_b64 s[10:11], -1
                                        ; implicit-def: $vgpr7
	s_branch .LBB7_947
.LBB7_943:
	s_mov_b64 s[10:11], -1
                                        ; implicit-def: $vgpr7
.LBB7_944:
	s_andn2_b64 vcc, exec, s[10:11]
	s_cbranch_vccnz .LBB7_946
; %bb.945:
	global_load_dword v1, v[2:3], off
	s_waitcnt vmcnt(0)
	v_cvt_f16_f32_e32 v7, v1
.LBB7_946:
	s_mov_b64 s[10:11], 0
.LBB7_947:
	s_andn2_b64 vcc, exec, s[10:11]
	s_cbranch_vccnz .LBB7_949
; %bb.948:
	global_load_ushort v7, v[2:3], off
.LBB7_949:
	s_cbranch_execnz .LBB7_968
.LBB7_950:
	v_cmp_gt_i16_e32 vcc, 2, v6
	s_cbranch_vccnz .LBB7_954
; %bb.951:
	v_cmp_gt_i16_e32 vcc, 3, v6
	s_cbranch_vccnz .LBB7_955
; %bb.952:
	v_cmp_lt_i16_e32 vcc, 3, v6
	s_cbranch_vccz .LBB7_956
; %bb.953:
	global_load_dwordx2 v[8:9], v[2:3], off
	s_mov_b64 s[10:11], 0
	s_waitcnt vmcnt(0)
	v_xor_b32_e32 v7, v8, v9
	v_ffbh_i32_e32 v1, v9
	v_ashrrev_i32_e32 v7, 31, v7
	v_add_u32_e32 v1, -1, v1
	v_add_u32_e32 v7, 32, v7
	v_min_u32_e32 v1, v1, v7
	v_lshlrev_b64 v[8:9], v1, v[8:9]
	v_min_u32_e32 v7, 1, v8
	v_or_b32_e32 v7, v9, v7
	v_cvt_f32_i32_e32 v7, v7
	v_sub_u32_e32 v1, 32, v1
	v_ldexp_f32 v1, v7, v1
	v_cvt_f16_f32_e32 v7, v1
	s_branch .LBB7_957
.LBB7_954:
                                        ; implicit-def: $vgpr7
	s_branch .LBB7_963
.LBB7_955:
	s_mov_b64 s[10:11], -1
                                        ; implicit-def: $vgpr7
	s_branch .LBB7_960
.LBB7_956:
	s_mov_b64 s[10:11], -1
                                        ; implicit-def: $vgpr7
.LBB7_957:
	s_andn2_b64 vcc, exec, s[10:11]
	s_cbranch_vccnz .LBB7_959
; %bb.958:
	global_load_dword v1, v[2:3], off
	s_waitcnt vmcnt(0)
	v_cvt_f32_i32_e32 v1, v1
	v_cvt_f16_f32_e32 v7, v1
.LBB7_959:
	s_mov_b64 s[10:11], 0
.LBB7_960:
	s_andn2_b64 vcc, exec, s[10:11]
	s_cbranch_vccnz .LBB7_962
; %bb.961:
	global_load_ushort v1, v[2:3], off
	s_waitcnt vmcnt(0)
	v_cvt_f16_i16_e32 v7, v1
.LBB7_962:
	s_cbranch_execnz .LBB7_968
.LBB7_963:
	v_cmp_lt_i16_e32 vcc, 0, v6
	s_cbranch_vccz .LBB7_965
; %bb.964:
	global_load_sbyte v1, v[2:3], off
	s_mov_b64 s[10:11], 0
	s_waitcnt vmcnt(0)
	v_cvt_f16_i16_e32 v7, v1
	s_branch .LBB7_966
.LBB7_965:
	s_mov_b64 s[10:11], -1
                                        ; implicit-def: $vgpr7
.LBB7_966:
	s_andn2_b64 vcc, exec, s[10:11]
	s_cbranch_vccnz .LBB7_968
; %bb.967:
	global_load_ubyte v1, v[2:3], off
	s_waitcnt vmcnt(0)
	v_cvt_f16_u16_e32 v7, v1
.LBB7_968:
	s_or_b64 s[0:1], s[0:1], exec
.LBB7_969:
	s_or_b64 exec, exec, s[8:9]
	s_mov_b64 s[12:13], 0
	s_mov_b64 s[10:11], 0
                                        ; implicit-def: $vgpr6
                                        ; implicit-def: $vgpr2_vgpr3
                                        ; implicit-def: $vgpr1
	s_and_saveexec_b64 s[8:9], s[0:1]
	s_cbranch_execz .LBB7_987
; %bb.970:
	v_mov_b32_e32 v3, s25
	v_add_co_u32_e32 v2, vcc, s24, v0
	v_mov_b32_e32 v0, 0xff
	v_addc_co_u32_e32 v3, vcc, 0, v3, vcc
	v_and_b32_e32 v6, s75, v0
	s_waitcnt vmcnt(0)
	v_and_b32_e32 v1, 0xffff8000, v7
	v_cmp_gt_i16_e32 vcc, 11, v6
	v_or_b32_e32 v1, v1, v5
	s_cbranch_vccnz .LBB7_990
; %bb.971:
	v_cmp_lt_i16_e32 vcc, 25, v6
	s_mov_b64 s[12:13], -1
	s_mov_b64 s[0:1], s[52:53]
	s_cbranch_vccz .LBB7_1008
; %bb.972:
	v_cmp_lt_i16_e32 vcc, 28, v6
	s_mov_b64 s[10:11], -1
	s_mov_b64 s[0:1], s[52:53]
	s_cbranch_vccz .LBB7_992
; %bb.973:
	v_cmp_lt_i16_e32 vcc, 43, v6
	s_mov_b64 s[0:1], s[52:53]
	s_cbranch_vccz .LBB7_984
; %bb.974:
	v_cmp_lt_i16_e32 vcc, 45, v6
	s_mov_b64 s[0:1], s[52:53]
	s_cbranch_vccz .LBB7_978
; %bb.975:
	v_cmp_eq_u16_e32 vcc, 46, v6
	s_mov_b64 s[0:1], -1
	s_cbranch_vccz .LBB7_977
; %bb.976:
	v_cvt_f32_f16_e32 v0, v1
	s_movk_i32 s0, 0x7fff
	v_mov_b32_e32 v5, 0x7fc0
	v_cmp_o_f16_e32 vcc, v1, v1
	v_bfe_u32 v7, v0, 16, 1
	v_add3_u32 v0, v0, v7, s0
	v_lshrrev_b32_e32 v0, 16, v0
	v_cndmask_b32_e32 v0, v5, v0, vcc
	global_store_dword v[2:3], v0, off
	s_mov_b64 s[0:1], 0
.LBB7_977:
	s_mov_b64 s[10:11], 0
.LBB7_978:
	s_and_b64 vcc, exec, s[10:11]
	s_cbranch_vccz .LBB7_983
; %bb.979:
	v_cmp_eq_u16_e32 vcc, 44, v6
	s_mov_b64 s[0:1], -1
	s_cbranch_vccz .LBB7_983
; %bb.980:
	v_cvt_f32_f16_e32 v0, v1
	s_movk_i32 s0, 0xff
	v_mov_b32_e32 v7, 0xff
	v_bfe_u32 v5, v0, 23, 8
	v_cmp_ne_u32_e32 vcc, s0, v5
	s_and_saveexec_b64 s[10:11], vcc
; %bb.981:
	s_mov_b32 s0, 0x3fffff
	v_lshrrev_b32_e32 v7, 23, v0
	v_and_b32_e32 v8, 0x400000, v0
	v_and_or_b32 v0, v0, s0, v5
	v_cmp_ne_u32_e32 vcc, 0, v8
	v_cmp_ne_u32_e64 s[0:1], 0, v0
	s_and_b64 s[0:1], vcc, s[0:1]
	v_cndmask_b32_e64 v0, 0, 1, s[0:1]
	v_add_u32_e32 v7, v7, v0
; %bb.982:
	s_or_b64 exec, exec, s[10:11]
	s_mov_b64 s[0:1], 0
	global_store_byte v[2:3], v7, off
.LBB7_983:
	s_mov_b64 s[10:11], 0
.LBB7_984:
	s_and_b64 vcc, exec, s[10:11]
	s_cbranch_vccz .LBB7_991
; %bb.985:
	v_cmp_eq_u16_e32 vcc, 29, v6
	s_mov_b64 s[0:1], -1
	s_cbranch_vccz .LBB7_991
; %bb.986:
	v_cvt_f32_f16_e32 v0, v1
	v_mov_b32_e32 v9, 0
	s_mov_b64 s[0:1], 0
	s_mov_b64 s[10:11], 0
	v_cvt_u32_f32_e32 v8, v0
	global_store_dwordx2 v[2:3], v[8:9], off
	s_branch .LBB7_992
.LBB7_987:
	s_or_b64 exec, exec, s[8:9]
	s_and_saveexec_b64 s[0:1], s[52:53]
	s_cbranch_execnz .LBB7_1050
.LBB7_988:
	s_or_b64 exec, exec, s[0:1]
	s_and_saveexec_b64 s[0:1], s[12:13]
	s_xor_b64 s[0:1], exec, s[0:1]
	s_cbranch_execz .LBB7_1051
.LBB7_989:
	global_store_byte v[2:3], v4, off
	s_or_b64 exec, exec, s[0:1]
	s_and_saveexec_b64 s[0:1], s[10:11]
	s_xor_b64 s[0:1], exec, s[0:1]
	s_cbranch_execz .LBB7_1089
	s_branch .LBB7_1052
.LBB7_990:
	s_mov_b64 s[10:11], -1
	s_mov_b64 s[0:1], s[52:53]
	s_branch .LBB7_1049
.LBB7_991:
	s_mov_b64 s[10:11], 0
.LBB7_992:
	s_and_b64 vcc, exec, s[10:11]
	s_cbranch_vccz .LBB7_1007
; %bb.993:
	v_cmp_gt_i16_e32 vcc, 27, v6
	s_mov_b64 s[10:11], -1
	s_cbranch_vccnz .LBB7_999
; %bb.994:
	v_cmp_lt_i16_e32 vcc, 27, v6
	s_cbranch_vccz .LBB7_996
; %bb.995:
	v_cvt_f32_f16_e32 v0, v1
	s_mov_b64 s[10:11], 0
	v_cvt_u32_f32_e32 v0, v0
	global_store_dword v[2:3], v0, off
.LBB7_996:
	s_andn2_b64 vcc, exec, s[10:11]
	s_cbranch_vccnz .LBB7_998
; %bb.997:
	v_cvt_u16_f16_e32 v0, v1
	global_store_short v[2:3], v0, off
.LBB7_998:
	s_mov_b64 s[10:11], 0
.LBB7_999:
	s_andn2_b64 vcc, exec, s[10:11]
	s_cbranch_vccnz .LBB7_1007
; %bb.1000:
	v_cvt_f32_f16_e32 v0, v1
	s_mov_b32 s10, 0x43800000
	v_mov_b32_e32 v7, 0x80
	v_and_b32_e32 v5, 0x7fffffff, v0
	v_cmp_gt_u32_e32 vcc, s10, v5
	s_and_saveexec_b64 s[10:11], vcc
	s_cbranch_execz .LBB7_1006
; %bb.1001:
	s_mov_b32 s12, 0x3bffffff
	v_cmp_lt_u32_e32 vcc, s12, v5
	s_mov_b64 s[12:13], 0
                                        ; implicit-def: $vgpr5
	s_and_saveexec_b64 s[14:15], vcc
	s_xor_b64 s[14:15], exec, s[14:15]
	s_cbranch_execz .LBB7_1160
; %bb.1002:
	v_bfe_u32 v5, v0, 20, 1
	s_mov_b32 s16, 0x487ffff
	v_add3_u32 v5, v0, v5, s16
	s_mov_b64 s[12:13], exec
	v_lshrrev_b32_e32 v5, 20, v5
	s_or_saveexec_b64 s[14:15], s[14:15]
                                        ; implicit-def: $sgpr16
	s_xor_b64 exec, exec, s[14:15]
	s_cbranch_execnz .LBB7_1161
.LBB7_1003:
	s_or_b64 exec, exec, s[14:15]
	v_mov_b32_e32 v7, s16
	s_and_saveexec_b64 s[14:15], s[12:13]
.LBB7_1004:
	v_lshrrev_b32_e32 v0, 24, v0
	s_movk_i32 s12, 0x80
	v_and_or_b32 v7, v0, s12, v5
.LBB7_1005:
	s_or_b64 exec, exec, s[14:15]
.LBB7_1006:
	s_or_b64 exec, exec, s[10:11]
	global_store_byte v[2:3], v7, off
.LBB7_1007:
	s_mov_b64 s[12:13], 0
.LBB7_1008:
	s_mov_b64 s[10:11], 0
	s_and_b64 vcc, exec, s[12:13]
	s_cbranch_vccz .LBB7_1048
; %bb.1009:
	v_cmp_lt_i16_e32 vcc, 22, v6
	s_mov_b64 s[12:13], -1
	s_cbranch_vccz .LBB7_1041
; %bb.1010:
	v_cmp_gt_i16_e32 vcc, 24, v6
	s_cbranch_vccnz .LBB7_1030
; %bb.1011:
	v_cmp_lt_i16_e32 vcc, 24, v6
	s_cbranch_vccz .LBB7_1019
; %bb.1012:
	v_cvt_f32_f16_e32 v0, v1
	s_mov_b32 s12, 0x47800000
	v_mov_b32_e32 v7, 0x80
	v_and_b32_e32 v5, 0x7fffffff, v0
	v_cmp_gt_u32_e32 vcc, s12, v5
	s_and_saveexec_b64 s[12:13], vcc
	s_cbranch_execz .LBB7_1018
; %bb.1013:
	s_mov_b32 s14, 0x37ffffff
	v_cmp_lt_u32_e32 vcc, s14, v5
	s_mov_b64 s[14:15], 0
                                        ; implicit-def: $vgpr5
	s_and_saveexec_b64 s[16:17], vcc
	s_xor_b64 s[16:17], exec, s[16:17]
	s_cbranch_execz .LBB7_1285
; %bb.1014:
	v_bfe_u32 v5, v0, 21, 1
	s_mov_b32 s18, 0x88fffff
	v_add3_u32 v5, v0, v5, s18
	s_mov_b64 s[14:15], exec
	v_lshrrev_b32_e32 v5, 21, v5
	s_or_saveexec_b64 s[16:17], s[16:17]
                                        ; implicit-def: $sgpr18
	s_xor_b64 exec, exec, s[16:17]
	s_cbranch_execnz .LBB7_1286
.LBB7_1015:
	s_or_b64 exec, exec, s[16:17]
	v_mov_b32_e32 v7, s18
	s_and_saveexec_b64 s[16:17], s[14:15]
.LBB7_1016:
	v_lshrrev_b32_e32 v0, 24, v0
	s_movk_i32 s14, 0x80
	v_and_or_b32 v7, v0, s14, v5
.LBB7_1017:
	s_or_b64 exec, exec, s[16:17]
.LBB7_1018:
	s_or_b64 exec, exec, s[12:13]
	s_mov_b64 s[12:13], 0
	global_store_byte v[2:3], v7, off
.LBB7_1019:
	s_and_b64 vcc, exec, s[12:13]
	s_cbranch_vccz .LBB7_1029
; %bb.1020:
	v_cvt_f32_f16_e32 v0, v1
	s_mov_b32 s12, 0x43f00000
                                        ; implicit-def: $vgpr5
	v_and_b32_e32 v7, 0x7fffffff, v0
	v_cmp_gt_u32_e32 vcc, s12, v7
	s_and_saveexec_b64 s[12:13], vcc
	s_xor_b64 s[12:13], exec, s[12:13]
	s_cbranch_execz .LBB7_1026
; %bb.1021:
	s_mov_b32 s14, 0x3c7fffff
	v_cmp_lt_u32_e32 vcc, s14, v7
                                        ; implicit-def: $vgpr5
	s_and_saveexec_b64 s[14:15], vcc
	s_xor_b64 s[14:15], exec, s[14:15]
; %bb.1022:
	v_bfe_u32 v5, v0, 20, 1
	s_mov_b32 s16, 0x407ffff
	v_add3_u32 v5, v0, v5, s16
	v_lshrrev_b32_e32 v7, 20, v5
	v_and_b32_e32 v5, 0xff00000, v5
	s_mov_b32 s16, 0x7f00000
	v_mov_b32_e32 v8, 0x7e
	v_cmp_ne_u32_e32 vcc, s16, v5
	v_cndmask_b32_e32 v5, v8, v7, vcc
; %bb.1023:
	s_andn2_saveexec_b64 s[14:15], s[14:15]
; %bb.1024:
	s_mov_b32 s16, 0x46800000
	v_add_f32_e64 v5, |v0|, s16
; %bb.1025:
	s_or_b64 exec, exec, s[14:15]
                                        ; implicit-def: $vgpr7
.LBB7_1026:
	s_andn2_saveexec_b64 s[12:13], s[12:13]
; %bb.1027:
	s_mov_b32 s14, 0x7f800000
	v_mov_b32_e32 v5, 0x7e
	v_mov_b32_e32 v8, 0x7f
	v_cmp_lt_u32_e32 vcc, s14, v7
	v_cndmask_b32_e32 v5, v5, v8, vcc
; %bb.1028:
	s_or_b64 exec, exec, s[12:13]
	v_lshrrev_b32_e32 v0, 24, v0
	s_movk_i32 s12, 0x80
	v_and_or_b32 v0, v0, s12, v5
	global_store_byte v[2:3], v0, off
.LBB7_1029:
	s_mov_b64 s[12:13], 0
.LBB7_1030:
	s_andn2_b64 vcc, exec, s[12:13]
	s_cbranch_vccnz .LBB7_1040
; %bb.1031:
	v_cvt_f32_f16_e32 v0, v1
	s_mov_b32 s12, 0x47800000
                                        ; implicit-def: $vgpr5
	v_and_b32_e32 v7, 0x7fffffff, v0
	v_cmp_gt_u32_e32 vcc, s12, v7
	s_and_saveexec_b64 s[12:13], vcc
	s_xor_b64 s[12:13], exec, s[12:13]
	s_cbranch_execz .LBB7_1037
; %bb.1032:
	s_mov_b32 s14, 0x387fffff
	v_cmp_lt_u32_e32 vcc, s14, v7
                                        ; implicit-def: $vgpr5
	s_and_saveexec_b64 s[14:15], vcc
	s_xor_b64 s[14:15], exec, s[14:15]
; %bb.1033:
	v_bfe_u32 v5, v0, 21, 1
	s_mov_b32 s16, 0x80fffff
	v_add3_u32 v5, v0, v5, s16
	v_lshrrev_b32_e32 v5, 21, v5
; %bb.1034:
	s_andn2_saveexec_b64 s[14:15], s[14:15]
; %bb.1035:
	s_mov_b32 s16, 0x43000000
	v_add_f32_e64 v5, |v0|, s16
; %bb.1036:
	s_or_b64 exec, exec, s[14:15]
                                        ; implicit-def: $vgpr7
.LBB7_1037:
	s_andn2_saveexec_b64 s[12:13], s[12:13]
; %bb.1038:
	s_mov_b32 s14, 0x7f800000
	v_mov_b32_e32 v5, 0x7c
	v_mov_b32_e32 v8, 0x7f
	v_cmp_lt_u32_e32 vcc, s14, v7
	v_cndmask_b32_e32 v5, v5, v8, vcc
; %bb.1039:
	s_or_b64 exec, exec, s[12:13]
	v_lshrrev_b32_e32 v0, 24, v0
	s_movk_i32 s12, 0x80
	v_and_or_b32 v0, v0, s12, v5
	global_store_byte v[2:3], v0, off
.LBB7_1040:
	s_mov_b64 s[12:13], 0
.LBB7_1041:
	s_andn2_b64 vcc, exec, s[12:13]
	s_mov_b64 s[12:13], 0
	s_cbranch_vccnz .LBB7_1049
; %bb.1042:
	v_cmp_lt_i16_e32 vcc, 14, v6
	s_mov_b64 s[14:15], -1
	s_cbranch_vccz .LBB7_1046
; %bb.1043:
	v_cmp_eq_u16_e32 vcc, 15, v6
	s_mov_b64 s[0:1], -1
	s_cbranch_vccz .LBB7_1045
; %bb.1044:
	v_cvt_f32_f16_e32 v0, v1
	s_movk_i32 s0, 0x7fff
	v_mov_b32_e32 v5, 0x7fc0
	v_cmp_o_f16_e32 vcc, v1, v1
	v_bfe_u32 v7, v0, 16, 1
	v_add3_u32 v0, v0, v7, s0
	v_lshrrev_b32_e32 v0, 16, v0
	v_cndmask_b32_e32 v0, v5, v0, vcc
	global_store_short v[2:3], v0, off
	s_mov_b64 s[0:1], 0
.LBB7_1045:
	s_mov_b64 s[14:15], 0
.LBB7_1046:
	s_and_b64 vcc, exec, s[14:15]
	s_cbranch_vccz .LBB7_1049
; %bb.1047:
	v_cmp_ne_u16_e32 vcc, 11, v6
	s_andn2_b64 s[0:1], s[0:1], exec
	s_and_b64 s[14:15], vcc, exec
	s_mov_b64 s[12:13], -1
	s_or_b64 s[0:1], s[0:1], s[14:15]
	s_branch .LBB7_1049
.LBB7_1048:
	s_mov_b64 s[12:13], 0
.LBB7_1049:
	s_andn2_b64 s[14:15], s[52:53], exec
	s_and_b64 s[0:1], s[0:1], exec
	s_and_b64 s[10:11], s[10:11], exec
	;; [unrolled: 1-line block ×3, first 2 shown]
	s_or_b64 s[52:53], s[14:15], s[0:1]
	s_or_b64 exec, exec, s[8:9]
	s_and_saveexec_b64 s[0:1], s[52:53]
	s_cbranch_execz .LBB7_988
.LBB7_1050:
	s_or_b64 s[2:3], s[2:3], exec
	s_andn2_b64 s[12:13], s[12:13], exec
	s_trap 2
	s_or_b64 exec, exec, s[0:1]
	s_and_saveexec_b64 s[0:1], s[12:13]
	s_xor_b64 s[0:1], exec, s[0:1]
	s_cbranch_execnz .LBB7_989
.LBB7_1051:
	s_or_b64 exec, exec, s[0:1]
	s_and_saveexec_b64 s[0:1], s[10:11]
	s_xor_b64 s[0:1], exec, s[0:1]
	s_cbranch_execz .LBB7_1089
.LBB7_1052:
	v_cmp_gt_i16_e32 vcc, 5, v6
	s_mov_b64 s[8:9], -1
	s_cbranch_vccnz .LBB7_1073
; %bb.1053:
	v_cmp_gt_i16_e32 vcc, 8, v6
	s_cbranch_vccnz .LBB7_1063
; %bb.1054:
	v_cmp_gt_i16_e32 vcc, 9, v6
	s_cbranch_vccnz .LBB7_1060
; %bb.1055:
	v_cmp_lt_i16_e32 vcc, 9, v6
	s_cbranch_vccz .LBB7_1057
; %bb.1056:
	s_waitcnt vmcnt(0)
	v_cvt_f32_f16_e32 v0, v1
	v_mov_b32_e32 v10, 0
	v_mov_b32_e32 v11, v10
	s_mov_b64 s[8:9], 0
	v_cvt_f64_f32_e32 v[8:9], v0
	global_store_dwordx4 v[2:3], v[8:11], off
.LBB7_1057:
	s_andn2_b64 vcc, exec, s[8:9]
	s_cbranch_vccnz .LBB7_1059
; %bb.1058:
	s_waitcnt vmcnt(0)
	v_cvt_f32_f16_e32 v4, v1
	v_mov_b32_e32 v5, 0
	global_store_dwordx2 v[2:3], v[4:5], off
.LBB7_1059:
	s_mov_b64 s[8:9], 0
.LBB7_1060:
	s_andn2_b64 vcc, exec, s[8:9]
	s_cbranch_vccnz .LBB7_1062
; %bb.1061:
	s_waitcnt vmcnt(0)
	v_and_b32_e32 v0, 0xffff, v1
	global_store_dword v[2:3], v0, off
.LBB7_1062:
	s_mov_b64 s[8:9], 0
.LBB7_1063:
	s_andn2_b64 vcc, exec, s[8:9]
	s_cbranch_vccnz .LBB7_1072
; %bb.1064:
	v_cmp_gt_i16_e32 vcc, 6, v6
	s_mov_b64 s[8:9], -1
	s_cbranch_vccnz .LBB7_1070
; %bb.1065:
	v_cmp_lt_i16_e32 vcc, 6, v6
	s_cbranch_vccz .LBB7_1067
; %bb.1066:
	s_waitcnt vmcnt(0)
	v_cvt_f32_f16_e32 v0, v1
	s_mov_b64 s[8:9], 0
	v_cvt_f64_f32_e32 v[4:5], v0
	global_store_dwordx2 v[2:3], v[4:5], off
.LBB7_1067:
	s_andn2_b64 vcc, exec, s[8:9]
	s_cbranch_vccnz .LBB7_1069
; %bb.1068:
	s_waitcnt vmcnt(0)
	v_cvt_f32_f16_e32 v0, v1
	global_store_dword v[2:3], v0, off
.LBB7_1069:
	s_mov_b64 s[8:9], 0
.LBB7_1070:
	s_andn2_b64 vcc, exec, s[8:9]
	s_cbranch_vccnz .LBB7_1072
; %bb.1071:
	s_waitcnt vmcnt(0)
	global_store_short v[2:3], v1, off
.LBB7_1072:
	s_mov_b64 s[8:9], 0
.LBB7_1073:
	s_andn2_b64 vcc, exec, s[8:9]
	s_cbranch_vccnz .LBB7_1089
; %bb.1074:
	v_cmp_gt_i16_e32 vcc, 2, v6
	s_mov_b64 s[8:9], -1
	s_cbranch_vccnz .LBB7_1084
; %bb.1075:
	v_cmp_gt_i16_e32 vcc, 3, v6
	s_cbranch_vccnz .LBB7_1081
; %bb.1076:
	v_cmp_lt_i16_e32 vcc, 3, v6
	s_cbranch_vccz .LBB7_1078
; %bb.1077:
	s_waitcnt vmcnt(0)
	v_cvt_f32_f16_e32 v0, v1
	s_mov_b64 s[8:9], 0
	v_cvt_i32_f32_e32 v4, v0
	v_ashrrev_i32_e32 v5, 31, v4
	global_store_dwordx2 v[2:3], v[4:5], off
.LBB7_1078:
	s_andn2_b64 vcc, exec, s[8:9]
	s_cbranch_vccnz .LBB7_1080
; %bb.1079:
	s_waitcnt vmcnt(0)
	v_cvt_f32_f16_e32 v0, v1
	v_cvt_i32_f32_e32 v0, v0
	global_store_dword v[2:3], v0, off
.LBB7_1080:
	s_mov_b64 s[8:9], 0
.LBB7_1081:
	s_andn2_b64 vcc, exec, s[8:9]
	s_cbranch_vccnz .LBB7_1083
; %bb.1082:
	s_waitcnt vmcnt(0)
	v_cvt_i16_f16_e32 v0, v1
	global_store_short v[2:3], v0, off
.LBB7_1083:
	s_mov_b64 s[8:9], 0
.LBB7_1084:
	s_andn2_b64 vcc, exec, s[8:9]
	s_cbranch_vccnz .LBB7_1089
; %bb.1085:
	v_cmp_lt_i16_e32 vcc, 0, v6
	s_mov_b64 s[8:9], -1
	s_cbranch_vccz .LBB7_1087
; %bb.1086:
	s_waitcnt vmcnt(0)
	v_cvt_i16_f16_e32 v0, v1
	s_mov_b64 s[8:9], 0
	global_store_byte v[2:3], v0, off
.LBB7_1087:
	s_andn2_b64 vcc, exec, s[8:9]
	s_cbranch_vccnz .LBB7_1089
; %bb.1088:
	s_waitcnt vmcnt(0)
	v_cvt_f32_f16_e32 v0, v1
	v_cvt_i32_f32_e32 v0, v0
	global_store_byte v[2:3], v0, off
.LBB7_1089:
	s_or_b64 exec, exec, s[0:1]
	s_and_b64 s[28:29], s[2:3], exec
                                        ; implicit-def: $vgpr16
                                        ; implicit-def: $vgpr8
.LBB7_1090:
	s_or_saveexec_b64 s[30:31], s[42:43]
	s_mov_b64 s[0:1], 0
                                        ; implicit-def: $vgpr0_vgpr1
                                        ; implicit-def: $sgpr16
                                        ; implicit-def: $vgpr2
                                        ; implicit-def: $vgpr9
	s_xor_b64 exec, exec, s[30:31]
	s_cbranch_execz .LBB7_1669
; %bb.1091:
	v_cndmask_b32_e64 v0, 0, 1, s[40:41]
	v_cmp_ne_u32_e64 s[0:1], 1, v0
	s_andn2_b64 vcc, exec, s[40:41]
	s_cbranch_vccnz .LBB7_1098
; %bb.1092:
	s_mov_b32 s2, 0
	s_cmp_lg_u32 s33, 0
	v_mov_b32_e32 v14, 0
	v_mov_b32_e32 v6, 0
	s_cbranch_scc0 .LBB7_1097
; %bb.1093:
	s_min_u32 s38, s74, 15
	s_add_i32 s38, s38, 1
	s_cmp_eq_u32 s74, 2
	s_cbranch_scc1 .LBB7_1099
; %bb.1094:
	s_add_u32 s6, s34, 0xc4
	s_addc_u32 s7, s35, 0
	s_and_b32 s2, s38, 28
	s_mov_b32 s3, 0
	v_mov_b32_e32 v6, 0
	s_mov_b64 s[36:37], s[34:35]
	v_mov_b32_e32 v0, v8
	v_mov_b32_e32 v14, 0
.LBB7_1095:                             ; =>This Inner Loop Header: Depth=1
	s_load_dwordx8 s[16:23], s[36:37], 0x4
	s_load_dwordx4 s[24:27], s[36:37], 0x24
	s_load_dwordx8 s[8:15], s[6:7], 0x0
	s_add_u32 s36, s36, 48
	s_addc_u32 s37, s37, 0
	s_waitcnt vmcnt(0) lgkmcnt(0)
	v_mul_hi_u32 v1, s17, v0
	v_add_u32_e32 v1, v0, v1
	v_lshrrev_b32_e32 v1, s18, v1
	v_mul_lo_u32 v2, v1, s16
	v_mul_hi_u32 v3, s20, v1
	v_sub_u32_e32 v0, v0, v2
	v_add_u32_e32 v2, v1, v3
	v_lshrrev_b32_e32 v2, s21, v2
	v_mul_lo_u32 v4, v2, s19
	v_mul_hi_u32 v5, s23, v2
	v_sub_u32_e32 v1, v1, v4
	v_add_u32_e32 v4, v2, v5
	v_mul_lo_u32 v3, v0, s9
	v_mul_lo_u32 v0, v0, s8
	;; [unrolled: 1-line block ×4, first 2 shown]
	v_lshrrev_b32_e32 v4, s24, v4
	v_add3_u32 v1, v0, v6, v1
	v_add3_u32 v3, v3, v14, v5
	v_mul_lo_u32 v0, v4, s22
	v_mul_hi_u32 v5, s26, v4
	v_sub_u32_e32 v0, v2, v0
	v_add_u32_e32 v2, v4, v5
	v_mul_lo_u32 v5, v0, s12
	v_mul_lo_u32 v6, v0, s13
	v_lshrrev_b32_e32 v0, s27, v2
	s_add_i32 s3, s3, 4
	v_mul_lo_u32 v2, v0, s25
	s_add_u32 s6, s6, 32
	v_sub_u32_e32 v2, v4, v2
	s_addc_u32 s7, s7, 0
	v_mul_lo_u32 v4, v2, s14
	v_mul_lo_u32 v2, v2, s15
	s_cmp_lg_u32 s2, s3
	v_add3_u32 v14, v6, v3, v2
	v_add3_u32 v6, v5, v1, v4
	s_cbranch_scc1 .LBB7_1095
; %bb.1096:
	v_mov_b32_e32 v7, v14
	s_and_b32 s8, s38, 3
	s_cmp_eq_u32 s8, 0
	s_cbranch_scc0 .LBB7_1100
.LBB7_1097:
	s_cbranch_execz .LBB7_1103
	s_branch .LBB7_1105
.LBB7_1098:
                                        ; implicit-def: $vgpr14
                                        ; implicit-def: $vgpr6
	s_branch .LBB7_1103
.LBB7_1099:
	s_mov_b32 s3, s2
	s_waitcnt vmcnt(0)
	v_pk_mov_b32 v[6:7], s[2:3], s[2:3] op_sel:[0,1]
                                        ; implicit-def: $vgpr14
	v_mov_b32_e32 v0, v8
	s_and_b32 s8, s38, 3
	s_cmp_eq_u32 s8, 0
	s_cbranch_scc1 .LBB7_1097
.LBB7_1100:
	s_lshl_b32 s3, s2, 3
	s_add_u32 s3, s3, s34
	s_addc_u32 s7, 0, s35
	s_add_u32 s6, s3, 0xc4
	s_addc_u32 s7, s7, 0
	s_mul_i32 s2, s2, 12
	s_add_u32 s2, s34, s2
	s_addc_u32 s3, 0, s35
.LBB7_1101:                             ; =>This Inner Loop Header: Depth=1
	s_load_dwordx2 s[10:11], s[2:3], 0x4
	s_load_dword s9, s[2:3], 0xc
	s_load_dwordx2 s[12:13], s[6:7], 0x0
	s_add_u32 s2, s2, 12
	s_addc_u32 s3, s3, 0
	s_waitcnt lgkmcnt(0)
	v_mul_hi_u32 v1, s11, v0
	v_add_u32_e32 v1, v0, v1
	v_lshrrev_b32_e32 v1, s9, v1
	v_mul_lo_u32 v3, v1, s10
	v_mov_b32_e32 v2, v7
	s_add_u32 s6, s6, 8
	v_sub_u32_e32 v4, v0, v3
	s_addc_u32 s7, s7, 0
	s_add_i32 s8, s8, -1
	v_mad_u64_u32 v[2:3], s[10:11], v4, s13, v[2:3]
	v_mad_u64_u32 v[6:7], s[10:11], v4, s12, v[6:7]
	s_cmp_lg_u32 s8, 0
	v_mov_b32_e32 v0, v1
	v_mov_b32_e32 v7, v2
	s_cbranch_scc1 .LBB7_1101
; %bb.1102:
	v_mov_b32_e32 v14, v7
	s_cbranch_execnz .LBB7_1105
.LBB7_1103:
	s_load_dwordx4 s[8:11], s[34:35], 0x4
	s_load_dwordx2 s[2:3], s[34:35], 0xc4
	s_cmp_lt_u32 s33, 2
	s_waitcnt lgkmcnt(0)
	v_mul_hi_u32 v0, s9, v8
	v_add_u32_e32 v0, v8, v0
	v_lshrrev_b32_e32 v0, s10, v0
	s_waitcnt vmcnt(0)
	v_mul_lo_u32 v1, v0, s8
	v_sub_u32_e32 v1, v8, v1
	v_mul_lo_u32 v14, v1, s3
	v_mul_lo_u32 v6, v1, s2
	s_cbranch_scc1 .LBB7_1105
; %bb.1104:
	s_load_dwordx4 s[8:11], s[34:35], 0x10
	s_load_dwordx2 s[2:3], s[34:35], 0xcc
	s_waitcnt lgkmcnt(0)
	v_mul_hi_u32 v1, s9, v0
	v_add_u32_e32 v1, v0, v1
	v_lshrrev_b32_e32 v1, s10, v1
	v_mul_lo_u32 v1, v1, s8
	v_sub_u32_e32 v0, v0, v1
	v_mad_u64_u32 v[6:7], s[6:7], v0, s2, v[6:7]
	v_mad_u64_u32 v[14:15], s[2:3], v0, s3, v[14:15]
.LBB7_1105:
	s_and_b64 vcc, exec, s[0:1]
	v_add_u32_e32 v0, 0x80, v8
	s_cbranch_vccnz .LBB7_1112
; %bb.1106:
	s_mov_b32 s2, 0
	s_cmp_lg_u32 s33, 0
	v_mov_b32_e32 v12, 0
	v_mov_b32_e32 v4, 0
	s_cbranch_scc0 .LBB7_1111
; %bb.1107:
	s_min_u32 s38, s74, 15
	s_add_i32 s38, s38, 1
	s_cmp_eq_u32 s74, 2
	s_cbranch_scc1 .LBB7_1113
; %bb.1108:
	s_add_u32 s6, s34, 0xc4
	s_addc_u32 s7, s35, 0
	s_and_b32 s2, s38, 28
	s_mov_b32 s3, 0
	v_mov_b32_e32 v4, 0
	s_mov_b64 s[36:37], s[34:35]
	s_waitcnt vmcnt(0)
	v_mov_b32_e32 v1, v0
	v_mov_b32_e32 v12, 0
.LBB7_1109:                             ; =>This Inner Loop Header: Depth=1
	s_load_dwordx8 s[16:23], s[36:37], 0x4
	s_load_dwordx4 s[24:27], s[36:37], 0x24
	s_load_dwordx8 s[8:15], s[6:7], 0x0
	s_add_u32 s36, s36, 48
	s_addc_u32 s37, s37, 0
	s_waitcnt lgkmcnt(0)
	v_mul_hi_u32 v2, s17, v1
	v_add_u32_e32 v2, v1, v2
	v_lshrrev_b32_e32 v2, s18, v2
	v_mul_lo_u32 v3, v2, s16
	v_mul_hi_u32 v5, s20, v2
	v_sub_u32_e32 v1, v1, v3
	v_add_u32_e32 v3, v2, v5
	v_lshrrev_b32_e32 v3, s21, v3
	v_mul_lo_u32 v7, v3, s19
	v_mul_hi_u32 v9, s23, v3
	v_sub_u32_e32 v2, v2, v7
	v_add_u32_e32 v7, v3, v9
	v_mul_lo_u32 v5, v1, s9
	v_mul_lo_u32 v1, v1, s8
	v_mul_lo_u32 v9, v2, s11
	v_mul_lo_u32 v2, v2, s10
	v_lshrrev_b32_e32 v7, s24, v7
	v_add3_u32 v2, v1, v4, v2
	v_add3_u32 v4, v5, v12, v9
	v_mul_lo_u32 v1, v7, s22
	v_mul_hi_u32 v5, s26, v7
	v_sub_u32_e32 v1, v3, v1
	v_add_u32_e32 v3, v7, v5
	v_mul_lo_u32 v5, v1, s12
	v_mul_lo_u32 v9, v1, s13
	v_lshrrev_b32_e32 v1, s27, v3
	s_add_i32 s3, s3, 4
	v_mul_lo_u32 v3, v1, s25
	s_add_u32 s6, s6, 32
	v_sub_u32_e32 v3, v7, v3
	s_addc_u32 s7, s7, 0
	v_mul_lo_u32 v7, v3, s14
	v_mul_lo_u32 v3, v3, s15
	s_cmp_lg_u32 s2, s3
	v_add3_u32 v12, v9, v4, v3
	v_add3_u32 v4, v5, v2, v7
	s_cbranch_scc1 .LBB7_1109
; %bb.1110:
	v_mov_b32_e32 v5, v12
	s_and_b32 s8, s38, 3
	s_cmp_eq_u32 s8, 0
	s_cbranch_scc0 .LBB7_1114
.LBB7_1111:
	s_cbranch_execz .LBB7_1117
	s_branch .LBB7_1119
.LBB7_1112:
                                        ; implicit-def: $vgpr12
                                        ; implicit-def: $vgpr4
	s_branch .LBB7_1117
.LBB7_1113:
	s_mov_b32 s3, s2
	v_pk_mov_b32 v[4:5], s[2:3], s[2:3] op_sel:[0,1]
                                        ; implicit-def: $vgpr12
	s_waitcnt vmcnt(0)
	v_mov_b32_e32 v1, v0
	s_and_b32 s8, s38, 3
	s_cmp_eq_u32 s8, 0
	s_cbranch_scc1 .LBB7_1111
.LBB7_1114:
	s_lshl_b32 s3, s2, 3
	s_add_u32 s3, s3, s34
	s_addc_u32 s7, 0, s35
	s_add_u32 s6, s3, 0xc4
	s_addc_u32 s7, s7, 0
	s_mul_i32 s2, s2, 12
	s_add_u32 s2, s34, s2
	s_addc_u32 s3, 0, s35
.LBB7_1115:                             ; =>This Inner Loop Header: Depth=1
	s_load_dwordx2 s[10:11], s[2:3], 0x4
	s_load_dword s9, s[2:3], 0xc
	s_load_dwordx2 s[12:13], s[6:7], 0x0
	s_add_u32 s2, s2, 12
	v_mov_b32_e32 v2, v5
	s_waitcnt lgkmcnt(0)
	v_mul_hi_u32 v3, s11, v1
	v_add_u32_e32 v3, v1, v3
	v_lshrrev_b32_e32 v3, s9, v3
	s_addc_u32 s3, s3, 0
	v_mul_lo_u32 v5, v3, s10
	s_add_u32 s6, s6, 8
	v_sub_u32_e32 v5, v1, v5
	s_addc_u32 s7, s7, 0
	s_add_i32 s8, s8, -1
	v_mov_b32_e32 v1, v3
	v_mad_u64_u32 v[2:3], s[10:11], v5, s13, v[2:3]
	v_mad_u64_u32 v[4:5], s[10:11], v5, s12, v[4:5]
	s_cmp_lg_u32 s8, 0
	v_mov_b32_e32 v5, v2
	s_cbranch_scc1 .LBB7_1115
; %bb.1116:
	v_mov_b32_e32 v12, v5
	s_cbranch_execnz .LBB7_1119
.LBB7_1117:
	s_load_dwordx4 s[8:11], s[34:35], 0x4
	s_load_dwordx2 s[2:3], s[34:35], 0xc4
	s_cmp_lt_u32 s33, 2
	s_waitcnt vmcnt(0) lgkmcnt(0)
	v_mul_hi_u32 v1, s9, v0
	v_add_u32_e32 v1, v0, v1
	v_lshrrev_b32_e32 v1, s10, v1
	v_mul_lo_u32 v2, v1, s8
	v_sub_u32_e32 v0, v0, v2
	v_mul_lo_u32 v12, v0, s3
	v_mul_lo_u32 v4, v0, s2
	s_cbranch_scc1 .LBB7_1119
; %bb.1118:
	s_load_dwordx4 s[8:11], s[34:35], 0x10
	s_load_dwordx2 s[2:3], s[34:35], 0xcc
	s_waitcnt lgkmcnt(0)
	v_mul_hi_u32 v0, s9, v1
	v_add_u32_e32 v0, v1, v0
	v_lshrrev_b32_e32 v0, s10, v0
	v_mul_lo_u32 v0, v0, s8
	v_sub_u32_e32 v0, v1, v0
	v_mad_u64_u32 v[4:5], s[6:7], v0, s2, v[4:5]
	v_mad_u64_u32 v[12:13], s[2:3], v0, s3, v[12:13]
.LBB7_1119:
	s_and_b64 vcc, exec, s[0:1]
	v_add_u32_e32 v0, 0x100, v8
	s_cbranch_vccnz .LBB7_1126
; %bb.1120:
	s_mov_b32 s2, 0
	s_cmp_lg_u32 s33, 0
	v_mov_b32_e32 v10, 0
	v_mov_b32_e32 v2, 0
	s_cbranch_scc0 .LBB7_1125
; %bb.1121:
	s_min_u32 s38, s74, 15
	s_add_i32 s38, s38, 1
	s_cmp_eq_u32 s74, 2
	s_cbranch_scc1 .LBB7_1127
; %bb.1122:
	s_add_u32 s6, s34, 0xc4
	s_addc_u32 s7, s35, 0
	s_and_b32 s2, s38, 28
	s_mov_b32 s3, 0
	v_mov_b32_e32 v2, 0
	s_mov_b64 s[36:37], s[34:35]
	s_waitcnt vmcnt(0)
	v_mov_b32_e32 v1, v0
	v_mov_b32_e32 v10, 0
.LBB7_1123:                             ; =>This Inner Loop Header: Depth=1
	s_load_dwordx8 s[16:23], s[36:37], 0x4
	s_load_dwordx4 s[24:27], s[36:37], 0x24
	s_load_dwordx8 s[8:15], s[6:7], 0x0
	s_add_u32 s36, s36, 48
	s_addc_u32 s37, s37, 0
	s_waitcnt lgkmcnt(0)
	v_mul_hi_u32 v3, s17, v1
	v_add_u32_e32 v3, v1, v3
	v_lshrrev_b32_e32 v3, s18, v3
	v_mul_lo_u32 v5, v3, s16
	v_mul_hi_u32 v7, s20, v3
	v_sub_u32_e32 v1, v1, v5
	v_add_u32_e32 v5, v3, v7
	v_lshrrev_b32_e32 v5, s21, v5
	v_mul_lo_u32 v8, v5, s19
	v_mul_hi_u32 v9, s23, v5
	v_sub_u32_e32 v3, v3, v8
	v_add_u32_e32 v8, v5, v9
	v_mul_lo_u32 v7, v1, s9
	v_mul_lo_u32 v1, v1, s8
	;; [unrolled: 1-line block ×4, first 2 shown]
	v_lshrrev_b32_e32 v8, s24, v8
	v_add3_u32 v2, v1, v2, v3
	v_add3_u32 v3, v7, v10, v9
	v_mul_lo_u32 v1, v8, s22
	v_mul_hi_u32 v7, s26, v8
	v_sub_u32_e32 v1, v5, v1
	v_add_u32_e32 v5, v8, v7
	v_mul_lo_u32 v7, v1, s12
	v_mul_lo_u32 v9, v1, s13
	v_lshrrev_b32_e32 v1, s27, v5
	s_add_i32 s3, s3, 4
	v_mul_lo_u32 v5, v1, s25
	s_add_u32 s6, s6, 32
	v_sub_u32_e32 v5, v8, v5
	s_addc_u32 s7, s7, 0
	v_mul_lo_u32 v8, v5, s14
	v_mul_lo_u32 v5, v5, s15
	s_cmp_lg_u32 s2, s3
	v_add3_u32 v10, v9, v3, v5
	v_add3_u32 v2, v7, v2, v8
	s_cbranch_scc1 .LBB7_1123
; %bb.1124:
	v_mov_b32_e32 v3, v10
	s_and_b32 s8, s38, 3
	s_cmp_eq_u32 s8, 0
	s_cbranch_scc0 .LBB7_1128
.LBB7_1125:
	s_cbranch_execz .LBB7_1131
	s_branch .LBB7_1133
.LBB7_1126:
                                        ; implicit-def: $vgpr10
                                        ; implicit-def: $vgpr2
	s_branch .LBB7_1131
.LBB7_1127:
	s_mov_b32 s3, s2
	v_pk_mov_b32 v[2:3], s[2:3], s[2:3] op_sel:[0,1]
                                        ; implicit-def: $vgpr10
	s_waitcnt vmcnt(0)
	v_mov_b32_e32 v1, v0
	s_and_b32 s8, s38, 3
	s_cmp_eq_u32 s8, 0
	s_cbranch_scc1 .LBB7_1125
.LBB7_1128:
	s_lshl_b32 s3, s2, 3
	s_add_u32 s3, s3, s34
	s_addc_u32 s7, 0, s35
	s_add_u32 s6, s3, 0xc4
	s_addc_u32 s7, s7, 0
	s_mul_i32 s2, s2, 12
	s_add_u32 s2, s34, s2
	s_addc_u32 s3, 0, s35
.LBB7_1129:                             ; =>This Inner Loop Header: Depth=1
	s_load_dwordx2 s[10:11], s[2:3], 0x4
	s_load_dword s9, s[2:3], 0xc
	s_load_dwordx2 s[12:13], s[6:7], 0x0
	v_mov_b32_e32 v8, v3
	s_add_u32 s2, s2, 12
	s_waitcnt lgkmcnt(0)
	v_mul_hi_u32 v3, s11, v1
	v_add_u32_e32 v3, v1, v3
	v_lshrrev_b32_e32 v3, s9, v3
	s_addc_u32 s3, s3, 0
	v_mul_lo_u32 v5, v3, s10
	s_add_u32 s6, s6, 8
	v_sub_u32_e32 v5, v1, v5
	s_addc_u32 s7, s7, 0
	s_add_i32 s8, s8, -1
	v_mov_b32_e32 v1, v3
	v_mad_u64_u32 v[8:9], s[10:11], v5, s13, v[8:9]
	v_mad_u64_u32 v[2:3], s[10:11], v5, s12, v[2:3]
	s_cmp_lg_u32 s8, 0
	v_mov_b32_e32 v3, v8
	s_cbranch_scc1 .LBB7_1129
; %bb.1130:
	v_mov_b32_e32 v10, v3
	s_cbranch_execnz .LBB7_1133
.LBB7_1131:
	s_load_dwordx4 s[8:11], s[34:35], 0x4
	s_load_dwordx2 s[2:3], s[34:35], 0xc4
	s_cmp_lt_u32 s33, 2
	s_waitcnt vmcnt(0) lgkmcnt(0)
	v_mul_hi_u32 v1, s9, v0
	v_add_u32_e32 v1, v0, v1
	v_lshrrev_b32_e32 v1, s10, v1
	v_mul_lo_u32 v2, v1, s8
	v_sub_u32_e32 v0, v0, v2
	v_mul_lo_u32 v10, v0, s3
	v_mul_lo_u32 v2, v0, s2
	s_cbranch_scc1 .LBB7_1133
; %bb.1132:
	s_load_dwordx4 s[8:11], s[34:35], 0x10
	s_load_dwordx2 s[2:3], s[34:35], 0xcc
	s_waitcnt lgkmcnt(0)
	v_mul_hi_u32 v0, s9, v1
	v_add_u32_e32 v0, v1, v0
	v_lshrrev_b32_e32 v0, s10, v0
	v_mul_lo_u32 v0, v0, s8
	v_sub_u32_e32 v0, v1, v0
	v_mad_u64_u32 v[2:3], s[6:7], v0, s2, v[2:3]
	v_mad_u64_u32 v[10:11], s[2:3], v0, s3, v[10:11]
.LBB7_1133:
	s_and_b64 vcc, exec, s[0:1]
	s_cbranch_vccnz .LBB7_1140
; %bb.1134:
	s_mov_b32 s6, 0
	s_cmp_lg_u32 s33, 0
	v_mov_b32_e32 v8, 0
	v_mov_b32_e32 v0, 0
	s_cbranch_scc0 .LBB7_1139
; %bb.1135:
	s_min_u32 s36, s74, 15
	s_add_i32 s36, s36, 1
	s_cmp_eq_u32 s74, 2
	s_cbranch_scc1 .LBB7_1141
; %bb.1136:
	s_add_u32 s24, s34, 0xc4
	s_addc_u32 s25, s35, 0
	s_and_b32 s6, s36, 28
	s_mov_b32 s7, 0
	v_mov_b32_e32 v0, 0
	s_mov_b64 s[26:27], s[34:35]
	v_mov_b32_e32 v3, v16
	v_mov_b32_e32 v8, 0
.LBB7_1137:                             ; =>This Inner Loop Header: Depth=1
	s_load_dwordx8 s[16:23], s[26:27], 0x4
	s_load_dwordx4 s[0:3], s[26:27], 0x24
	s_load_dwordx8 s[8:15], s[24:25], 0x0
	s_add_u32 s26, s26, 48
	s_addc_u32 s27, s27, 0
	s_waitcnt vmcnt(0) lgkmcnt(0)
	v_mul_hi_u32 v1, s17, v3
	v_add_u32_e32 v1, v3, v1
	v_lshrrev_b32_e32 v1, s18, v1
	v_mul_lo_u32 v5, v1, s16
	v_mul_hi_u32 v7, s20, v1
	v_sub_u32_e32 v3, v3, v5
	v_add_u32_e32 v5, v1, v7
	v_lshrrev_b32_e32 v5, s21, v5
	v_mul_lo_u32 v9, v5, s19
	v_mul_hi_u32 v11, s23, v5
	v_sub_u32_e32 v1, v1, v9
	v_add_u32_e32 v9, v5, v11
	v_mul_lo_u32 v7, v3, s9
	v_mul_lo_u32 v3, v3, s8
	;; [unrolled: 1-line block ×4, first 2 shown]
	v_lshrrev_b32_e32 v9, s0, v9
	v_add3_u32 v0, v3, v0, v1
	v_add3_u32 v1, v7, v8, v11
	v_mul_lo_u32 v3, v9, s22
	v_mul_hi_u32 v7, s2, v9
	v_sub_u32_e32 v3, v5, v3
	v_add_u32_e32 v5, v9, v7
	v_mul_lo_u32 v7, v3, s12
	v_mul_lo_u32 v8, v3, s13
	v_lshrrev_b32_e32 v3, s3, v5
	s_add_i32 s7, s7, 4
	v_mul_lo_u32 v5, v3, s1
	s_add_u32 s24, s24, 32
	v_sub_u32_e32 v5, v9, v5
	s_addc_u32 s25, s25, 0
	v_mul_lo_u32 v9, v5, s14
	v_mul_lo_u32 v5, v5, s15
	s_cmp_lg_u32 s6, s7
	v_add3_u32 v8, v8, v1, v5
	v_add3_u32 v0, v7, v0, v9
	s_cbranch_scc1 .LBB7_1137
; %bb.1138:
	v_mov_b32_e32 v1, v8
	s_and_b32 s7, s36, 3
	s_cmp_eq_u32 s7, 0
	s_cbranch_scc0 .LBB7_1142
.LBB7_1139:
	s_cbranch_execz .LBB7_1145
	s_branch .LBB7_1147
.LBB7_1140:
                                        ; implicit-def: $vgpr8
                                        ; implicit-def: $vgpr0
	s_branch .LBB7_1145
.LBB7_1141:
	s_mov_b32 s7, s6
	s_waitcnt vmcnt(0)
	v_pk_mov_b32 v[0:1], s[6:7], s[6:7] op_sel:[0,1]
                                        ; implicit-def: $vgpr8
	v_mov_b32_e32 v3, v16
	s_and_b32 s7, s36, 3
	s_cmp_eq_u32 s7, 0
	s_cbranch_scc1 .LBB7_1139
.LBB7_1142:
	s_lshl_b32 s0, s6, 3
	s_add_u32 s0, s0, s34
	s_addc_u32 s1, 0, s35
	s_add_u32 s0, s0, 0xc4
	s_addc_u32 s1, s1, 0
	s_mul_i32 s2, s6, 12
	s_add_u32 s2, s34, s2
	s_addc_u32 s3, 0, s35
.LBB7_1143:                             ; =>This Inner Loop Header: Depth=1
	s_load_dwordx2 s[8:9], s[2:3], 0x4
	s_load_dword s6, s[2:3], 0xc
	s_load_dwordx2 s[10:11], s[0:1], 0x0
	v_mov_b32_e32 v8, v1
	s_add_u32 s2, s2, 12
	s_waitcnt lgkmcnt(0)
	v_mul_hi_u32 v1, s9, v3
	v_add_u32_e32 v1, v3, v1
	v_lshrrev_b32_e32 v1, s6, v1
	s_addc_u32 s3, s3, 0
	v_mul_lo_u32 v5, v1, s8
	s_add_u32 s0, s0, 8
	v_sub_u32_e32 v5, v3, v5
	s_addc_u32 s1, s1, 0
	s_add_i32 s7, s7, -1
	v_mov_b32_e32 v3, v1
	v_mad_u64_u32 v[8:9], s[8:9], v5, s11, v[8:9]
	v_mad_u64_u32 v[0:1], s[8:9], v5, s10, v[0:1]
	s_cmp_lg_u32 s7, 0
	v_mov_b32_e32 v1, v8
	s_cbranch_scc1 .LBB7_1143
; %bb.1144:
	v_mov_b32_e32 v8, v1
	s_cbranch_execnz .LBB7_1147
.LBB7_1145:
	s_load_dwordx4 s[0:3], s[34:35], 0x4
	s_load_dwordx2 s[6:7], s[34:35], 0xc4
	s_cmp_lt_u32 s33, 2
	s_waitcnt lgkmcnt(0)
	v_mul_hi_u32 v0, s1, v16
	v_add_u32_e32 v0, v16, v0
	s_waitcnt vmcnt(0)
	v_lshrrev_b32_e32 v1, s2, v0
	v_mul_lo_u32 v0, v1, s0
	v_sub_u32_e32 v0, v16, v0
	v_mul_lo_u32 v8, v0, s7
	v_mul_lo_u32 v0, v0, s6
	s_cbranch_scc1 .LBB7_1147
; %bb.1146:
	s_load_dwordx4 s[0:3], s[34:35], 0x10
	s_load_dwordx2 s[6:7], s[34:35], 0xcc
	s_waitcnt lgkmcnt(0)
	v_mul_hi_u32 v3, s1, v1
	v_add_u32_e32 v3, v1, v3
	v_lshrrev_b32_e32 v3, s2, v3
	v_mul_lo_u32 v3, v3, s0
	v_sub_u32_e32 v3, v1, v3
	v_mad_u64_u32 v[0:1], s[0:1], v3, s6, v[0:1]
	v_mad_u64_u32 v[8:9], s[0:1], v3, s7, v[8:9]
.LBB7_1147:
	s_load_dword s0, s[4:5], 0x164
	s_load_dwordx4 s[8:11], s[34:35], 0x148
	s_waitcnt lgkmcnt(0)
	s_lshr_b32 s18, s0, 8
	s_waitcnt vmcnt(0)
	v_mov_b32_e32 v1, s11
	v_add_co_u32_e32 v14, vcc, s10, v14
	v_addc_co_u32_e32 v15, vcc, 0, v1, vcc
	v_mov_b32_e32 v1, 11
	v_cmp_lt_i16_sdwa s[0:1], s18, v1 src0_sel:BYTE_0 src1_sel:DWORD
	s_and_b64 vcc, exec, s[0:1]
	s_cbranch_vccnz .LBB7_1154
; %bb.1148:
	v_mov_b32_e32 v1, 25
	v_cmp_gt_i16_sdwa s[0:1], s18, v1 src0_sel:BYTE_0 src1_sel:DWORD
	s_mov_b64 s[6:7], 0
	s_and_b64 vcc, exec, s[0:1]
	s_cbranch_vccz .LBB7_1156
; %bb.1149:
	v_mov_b32_e32 v1, 28
	v_cmp_gt_i16_sdwa s[0:1], s18, v1 src0_sel:BYTE_0 src1_sel:DWORD
	s_and_b64 vcc, exec, s[0:1]
	s_cbranch_vccz .LBB7_1157
; %bb.1150:
	v_mov_b32_e32 v1, 43
	v_cmp_gt_i16_sdwa s[0:1], s18, v1 src0_sel:BYTE_0 src1_sel:DWORD
	;; [unrolled: 5-line block ×3, first 2 shown]
	s_and_b64 vcc, exec, s[0:1]
	s_cbranch_vccz .LBB7_1159
; %bb.1152:
	v_mov_b32_e32 v1, 46
	v_cmp_eq_u16_sdwa s[0:1], s18, v1 src0_sel:BYTE_0 src1_sel:DWORD
	s_mov_b64 s[2:3], 0
	s_and_b64 vcc, exec, s[0:1]
	s_cbranch_vccz .LBB7_1162
; %bb.1153:
	global_load_dword v1, v[14:15], off
	s_mov_b64 s[0:1], 0
	s_mov_b64 s[12:13], -1
	s_waitcnt vmcnt(0)
	v_lshlrev_b32_e32 v1, 16, v1
	v_cvt_f16_f32_e32 v1, v1
	s_branch .LBB7_1163
.LBB7_1154:
	s_mov_b64 s[12:13], 0
                                        ; implicit-def: $vgpr1
	s_mov_b64 s[2:3], s[28:29]
	s_cbranch_execnz .LBB7_1226
.LBB7_1155:
	s_andn2_b64 vcc, exec, s[12:13]
	s_cbranch_vccz .LBB7_1271
	s_branch .LBB7_1666
.LBB7_1156:
	s_mov_b64 s[12:13], 0
	s_mov_b64 s[0:1], 0
                                        ; implicit-def: $vgpr1
	s_cbranch_execnz .LBB7_1191
	s_branch .LBB7_1222
.LBB7_1157:
	s_mov_b64 s[2:3], -1
	s_mov_b64 s[12:13], 0
	s_mov_b64 s[0:1], 0
                                        ; implicit-def: $vgpr1
	s_branch .LBB7_1172
.LBB7_1158:
	s_mov_b64 s[12:13], 0
	s_mov_b64 s[0:1], 0
                                        ; implicit-def: $vgpr1
	s_cbranch_execnz .LBB7_1168
	s_branch .LBB7_1171
.LBB7_1159:
	s_mov_b64 s[2:3], -1
	s_mov_b64 s[12:13], 0
	s_mov_b64 s[0:1], 0
                                        ; implicit-def: $vgpr1
	s_branch .LBB7_1163
.LBB7_1160:
	s_or_saveexec_b64 s[14:15], s[14:15]
                                        ; implicit-def: $sgpr16
	s_xor_b64 exec, exec, s[14:15]
	s_cbranch_execz .LBB7_1003
.LBB7_1161:
	s_mov_b32 s16, 0x46000000
	v_add_f32_e64 v5, |v0|, s16
	v_and_b32_e32 v5, 0xff, v5
	v_cmp_ne_u32_e32 vcc, 0, v5
	s_andn2_b64 s[12:13], s[12:13], exec
	s_and_b64 s[18:19], vcc, exec
	s_mov_b32 s16, 0
	s_or_b64 s[12:13], s[12:13], s[18:19]
	s_or_b64 exec, exec, s[14:15]
	v_mov_b32_e32 v7, s16
	s_and_saveexec_b64 s[14:15], s[12:13]
	s_cbranch_execnz .LBB7_1004
	s_branch .LBB7_1005
.LBB7_1162:
	s_mov_b64 s[0:1], -1
                                        ; implicit-def: $vgpr1
	s_mov_b64 s[12:13], 0
.LBB7_1163:
	s_and_b64 vcc, exec, s[2:3]
	s_cbranch_vccz .LBB7_1166
; %bb.1164:
	v_mov_b32_e32 v1, 44
	v_cmp_eq_u16_sdwa s[0:1], s18, v1 src0_sel:BYTE_0 src1_sel:DWORD
	s_and_b64 vcc, exec, s[0:1]
	s_cbranch_vccz .LBB7_1167
; %bb.1165:
	global_load_ubyte v1, v[14:15], off
	s_movk_i32 s2, 0xff
	v_mov_b32_e32 v5, 0x7e00
	s_mov_b64 s[0:1], 0
	s_mov_b64 s[12:13], -1
	s_waitcnt vmcnt(0)
	v_lshlrev_b32_e32 v3, 23, v1
	v_cvt_f16_f32_e32 v3, v3
	v_cmp_ne_u32_e32 vcc, s2, v1
	v_cndmask_b32_e32 v3, v5, v3, vcc
	v_cmp_ne_u32_e32 vcc, 0, v1
	v_cndmask_b32_e32 v1, 0, v3, vcc
.LBB7_1166:
	s_branch .LBB7_1171
.LBB7_1167:
	s_mov_b64 s[0:1], -1
                                        ; implicit-def: $vgpr1
	s_branch .LBB7_1171
.LBB7_1168:
	v_mov_b32_e32 v1, 29
	v_cmp_eq_u16_sdwa s[0:1], s18, v1 src0_sel:BYTE_0 src1_sel:DWORD
	s_and_b64 vcc, exec, s[0:1]
	s_cbranch_vccz .LBB7_1170
; %bb.1169:
	global_load_dwordx2 v[16:17], v[14:15], off
	s_mov_b64 s[0:1], 0
	s_mov_b64 s[12:13], -1
	s_mov_b64 s[2:3], 0
	s_waitcnt vmcnt(0)
	v_ffbh_u32_e32 v1, v17
	v_min_u32_e32 v1, 32, v1
	v_lshlrev_b64 v[16:17], v1, v[16:17]
	v_min_u32_e32 v3, 1, v16
	v_or_b32_e32 v3, v17, v3
	v_cvt_f32_u32_e32 v3, v3
	v_sub_u32_e32 v1, 32, v1
	v_ldexp_f32 v1, v3, v1
	v_cvt_f16_f32_e32 v1, v1
	s_branch .LBB7_1172
.LBB7_1170:
	s_mov_b64 s[0:1], -1
                                        ; implicit-def: $vgpr1
.LBB7_1171:
	s_mov_b64 s[2:3], 0
.LBB7_1172:
	s_and_b64 vcc, exec, s[2:3]
	s_cbranch_vccz .LBB7_1190
; %bb.1173:
	v_mov_b32_e32 v1, 27
	v_cmp_lt_i16_sdwa s[2:3], s18, v1 src0_sel:BYTE_0 src1_sel:DWORD
	s_and_b64 vcc, exec, s[2:3]
	s_cbranch_vccnz .LBB7_1176
; %bb.1174:
	v_cmp_gt_i16_sdwa s[2:3], s18, v1 src0_sel:BYTE_0 src1_sel:DWORD
	s_and_b64 vcc, exec, s[2:3]
	s_cbranch_vccz .LBB7_1177
; %bb.1175:
	global_load_dword v1, v[14:15], off
	s_mov_b64 s[2:3], 0
	s_waitcnt vmcnt(0)
	v_cvt_f32_u32_e32 v1, v1
	v_cvt_f16_f32_e32 v1, v1
	s_branch .LBB7_1178
.LBB7_1176:
	s_mov_b64 s[2:3], -1
                                        ; implicit-def: $vgpr1
	s_branch .LBB7_1181
.LBB7_1177:
	s_mov_b64 s[2:3], -1
                                        ; implicit-def: $vgpr1
.LBB7_1178:
	s_andn2_b64 vcc, exec, s[2:3]
	s_cbranch_vccnz .LBB7_1180
; %bb.1179:
	global_load_ushort v1, v[14:15], off
	s_waitcnt vmcnt(0)
	v_cvt_f16_u16_e32 v1, v1
.LBB7_1180:
	s_mov_b64 s[2:3], 0
.LBB7_1181:
	s_andn2_b64 vcc, exec, s[2:3]
	s_cbranch_vccnz .LBB7_1189
; %bb.1182:
	global_load_ubyte v3, v[14:15], off
	s_movk_i32 s2, 0x7f
                                        ; implicit-def: $sgpr16
	s_waitcnt vmcnt(0)
	v_cmp_lt_i16_e32 vcc, s2, v3
	s_mov_b64 s[2:3], 0
	s_and_saveexec_b64 s[12:13], vcc
	s_xor_b64 s[12:13], exec, s[12:13]
	s_cbranch_execz .LBB7_1202
; %bb.1183:
	s_movk_i32 s2, 0x80
	v_cmp_eq_u16_e32 vcc, s2, v3
	s_mov_b64 s[2:3], -1
                                        ; implicit-def: $sgpr16
	s_and_saveexec_b64 s[14:15], vcc
; %bb.1184:
	s_movk_i32 s16, 0x7e00
	s_xor_b64 s[2:3], exec, -1
; %bb.1185:
	s_or_b64 exec, exec, s[14:15]
	s_and_b64 s[2:3], s[2:3], exec
	s_or_saveexec_b64 s[12:13], s[12:13]
	v_mov_b32_e32 v1, s16
	s_xor_b64 exec, exec, s[12:13]
	s_cbranch_execnz .LBB7_1203
.LBB7_1186:
	s_or_b64 exec, exec, s[12:13]
	s_and_saveexec_b64 s[12:13], s[2:3]
	s_cbranch_execz .LBB7_1188
.LBB7_1187:
	v_lshlrev_b32_e32 v1, 24, v3
	v_and_b32_e32 v3, 0xffff, v3
	v_and_b32_e32 v5, 7, v3
	v_ffbh_u32_e32 v9, v5
	v_min_u32_e32 v9, 32, v9
	v_subrev_u32_e32 v11, 28, v9
	v_bfe_u32 v7, v3, 3, 4
	v_lshlrev_b32_e32 v3, v11, v3
	v_sub_u32_e32 v9, 29, v9
	v_and_b32_e32 v3, 7, v3
	v_cmp_eq_u32_e32 vcc, 0, v7
	v_cndmask_b32_e32 v7, v7, v9, vcc
	v_cndmask_b32_e32 v3, v5, v3, vcc
	v_mov_b32_e32 v5, 0x3b800000
	v_lshlrev_b32_e32 v3, 20, v3
	v_and_b32_e32 v1, 0x80000000, v1
	v_lshl_add_u32 v5, v7, 23, v5
	v_or3_b32 v1, v1, v5, v3
	v_cvt_f16_f32_e32 v1, v1
.LBB7_1188:
	s_or_b64 exec, exec, s[12:13]
.LBB7_1189:
	s_mov_b64 s[12:13], -1
.LBB7_1190:
	s_branch .LBB7_1222
.LBB7_1191:
	v_mov_b32_e32 v1, 22
	v_cmp_gt_i16_sdwa s[2:3], s18, v1 src0_sel:BYTE_0 src1_sel:DWORD
	s_and_b64 vcc, exec, s[2:3]
	s_cbranch_vccz .LBB7_1201
; %bb.1192:
	v_mov_b32_e32 v1, 24
	v_cmp_lt_i16_sdwa s[2:3], s18, v1 src0_sel:BYTE_0 src1_sel:DWORD
	s_and_b64 vcc, exec, s[2:3]
	s_cbranch_vccnz .LBB7_1204
; %bb.1193:
	v_cmp_gt_i16_sdwa s[2:3], s18, v1 src0_sel:BYTE_0 src1_sel:DWORD
	s_and_b64 vcc, exec, s[2:3]
	s_cbranch_vccz .LBB7_1205
; %bb.1194:
	global_load_ubyte v3, v[14:15], off
	s_movk_i32 s2, 0x7f
                                        ; implicit-def: $sgpr14
	s_waitcnt vmcnt(0)
	v_cmp_lt_i16_e32 vcc, s2, v3
	s_mov_b64 s[2:3], 0
	s_and_saveexec_b64 s[6:7], vcc
	s_xor_b64 s[6:7], exec, s[6:7]
	s_cbranch_execz .LBB7_1216
; %bb.1195:
	s_movk_i32 s2, 0x80
	v_cmp_eq_u16_e32 vcc, s2, v3
	s_mov_b64 s[2:3], -1
                                        ; implicit-def: $sgpr14
	s_and_saveexec_b64 s[12:13], vcc
; %bb.1196:
	s_movk_i32 s14, 0x7e00
	s_xor_b64 s[2:3], exec, -1
; %bb.1197:
	s_or_b64 exec, exec, s[12:13]
	s_and_b64 s[2:3], s[2:3], exec
	s_or_saveexec_b64 s[6:7], s[6:7]
	v_mov_b32_e32 v1, s14
	s_xor_b64 exec, exec, s[6:7]
	s_cbranch_execnz .LBB7_1217
.LBB7_1198:
	s_or_b64 exec, exec, s[6:7]
	s_and_saveexec_b64 s[6:7], s[2:3]
	s_cbranch_execz .LBB7_1200
.LBB7_1199:
	v_lshlrev_b32_e32 v1, 24, v3
	v_and_b32_e32 v3, 0xffff, v3
	v_and_b32_e32 v5, 3, v3
	v_ffbh_u32_e32 v9, v5
	v_min_u32_e32 v9, 32, v9
	v_subrev_u32_e32 v11, 29, v9
	v_bfe_u32 v7, v3, 2, 5
	v_lshlrev_b32_e32 v3, v11, v3
	v_sub_u32_e32 v9, 30, v9
	v_and_b32_e32 v3, 3, v3
	v_cmp_eq_u32_e32 vcc, 0, v7
	v_cndmask_b32_e32 v7, v7, v9, vcc
	v_cndmask_b32_e32 v3, v5, v3, vcc
	v_mov_b32_e32 v5, 0x37800000
	v_lshlrev_b32_e32 v3, 21, v3
	v_and_b32_e32 v1, 0x80000000, v1
	v_lshl_add_u32 v5, v7, 23, v5
	v_or3_b32 v1, v1, v5, v3
	v_cvt_f16_f32_e32 v1, v1
.LBB7_1200:
	s_or_b64 exec, exec, s[6:7]
	s_mov_b64 s[2:3], 0
	s_branch .LBB7_1206
.LBB7_1201:
                                        ; implicit-def: $vgpr1
	s_mov_b64 s[6:7], 0
	s_branch .LBB7_1212
.LBB7_1202:
	s_or_saveexec_b64 s[12:13], s[12:13]
	v_mov_b32_e32 v1, s16
	s_xor_b64 exec, exec, s[12:13]
	s_cbranch_execz .LBB7_1186
.LBB7_1203:
	v_cmp_ne_u16_e32 vcc, 0, v3
	s_andn2_b64 s[2:3], s[2:3], exec
	s_and_b64 s[14:15], vcc, exec
	s_or_b64 s[2:3], s[2:3], s[14:15]
	v_mov_b32_e32 v1, v3
	s_or_b64 exec, exec, s[12:13]
	s_and_saveexec_b64 s[12:13], s[2:3]
	s_cbranch_execnz .LBB7_1187
	s_branch .LBB7_1188
.LBB7_1204:
	s_mov_b64 s[2:3], -1
                                        ; implicit-def: $vgpr1
	s_branch .LBB7_1209
.LBB7_1205:
	s_mov_b64 s[2:3], -1
                                        ; implicit-def: $vgpr1
.LBB7_1206:
	s_and_b64 vcc, exec, s[2:3]
	s_cbranch_vccz .LBB7_1208
; %bb.1207:
	global_load_ubyte v1, v[14:15], off
	s_mov_b32 s2, 0x7f800000
	s_waitcnt vmcnt(0)
	v_lshlrev_b32_e32 v1, 24, v1
	v_and_b32_e32 v3, 0x7f000000, v1
	v_ffbh_u32_e32 v5, v3
	v_min_u32_e32 v5, 32, v5
	v_sub_u32_e64 v5, v5, 4 clamp
	v_lshlrev_b32_e32 v9, v5, v3
	v_lshlrev_b32_e32 v5, 23, v5
	v_lshrrev_b32_e32 v9, 4, v9
	v_add_u32_e32 v7, 0x1000000, v3
	v_sub_u32_e32 v5, v9, v5
	v_ashrrev_i32_e32 v7, 8, v7
	v_add_u32_e32 v5, 0x3c000000, v5
	v_and_or_b32 v5, v7, s2, v5
	v_cmp_ne_u32_e32 vcc, 0, v3
	v_cndmask_b32_e32 v3, 0, v5, vcc
	s_brev_b32 s2, 1
	v_and_or_b32 v1, v1, s2, v3
	v_cvt_f16_f32_e32 v1, v1
.LBB7_1208:
	s_mov_b64 s[2:3], 0
.LBB7_1209:
	s_andn2_b64 vcc, exec, s[2:3]
	s_cbranch_vccnz .LBB7_1211
; %bb.1210:
	global_load_ubyte v1, v[14:15], off
	s_movk_i32 s2, 0x7f00
	s_brev_b32 s3, 16
	s_waitcnt vmcnt(0)
	v_lshlrev_b16_e32 v3, 8, v1
	v_lshlrev_b32_e32 v1, 25, v1
	v_lshrrev_b32_e32 v5, 4, v1
	v_and_or_b32 v7, v3, s2, 0.5
	v_or_b32_e32 v5, 0x70000000, v5
	v_add_f32_e32 v7, -0.5, v7
	v_mul_f32_e32 v5, 0x7800000, v5
	v_cmp_gt_u32_e32 vcc, s3, v1
	v_bfe_i32 v3, v3, 0, 16
	v_cndmask_b32_e32 v1, v5, v7, vcc
	s_brev_b32 s2, 1
	v_and_or_b32 v1, v3, s2, v1
	v_cvt_f16_f32_e32 v1, v1
.LBB7_1211:
	s_mov_b64 s[12:13], -1
	s_mov_b64 s[6:7], 0
	s_cbranch_execnz .LBB7_1222
.LBB7_1212:
	v_mov_b32_e32 v1, 14
	v_cmp_gt_i16_sdwa s[2:3], s18, v1 src0_sel:BYTE_0 src1_sel:DWORD
	s_and_b64 vcc, exec, s[2:3]
	s_cbranch_vccz .LBB7_1215
; %bb.1213:
	v_mov_b32_e32 v1, 15
	v_cmp_eq_u16_sdwa s[0:1], s18, v1 src0_sel:BYTE_0 src1_sel:DWORD
	s_and_b64 vcc, exec, s[0:1]
	s_cbranch_vccz .LBB7_1218
; %bb.1214:
	global_load_ushort v1, v[14:15], off
	s_mov_b64 s[0:1], 0
	s_mov_b64 s[12:13], -1
	s_waitcnt vmcnt(0)
	v_lshlrev_b32_e32 v1, 16, v1
	v_cvt_f16_f32_e32 v1, v1
	s_branch .LBB7_1219
.LBB7_1215:
	s_mov_b64 s[2:3], -1
                                        ; implicit-def: $vgpr1
	s_branch .LBB7_1220
.LBB7_1216:
	s_or_saveexec_b64 s[6:7], s[6:7]
	v_mov_b32_e32 v1, s14
	s_xor_b64 exec, exec, s[6:7]
	s_cbranch_execz .LBB7_1198
.LBB7_1217:
	v_cmp_ne_u16_e32 vcc, 0, v3
	s_andn2_b64 s[2:3], s[2:3], exec
	s_and_b64 s[12:13], vcc, exec
	s_or_b64 s[2:3], s[2:3], s[12:13]
	v_mov_b32_e32 v1, v3
	s_or_b64 exec, exec, s[6:7]
	s_and_saveexec_b64 s[6:7], s[2:3]
	s_cbranch_execnz .LBB7_1199
	s_branch .LBB7_1200
.LBB7_1218:
	s_mov_b64 s[0:1], -1
                                        ; implicit-def: $vgpr1
.LBB7_1219:
	s_mov_b64 s[2:3], 0
.LBB7_1220:
	s_and_b64 vcc, exec, s[2:3]
	s_cbranch_vccz .LBB7_1222
; %bb.1221:
	v_mov_b32_e32 v1, 11
	v_cmp_ne_u16_sdwa s[0:1], s18, v1 src0_sel:BYTE_0 src1_sel:DWORD
	s_mov_b64 s[6:7], -1
                                        ; implicit-def: $vgpr1
.LBB7_1222:
	s_and_b64 vcc, exec, s[0:1]
	s_mov_b64 s[2:3], s[28:29]
	s_cbranch_vccnz .LBB7_1283
; %bb.1223:
	s_andn2_b64 vcc, exec, s[6:7]
	s_cbranch_vccnz .LBB7_1225
.LBB7_1224:
	global_load_ubyte v1, v[14:15], off
	v_mov_b32_e32 v3, 0x3c00
	s_mov_b64 s[12:13], -1
	s_waitcnt vmcnt(0)
	v_cmp_ne_u16_e32 vcc, 0, v1
	v_cndmask_b32_e32 v1, 0, v3, vcc
.LBB7_1225:
	s_branch .LBB7_1155
.LBB7_1226:
	v_mov_b32_e32 v1, 5
	v_cmp_lt_i16_sdwa s[0:1], s18, v1 src0_sel:BYTE_0 src1_sel:DWORD
	s_and_b64 vcc, exec, s[0:1]
	s_cbranch_vccnz .LBB7_1231
; %bb.1227:
	v_mov_b32_e32 v1, 8
	v_cmp_lt_i16_sdwa s[0:1], s18, v1 src0_sel:BYTE_0 src1_sel:DWORD
	s_and_b64 vcc, exec, s[0:1]
	s_cbranch_vccnz .LBB7_1232
; %bb.1228:
	;; [unrolled: 5-line block ×3, first 2 shown]
	v_cmp_gt_i16_sdwa s[0:1], s18, v1 src0_sel:BYTE_0 src1_sel:DWORD
	s_and_b64 vcc, exec, s[0:1]
	s_cbranch_vccz .LBB7_1234
; %bb.1230:
	global_load_dwordx2 v[16:17], v[14:15], off
	s_mov_b64 s[0:1], 0
	s_waitcnt vmcnt(0)
	v_cvt_f32_f64_e32 v1, v[16:17]
	v_cvt_f16_f32_e32 v1, v1
	s_branch .LBB7_1235
.LBB7_1231:
                                        ; implicit-def: $vgpr1
	s_branch .LBB7_1252
.LBB7_1232:
                                        ; implicit-def: $vgpr1
	s_branch .LBB7_1241
.LBB7_1233:
	s_mov_b64 s[0:1], -1
                                        ; implicit-def: $vgpr1
	s_branch .LBB7_1238
.LBB7_1234:
	s_mov_b64 s[0:1], -1
                                        ; implicit-def: $vgpr1
.LBB7_1235:
	s_andn2_b64 vcc, exec, s[0:1]
	s_cbranch_vccnz .LBB7_1237
; %bb.1236:
	global_load_dword v1, v[14:15], off
	s_waitcnt vmcnt(0)
	v_cvt_f16_f32_e32 v1, v1
.LBB7_1237:
	s_mov_b64 s[0:1], 0
.LBB7_1238:
	s_andn2_b64 vcc, exec, s[0:1]
	s_cbranch_vccnz .LBB7_1240
; %bb.1239:
	global_load_dword v1, v[14:15], off
.LBB7_1240:
	s_cbranch_execnz .LBB7_1251
.LBB7_1241:
	s_waitcnt vmcnt(0)
	v_mov_b32_e32 v1, 6
	v_cmp_lt_i16_sdwa s[0:1], s18, v1 src0_sel:BYTE_0 src1_sel:DWORD
	s_and_b64 vcc, exec, s[0:1]
	s_cbranch_vccnz .LBB7_1244
; %bb.1242:
	v_cmp_gt_i16_sdwa s[0:1], s18, v1 src0_sel:BYTE_0 src1_sel:DWORD
	s_and_b64 vcc, exec, s[0:1]
	s_cbranch_vccz .LBB7_1245
; %bb.1243:
	global_load_dwordx2 v[16:17], v[14:15], off
	s_mov_b64 s[0:1], 0
	s_waitcnt vmcnt(0)
	v_cvt_f32_f64_e32 v1, v[16:17]
	v_cvt_f16_f32_e32 v1, v1
	s_branch .LBB7_1246
.LBB7_1244:
	s_mov_b64 s[0:1], -1
                                        ; implicit-def: $vgpr1
	s_branch .LBB7_1249
.LBB7_1245:
	s_mov_b64 s[0:1], -1
                                        ; implicit-def: $vgpr1
.LBB7_1246:
	s_andn2_b64 vcc, exec, s[0:1]
	s_cbranch_vccnz .LBB7_1248
; %bb.1247:
	global_load_dword v1, v[14:15], off
	s_waitcnt vmcnt(0)
	v_cvt_f16_f32_e32 v1, v1
.LBB7_1248:
	s_mov_b64 s[0:1], 0
.LBB7_1249:
	s_andn2_b64 vcc, exec, s[0:1]
	s_cbranch_vccnz .LBB7_1251
; %bb.1250:
	global_load_ushort v1, v[14:15], off
.LBB7_1251:
	s_cbranch_execnz .LBB7_1270
.LBB7_1252:
	s_waitcnt vmcnt(0)
	v_mov_b32_e32 v1, 2
	v_cmp_lt_i16_sdwa s[0:1], s18, v1 src0_sel:BYTE_0 src1_sel:DWORD
	s_and_b64 vcc, exec, s[0:1]
	s_cbranch_vccnz .LBB7_1256
; %bb.1253:
	v_mov_b32_e32 v1, 3
	v_cmp_lt_i16_sdwa s[0:1], s18, v1 src0_sel:BYTE_0 src1_sel:DWORD
	s_and_b64 vcc, exec, s[0:1]
	s_cbranch_vccnz .LBB7_1257
; %bb.1254:
	v_cmp_gt_i16_sdwa s[0:1], s18, v1 src0_sel:BYTE_0 src1_sel:DWORD
	s_and_b64 vcc, exec, s[0:1]
	s_cbranch_vccz .LBB7_1258
; %bb.1255:
	global_load_dwordx2 v[16:17], v[14:15], off
	s_mov_b64 s[0:1], 0
	s_waitcnt vmcnt(0)
	v_xor_b32_e32 v3, v16, v17
	v_ffbh_i32_e32 v1, v17
	v_ashrrev_i32_e32 v3, 31, v3
	v_add_u32_e32 v1, -1, v1
	v_add_u32_e32 v3, 32, v3
	v_min_u32_e32 v1, v1, v3
	v_lshlrev_b64 v[16:17], v1, v[16:17]
	v_min_u32_e32 v3, 1, v16
	v_or_b32_e32 v3, v17, v3
	v_cvt_f32_i32_e32 v3, v3
	v_sub_u32_e32 v1, 32, v1
	v_ldexp_f32 v1, v3, v1
	v_cvt_f16_f32_e32 v1, v1
	s_branch .LBB7_1259
.LBB7_1256:
                                        ; implicit-def: $vgpr1
	s_branch .LBB7_1265
.LBB7_1257:
	s_mov_b64 s[0:1], -1
                                        ; implicit-def: $vgpr1
	s_branch .LBB7_1262
.LBB7_1258:
	s_mov_b64 s[0:1], -1
                                        ; implicit-def: $vgpr1
.LBB7_1259:
	s_andn2_b64 vcc, exec, s[0:1]
	s_cbranch_vccnz .LBB7_1261
; %bb.1260:
	global_load_dword v1, v[14:15], off
	s_waitcnt vmcnt(0)
	v_cvt_f32_i32_e32 v1, v1
	v_cvt_f16_f32_e32 v1, v1
.LBB7_1261:
	s_mov_b64 s[0:1], 0
.LBB7_1262:
	s_andn2_b64 vcc, exec, s[0:1]
	s_cbranch_vccnz .LBB7_1264
; %bb.1263:
	global_load_ushort v1, v[14:15], off
	s_waitcnt vmcnt(0)
	v_cvt_f16_i16_e32 v1, v1
.LBB7_1264:
	s_cbranch_execnz .LBB7_1270
.LBB7_1265:
	v_mov_b32_e32 v1, 0
	v_cmp_gt_i16_sdwa s[0:1], s18, v1 src0_sel:BYTE_0 src1_sel:DWORD
	s_and_b64 vcc, exec, s[0:1]
	s_cbranch_vccz .LBB7_1267
; %bb.1266:
	global_load_sbyte v1, v[14:15], off
	s_mov_b64 s[0:1], 0
	s_waitcnt vmcnt(0)
	v_cvt_f16_i16_e32 v1, v1
	s_branch .LBB7_1268
.LBB7_1267:
	s_mov_b64 s[0:1], -1
                                        ; implicit-def: $vgpr1
.LBB7_1268:
	s_andn2_b64 vcc, exec, s[0:1]
	s_cbranch_vccnz .LBB7_1270
; %bb.1269:
	global_load_ubyte v1, v[14:15], off
	s_waitcnt vmcnt(0)
	v_cvt_f16_u16_e32 v1, v1
.LBB7_1270:
.LBB7_1271:
	v_mov_b32_e32 v3, s11
	v_add_co_u32_e32 v12, vcc, s10, v12
	v_addc_co_u32_e32 v13, vcc, 0, v3, vcc
	v_mov_b32_e32 v3, 11
	v_cmp_lt_i16_sdwa s[0:1], s18, v3 src0_sel:BYTE_0 src1_sel:DWORD
	s_and_b64 vcc, exec, s[0:1]
	s_cbranch_vccnz .LBB7_1278
; %bb.1272:
	v_mov_b32_e32 v3, 25
	v_cmp_gt_i16_sdwa s[0:1], s18, v3 src0_sel:BYTE_0 src1_sel:DWORD
	s_mov_b64 s[6:7], 0
	s_and_b64 vcc, exec, s[0:1]
	s_cbranch_vccz .LBB7_1280
; %bb.1273:
	v_mov_b32_e32 v3, 28
	v_cmp_gt_i16_sdwa s[0:1], s18, v3 src0_sel:BYTE_0 src1_sel:DWORD
	s_and_b64 vcc, exec, s[0:1]
	s_cbranch_vccz .LBB7_1281
; %bb.1274:
	v_mov_b32_e32 v3, 43
	v_cmp_gt_i16_sdwa s[0:1], s18, v3 src0_sel:BYTE_0 src1_sel:DWORD
	;; [unrolled: 5-line block ×3, first 2 shown]
	s_and_b64 vcc, exec, s[0:1]
	s_cbranch_vccz .LBB7_1284
; %bb.1276:
	v_mov_b32_e32 v3, 46
	v_cmp_eq_u16_sdwa s[0:1], s18, v3 src0_sel:BYTE_0 src1_sel:DWORD
	s_mov_b64 s[14:15], 0
	s_and_b64 vcc, exec, s[0:1]
	s_cbranch_vccz .LBB7_1287
; %bb.1277:
	global_load_dword v3, v[12:13], off
	s_mov_b64 s[0:1], 0
	s_mov_b64 s[12:13], -1
	s_waitcnt vmcnt(0)
	v_lshlrev_b32_e32 v3, 16, v3
	v_cvt_f16_f32_e32 v3, v3
	s_branch .LBB7_1288
.LBB7_1278:
	s_mov_b64 s[12:13], 0
                                        ; implicit-def: $vgpr3
	s_cbranch_execnz .LBB7_1353
.LBB7_1279:
	s_andn2_b64 vcc, exec, s[12:13]
	s_cbranch_vccnz .LBB7_1666
	s_branch .LBB7_1400
.LBB7_1280:
	s_mov_b64 s[12:13], 0
	s_mov_b64 s[0:1], 0
                                        ; implicit-def: $vgpr3
	s_cbranch_execnz .LBB7_1317
	s_branch .LBB7_1349
.LBB7_1281:
	s_mov_b64 s[14:15], -1
	s_mov_b64 s[12:13], 0
	s_mov_b64 s[0:1], 0
                                        ; implicit-def: $vgpr3
	s_branch .LBB7_1298
.LBB7_1282:
	s_mov_b64 s[14:15], -1
	s_mov_b64 s[12:13], 0
	s_mov_b64 s[0:1], 0
                                        ; implicit-def: $vgpr3
	s_branch .LBB7_1293
.LBB7_1283:
	s_or_b64 s[2:3], s[28:29], exec
	s_trap 2
                                        ; implicit-def: $vgpr1
	s_cbranch_execz .LBB7_1224
	s_branch .LBB7_1225
.LBB7_1284:
	s_mov_b64 s[14:15], -1
	s_mov_b64 s[12:13], 0
	s_mov_b64 s[0:1], 0
                                        ; implicit-def: $vgpr3
	s_branch .LBB7_1288
.LBB7_1285:
	s_or_saveexec_b64 s[16:17], s[16:17]
                                        ; implicit-def: $sgpr18
	s_xor_b64 exec, exec, s[16:17]
	s_cbranch_execz .LBB7_1015
.LBB7_1286:
	s_mov_b32 s18, 0x42800000
	v_add_f32_e64 v5, |v0|, s18
	v_and_b32_e32 v5, 0xff, v5
	v_cmp_ne_u32_e32 vcc, 0, v5
	s_andn2_b64 s[14:15], s[14:15], exec
	s_and_b64 s[20:21], vcc, exec
	s_mov_b32 s18, 0
	s_or_b64 s[14:15], s[14:15], s[20:21]
	s_or_b64 exec, exec, s[16:17]
	v_mov_b32_e32 v7, s18
	s_and_saveexec_b64 s[16:17], s[14:15]
	s_cbranch_execnz .LBB7_1016
	s_branch .LBB7_1017
.LBB7_1287:
	s_mov_b64 s[0:1], -1
                                        ; implicit-def: $vgpr3
	s_mov_b64 s[12:13], 0
.LBB7_1288:
	s_and_b64 vcc, exec, s[14:15]
	s_cbranch_vccz .LBB7_1292
; %bb.1289:
	v_mov_b32_e32 v3, 44
	v_cmp_eq_u16_sdwa s[0:1], s18, v3 src0_sel:BYTE_0 src1_sel:DWORD
	s_and_b64 vcc, exec, s[0:1]
	s_cbranch_vccz .LBB7_1291
; %bb.1290:
	global_load_ubyte v3, v[12:13], off
	s_movk_i32 s12, 0xff
	v_mov_b32_e32 v7, 0x7e00
	s_mov_b64 s[0:1], 0
	s_waitcnt vmcnt(0)
	v_lshlrev_b32_e32 v5, 23, v3
	v_cvt_f16_f32_e32 v5, v5
	v_cmp_ne_u32_e32 vcc, s12, v3
	s_mov_b64 s[12:13], -1
	v_cndmask_b32_e32 v5, v7, v5, vcc
	v_cmp_ne_u32_e32 vcc, 0, v3
	v_cndmask_b32_e32 v3, 0, v5, vcc
	s_branch .LBB7_1292
.LBB7_1291:
	s_mov_b64 s[0:1], -1
                                        ; implicit-def: $vgpr3
.LBB7_1292:
	s_mov_b64 s[14:15], 0
.LBB7_1293:
	s_and_b64 vcc, exec, s[14:15]
	s_cbranch_vccz .LBB7_1297
; %bb.1294:
	v_mov_b32_e32 v3, 29
	v_cmp_eq_u16_sdwa s[0:1], s18, v3 src0_sel:BYTE_0 src1_sel:DWORD
	s_and_b64 vcc, exec, s[0:1]
	s_cbranch_vccz .LBB7_1296
; %bb.1295:
	global_load_dwordx2 v[14:15], v[12:13], off
	s_mov_b64 s[0:1], 0
	s_mov_b64 s[12:13], -1
	s_mov_b64 s[14:15], 0
	s_waitcnt vmcnt(0)
	v_ffbh_u32_e32 v3, v15
	v_min_u32_e32 v3, 32, v3
	v_lshlrev_b64 v[14:15], v3, v[14:15]
	v_min_u32_e32 v5, 1, v14
	v_or_b32_e32 v5, v15, v5
	v_cvt_f32_u32_e32 v5, v5
	v_sub_u32_e32 v3, 32, v3
	v_ldexp_f32 v3, v5, v3
	v_cvt_f16_f32_e32 v3, v3
	s_branch .LBB7_1298
.LBB7_1296:
	s_mov_b64 s[0:1], -1
                                        ; implicit-def: $vgpr3
.LBB7_1297:
	s_mov_b64 s[14:15], 0
.LBB7_1298:
	s_and_b64 vcc, exec, s[14:15]
	s_cbranch_vccz .LBB7_1316
; %bb.1299:
	v_mov_b32_e32 v3, 27
	v_cmp_lt_i16_sdwa s[12:13], s18, v3 src0_sel:BYTE_0 src1_sel:DWORD
	s_and_b64 vcc, exec, s[12:13]
	s_cbranch_vccnz .LBB7_1302
; %bb.1300:
	v_cmp_gt_i16_sdwa s[12:13], s18, v3 src0_sel:BYTE_0 src1_sel:DWORD
	s_and_b64 vcc, exec, s[12:13]
	s_cbranch_vccz .LBB7_1303
; %bb.1301:
	global_load_dword v3, v[12:13], off
	s_mov_b64 s[12:13], 0
	s_waitcnt vmcnt(0)
	v_cvt_f32_u32_e32 v3, v3
	v_cvt_f16_f32_e32 v3, v3
	s_branch .LBB7_1304
.LBB7_1302:
	s_mov_b64 s[12:13], -1
                                        ; implicit-def: $vgpr3
	s_branch .LBB7_1307
.LBB7_1303:
	s_mov_b64 s[12:13], -1
                                        ; implicit-def: $vgpr3
.LBB7_1304:
	s_andn2_b64 vcc, exec, s[12:13]
	s_cbranch_vccnz .LBB7_1306
; %bb.1305:
	global_load_ushort v3, v[12:13], off
	s_waitcnt vmcnt(0)
	v_cvt_f16_u16_e32 v3, v3
.LBB7_1306:
	s_mov_b64 s[12:13], 0
.LBB7_1307:
	s_andn2_b64 vcc, exec, s[12:13]
	s_cbranch_vccnz .LBB7_1315
; %bb.1308:
	global_load_ubyte v5, v[12:13], off
	s_movk_i32 s12, 0x7f
                                        ; implicit-def: $sgpr19
	s_waitcnt vmcnt(0)
	v_cmp_lt_i16_e32 vcc, s12, v5
	s_mov_b64 s[12:13], 0
	s_and_saveexec_b64 s[14:15], vcc
	s_xor_b64 s[14:15], exec, s[14:15]
	s_cbranch_execz .LBB7_1328
; %bb.1309:
	s_movk_i32 s12, 0x80
	v_cmp_eq_u16_e32 vcc, s12, v5
	s_mov_b64 s[12:13], -1
                                        ; implicit-def: $sgpr19
	s_and_saveexec_b64 s[16:17], vcc
; %bb.1310:
	s_movk_i32 s19, 0x7e00
	s_xor_b64 s[12:13], exec, -1
; %bb.1311:
	s_or_b64 exec, exec, s[16:17]
	s_and_b64 s[12:13], s[12:13], exec
	s_or_saveexec_b64 s[14:15], s[14:15]
	v_mov_b32_e32 v3, s19
	s_xor_b64 exec, exec, s[14:15]
	s_cbranch_execnz .LBB7_1329
.LBB7_1312:
	s_or_b64 exec, exec, s[14:15]
	s_and_saveexec_b64 s[14:15], s[12:13]
	s_cbranch_execz .LBB7_1314
.LBB7_1313:
	v_lshlrev_b32_e32 v3, 24, v5
	v_and_b32_e32 v5, 0xffff, v5
	v_and_b32_e32 v7, 7, v5
	v_ffbh_u32_e32 v11, v7
	v_min_u32_e32 v11, 32, v11
	v_subrev_u32_e32 v14, 28, v11
	v_bfe_u32 v9, v5, 3, 4
	v_lshlrev_b32_e32 v5, v14, v5
	v_sub_u32_e32 v11, 29, v11
	v_and_b32_e32 v5, 7, v5
	v_cmp_eq_u32_e32 vcc, 0, v9
	v_cndmask_b32_e32 v9, v9, v11, vcc
	v_cndmask_b32_e32 v5, v7, v5, vcc
	v_mov_b32_e32 v7, 0x3b800000
	v_lshlrev_b32_e32 v5, 20, v5
	v_and_b32_e32 v3, 0x80000000, v3
	v_lshl_add_u32 v7, v9, 23, v7
	v_or3_b32 v3, v3, v7, v5
	v_cvt_f16_f32_e32 v3, v3
.LBB7_1314:
	s_or_b64 exec, exec, s[14:15]
.LBB7_1315:
	s_mov_b64 s[12:13], -1
.LBB7_1316:
	s_branch .LBB7_1349
.LBB7_1317:
	v_mov_b32_e32 v3, 22
	v_cmp_gt_i16_sdwa s[6:7], s18, v3 src0_sel:BYTE_0 src1_sel:DWORD
	s_and_b64 vcc, exec, s[6:7]
	s_cbranch_vccz .LBB7_1327
; %bb.1318:
	v_mov_b32_e32 v3, 24
	v_cmp_lt_i16_sdwa s[6:7], s18, v3 src0_sel:BYTE_0 src1_sel:DWORD
	s_and_b64 vcc, exec, s[6:7]
	s_cbranch_vccnz .LBB7_1330
; %bb.1319:
	v_cmp_gt_i16_sdwa s[6:7], s18, v3 src0_sel:BYTE_0 src1_sel:DWORD
	s_and_b64 vcc, exec, s[6:7]
	s_cbranch_vccz .LBB7_1331
; %bb.1320:
	global_load_ubyte v5, v[12:13], off
	s_movk_i32 s6, 0x7f
                                        ; implicit-def: $sgpr16
	s_waitcnt vmcnt(0)
	v_cmp_lt_i16_e32 vcc, s6, v5
	s_mov_b64 s[6:7], 0
	s_and_saveexec_b64 s[12:13], vcc
	s_xor_b64 s[12:13], exec, s[12:13]
	s_cbranch_execz .LBB7_1343
; %bb.1321:
	s_movk_i32 s6, 0x80
	v_cmp_eq_u16_e32 vcc, s6, v5
	s_mov_b64 s[6:7], -1
                                        ; implicit-def: $sgpr16
	s_and_saveexec_b64 s[14:15], vcc
; %bb.1322:
	s_movk_i32 s16, 0x7e00
	s_xor_b64 s[6:7], exec, -1
; %bb.1323:
	s_or_b64 exec, exec, s[14:15]
	s_and_b64 s[6:7], s[6:7], exec
	s_or_saveexec_b64 s[12:13], s[12:13]
	v_mov_b32_e32 v3, s16
	s_xor_b64 exec, exec, s[12:13]
	s_cbranch_execnz .LBB7_1344
.LBB7_1324:
	s_or_b64 exec, exec, s[12:13]
	s_and_saveexec_b64 s[12:13], s[6:7]
	s_cbranch_execz .LBB7_1326
.LBB7_1325:
	v_lshlrev_b32_e32 v3, 24, v5
	v_and_b32_e32 v5, 0xffff, v5
	v_and_b32_e32 v7, 3, v5
	v_ffbh_u32_e32 v11, v7
	v_min_u32_e32 v11, 32, v11
	v_subrev_u32_e32 v14, 29, v11
	v_bfe_u32 v9, v5, 2, 5
	v_lshlrev_b32_e32 v5, v14, v5
	v_sub_u32_e32 v11, 30, v11
	v_and_b32_e32 v5, 3, v5
	v_cmp_eq_u32_e32 vcc, 0, v9
	v_cndmask_b32_e32 v9, v9, v11, vcc
	v_cndmask_b32_e32 v5, v7, v5, vcc
	v_mov_b32_e32 v7, 0x37800000
	v_lshlrev_b32_e32 v5, 21, v5
	v_and_b32_e32 v3, 0x80000000, v3
	v_lshl_add_u32 v7, v9, 23, v7
	v_or3_b32 v3, v3, v7, v5
	v_cvt_f16_f32_e32 v3, v3
.LBB7_1326:
	s_or_b64 exec, exec, s[12:13]
	s_mov_b64 s[6:7], 0
	s_branch .LBB7_1332
.LBB7_1327:
	s_mov_b64 s[6:7], -1
                                        ; implicit-def: $vgpr3
	s_branch .LBB7_1338
.LBB7_1328:
	s_or_saveexec_b64 s[14:15], s[14:15]
	v_mov_b32_e32 v3, s19
	s_xor_b64 exec, exec, s[14:15]
	s_cbranch_execz .LBB7_1312
.LBB7_1329:
	v_cmp_ne_u16_e32 vcc, 0, v5
	s_andn2_b64 s[12:13], s[12:13], exec
	s_and_b64 s[16:17], vcc, exec
	s_or_b64 s[12:13], s[12:13], s[16:17]
	v_mov_b32_e32 v3, v5
	s_or_b64 exec, exec, s[14:15]
	s_and_saveexec_b64 s[14:15], s[12:13]
	s_cbranch_execnz .LBB7_1313
	s_branch .LBB7_1314
.LBB7_1330:
	s_mov_b64 s[6:7], -1
                                        ; implicit-def: $vgpr3
	s_branch .LBB7_1335
.LBB7_1331:
	s_mov_b64 s[6:7], -1
                                        ; implicit-def: $vgpr3
.LBB7_1332:
	s_and_b64 vcc, exec, s[6:7]
	s_cbranch_vccz .LBB7_1334
; %bb.1333:
	global_load_ubyte v3, v[12:13], off
	s_mov_b32 s6, 0x7f800000
	s_waitcnt vmcnt(0)
	v_lshlrev_b32_e32 v3, 24, v3
	v_and_b32_e32 v5, 0x7f000000, v3
	v_ffbh_u32_e32 v7, v5
	v_min_u32_e32 v7, 32, v7
	v_sub_u32_e64 v7, v7, 4 clamp
	v_lshlrev_b32_e32 v11, v7, v5
	v_lshlrev_b32_e32 v7, 23, v7
	v_lshrrev_b32_e32 v11, 4, v11
	v_add_u32_e32 v9, 0x1000000, v5
	v_sub_u32_e32 v7, v11, v7
	v_ashrrev_i32_e32 v9, 8, v9
	v_add_u32_e32 v7, 0x3c000000, v7
	v_and_or_b32 v7, v9, s6, v7
	v_cmp_ne_u32_e32 vcc, 0, v5
	v_cndmask_b32_e32 v5, 0, v7, vcc
	s_brev_b32 s6, 1
	v_and_or_b32 v3, v3, s6, v5
	v_cvt_f16_f32_e32 v3, v3
.LBB7_1334:
	s_mov_b64 s[6:7], 0
.LBB7_1335:
	s_andn2_b64 vcc, exec, s[6:7]
	s_cbranch_vccnz .LBB7_1337
; %bb.1336:
	global_load_ubyte v3, v[12:13], off
	s_movk_i32 s6, 0x7f00
	s_brev_b32 s7, 16
	s_waitcnt vmcnt(0)
	v_lshlrev_b16_e32 v5, 8, v3
	v_lshlrev_b32_e32 v3, 25, v3
	v_lshrrev_b32_e32 v7, 4, v3
	v_and_or_b32 v9, v5, s6, 0.5
	v_or_b32_e32 v7, 0x70000000, v7
	v_add_f32_e32 v9, -0.5, v9
	v_mul_f32_e32 v7, 0x7800000, v7
	v_cmp_gt_u32_e32 vcc, s7, v3
	v_bfe_i32 v5, v5, 0, 16
	v_cndmask_b32_e32 v3, v7, v9, vcc
	s_brev_b32 s6, 1
	v_and_or_b32 v3, v5, s6, v3
	v_cvt_f16_f32_e32 v3, v3
.LBB7_1337:
	s_mov_b64 s[6:7], 0
	s_mov_b64 s[12:13], -1
.LBB7_1338:
	s_andn2_b64 vcc, exec, s[6:7]
	s_mov_b64 s[6:7], 0
	s_cbranch_vccnz .LBB7_1349
; %bb.1339:
	v_mov_b32_e32 v3, 14
	v_cmp_gt_i16_sdwa s[6:7], s18, v3 src0_sel:BYTE_0 src1_sel:DWORD
	s_and_b64 vcc, exec, s[6:7]
	s_cbranch_vccz .LBB7_1342
; %bb.1340:
	v_mov_b32_e32 v3, 15
	v_cmp_eq_u16_sdwa s[0:1], s18, v3 src0_sel:BYTE_0 src1_sel:DWORD
	s_and_b64 vcc, exec, s[0:1]
	s_cbranch_vccz .LBB7_1345
; %bb.1341:
	global_load_ushort v3, v[12:13], off
	s_mov_b64 s[0:1], 0
	s_mov_b64 s[12:13], -1
	s_waitcnt vmcnt(0)
	v_lshlrev_b32_e32 v3, 16, v3
	v_cvt_f16_f32_e32 v3, v3
	s_branch .LBB7_1346
.LBB7_1342:
	s_mov_b64 s[14:15], -1
                                        ; implicit-def: $vgpr3
	s_branch .LBB7_1347
.LBB7_1343:
	s_or_saveexec_b64 s[12:13], s[12:13]
	v_mov_b32_e32 v3, s16
	s_xor_b64 exec, exec, s[12:13]
	s_cbranch_execz .LBB7_1324
.LBB7_1344:
	v_cmp_ne_u16_e32 vcc, 0, v5
	s_andn2_b64 s[6:7], s[6:7], exec
	s_and_b64 s[14:15], vcc, exec
	s_or_b64 s[6:7], s[6:7], s[14:15]
	v_mov_b32_e32 v3, v5
	s_or_b64 exec, exec, s[12:13]
	s_and_saveexec_b64 s[12:13], s[6:7]
	s_cbranch_execnz .LBB7_1325
	s_branch .LBB7_1326
.LBB7_1345:
	s_mov_b64 s[0:1], -1
                                        ; implicit-def: $vgpr3
.LBB7_1346:
	s_mov_b64 s[14:15], 0
.LBB7_1347:
	s_mov_b64 s[6:7], 0
	s_and_b64 vcc, exec, s[14:15]
	s_cbranch_vccz .LBB7_1349
; %bb.1348:
	v_mov_b32_e32 v3, 11
	v_cmp_ne_u16_sdwa s[0:1], s18, v3 src0_sel:BYTE_0 src1_sel:DWORD
	s_mov_b64 s[6:7], -1
                                        ; implicit-def: $vgpr3
.LBB7_1349:
	s_and_b64 vcc, exec, s[0:1]
	s_cbranch_vccnz .LBB7_1412
; %bb.1350:
	s_andn2_b64 vcc, exec, s[6:7]
	s_cbranch_vccnz .LBB7_1352
.LBB7_1351:
	global_load_ubyte v3, v[12:13], off
	v_mov_b32_e32 v5, 0x3c00
	s_mov_b64 s[12:13], -1
	s_waitcnt vmcnt(0)
	v_cmp_ne_u16_e32 vcc, 0, v3
	v_cndmask_b32_e32 v3, 0, v5, vcc
.LBB7_1352:
	s_branch .LBB7_1279
.LBB7_1353:
	v_mov_b32_e32 v3, 5
	v_cmp_lt_i16_sdwa s[0:1], s18, v3 src0_sel:BYTE_0 src1_sel:DWORD
	s_and_b64 vcc, exec, s[0:1]
	s_cbranch_vccnz .LBB7_1358
; %bb.1354:
	v_mov_b32_e32 v3, 8
	v_cmp_lt_i16_sdwa s[0:1], s18, v3 src0_sel:BYTE_0 src1_sel:DWORD
	s_and_b64 vcc, exec, s[0:1]
	s_cbranch_vccnz .LBB7_1359
; %bb.1355:
	;; [unrolled: 5-line block ×3, first 2 shown]
	v_cmp_gt_i16_sdwa s[0:1], s18, v3 src0_sel:BYTE_0 src1_sel:DWORD
	s_and_b64 vcc, exec, s[0:1]
	s_cbranch_vccz .LBB7_1361
; %bb.1357:
	global_load_dwordx2 v[14:15], v[12:13], off
	s_mov_b64 s[0:1], 0
	s_waitcnt vmcnt(0)
	v_cvt_f32_f64_e32 v3, v[14:15]
	v_cvt_f16_f32_e32 v3, v3
	s_branch .LBB7_1362
.LBB7_1358:
                                        ; implicit-def: $vgpr3
	s_branch .LBB7_1380
.LBB7_1359:
	s_mov_b64 s[0:1], -1
                                        ; implicit-def: $vgpr3
	s_branch .LBB7_1368
.LBB7_1360:
	s_mov_b64 s[0:1], -1
                                        ; implicit-def: $vgpr3
	s_branch .LBB7_1365
.LBB7_1361:
	s_mov_b64 s[0:1], -1
                                        ; implicit-def: $vgpr3
.LBB7_1362:
	s_andn2_b64 vcc, exec, s[0:1]
	s_cbranch_vccnz .LBB7_1364
; %bb.1363:
	global_load_dword v3, v[12:13], off
	s_waitcnt vmcnt(0)
	v_cvt_f16_f32_e32 v3, v3
.LBB7_1364:
	s_mov_b64 s[0:1], 0
.LBB7_1365:
	s_andn2_b64 vcc, exec, s[0:1]
	s_cbranch_vccnz .LBB7_1367
; %bb.1366:
	global_load_dword v3, v[12:13], off
.LBB7_1367:
	s_mov_b64 s[0:1], 0
.LBB7_1368:
	s_andn2_b64 vcc, exec, s[0:1]
	s_cbranch_vccnz .LBB7_1379
; %bb.1369:
	s_waitcnt vmcnt(0)
	v_mov_b32_e32 v3, 6
	v_cmp_lt_i16_sdwa s[0:1], s18, v3 src0_sel:BYTE_0 src1_sel:DWORD
	s_and_b64 vcc, exec, s[0:1]
	s_cbranch_vccnz .LBB7_1372
; %bb.1370:
	v_cmp_gt_i16_sdwa s[0:1], s18, v3 src0_sel:BYTE_0 src1_sel:DWORD
	s_and_b64 vcc, exec, s[0:1]
	s_cbranch_vccz .LBB7_1373
; %bb.1371:
	global_load_dwordx2 v[14:15], v[12:13], off
	s_mov_b64 s[0:1], 0
	s_waitcnt vmcnt(0)
	v_cvt_f32_f64_e32 v3, v[14:15]
	v_cvt_f16_f32_e32 v3, v3
	s_branch .LBB7_1374
.LBB7_1372:
	s_mov_b64 s[0:1], -1
                                        ; implicit-def: $vgpr3
	s_branch .LBB7_1377
.LBB7_1373:
	s_mov_b64 s[0:1], -1
                                        ; implicit-def: $vgpr3
.LBB7_1374:
	s_andn2_b64 vcc, exec, s[0:1]
	s_cbranch_vccnz .LBB7_1376
; %bb.1375:
	global_load_dword v3, v[12:13], off
	s_waitcnt vmcnt(0)
	v_cvt_f16_f32_e32 v3, v3
.LBB7_1376:
	s_mov_b64 s[0:1], 0
.LBB7_1377:
	s_andn2_b64 vcc, exec, s[0:1]
	s_cbranch_vccnz .LBB7_1379
; %bb.1378:
	global_load_ushort v3, v[12:13], off
.LBB7_1379:
	s_cbranch_execnz .LBB7_1399
.LBB7_1380:
	s_waitcnt vmcnt(0)
	v_mov_b32_e32 v3, 2
	v_cmp_lt_i16_sdwa s[0:1], s18, v3 src0_sel:BYTE_0 src1_sel:DWORD
	s_and_b64 vcc, exec, s[0:1]
	s_cbranch_vccnz .LBB7_1384
; %bb.1381:
	v_mov_b32_e32 v3, 3
	v_cmp_lt_i16_sdwa s[0:1], s18, v3 src0_sel:BYTE_0 src1_sel:DWORD
	s_and_b64 vcc, exec, s[0:1]
	s_cbranch_vccnz .LBB7_1385
; %bb.1382:
	v_cmp_gt_i16_sdwa s[0:1], s18, v3 src0_sel:BYTE_0 src1_sel:DWORD
	s_and_b64 vcc, exec, s[0:1]
	s_cbranch_vccz .LBB7_1386
; %bb.1383:
	global_load_dwordx2 v[14:15], v[12:13], off
	s_mov_b64 s[0:1], 0
	s_waitcnt vmcnt(0)
	v_xor_b32_e32 v5, v14, v15
	v_ffbh_i32_e32 v3, v15
	v_ashrrev_i32_e32 v5, 31, v5
	v_add_u32_e32 v3, -1, v3
	v_add_u32_e32 v5, 32, v5
	v_min_u32_e32 v3, v3, v5
	v_lshlrev_b64 v[14:15], v3, v[14:15]
	v_min_u32_e32 v5, 1, v14
	v_or_b32_e32 v5, v15, v5
	v_cvt_f32_i32_e32 v5, v5
	v_sub_u32_e32 v3, 32, v3
	v_ldexp_f32 v3, v5, v3
	v_cvt_f16_f32_e32 v3, v3
	s_branch .LBB7_1387
.LBB7_1384:
	s_mov_b64 s[0:1], -1
                                        ; implicit-def: $vgpr3
	s_branch .LBB7_1393
.LBB7_1385:
	s_mov_b64 s[0:1], -1
                                        ; implicit-def: $vgpr3
	s_branch .LBB7_1390
.LBB7_1386:
	s_mov_b64 s[0:1], -1
                                        ; implicit-def: $vgpr3
.LBB7_1387:
	s_andn2_b64 vcc, exec, s[0:1]
	s_cbranch_vccnz .LBB7_1389
; %bb.1388:
	global_load_dword v3, v[12:13], off
	s_waitcnt vmcnt(0)
	v_cvt_f32_i32_e32 v3, v3
	v_cvt_f16_f32_e32 v3, v3
.LBB7_1389:
	s_mov_b64 s[0:1], 0
.LBB7_1390:
	s_andn2_b64 vcc, exec, s[0:1]
	s_cbranch_vccnz .LBB7_1392
; %bb.1391:
	global_load_ushort v3, v[12:13], off
	s_waitcnt vmcnt(0)
	v_cvt_f16_i16_e32 v3, v3
.LBB7_1392:
	s_mov_b64 s[0:1], 0
.LBB7_1393:
	s_andn2_b64 vcc, exec, s[0:1]
	s_cbranch_vccnz .LBB7_1399
; %bb.1394:
	v_mov_b32_e32 v3, 0
	v_cmp_gt_i16_sdwa s[0:1], s18, v3 src0_sel:BYTE_0 src1_sel:DWORD
	s_and_b64 vcc, exec, s[0:1]
	s_cbranch_vccz .LBB7_1396
; %bb.1395:
	global_load_sbyte v3, v[12:13], off
	s_mov_b64 s[0:1], 0
	s_waitcnt vmcnt(0)
	v_cvt_f16_i16_e32 v3, v3
	s_branch .LBB7_1397
.LBB7_1396:
	s_mov_b64 s[0:1], -1
                                        ; implicit-def: $vgpr3
.LBB7_1397:
	s_andn2_b64 vcc, exec, s[0:1]
	s_cbranch_vccnz .LBB7_1399
; %bb.1398:
	global_load_ubyte v3, v[12:13], off
	s_waitcnt vmcnt(0)
	v_cvt_f16_u16_e32 v3, v3
.LBB7_1399:
.LBB7_1400:
	v_mov_b32_e32 v5, s11
	v_add_co_u32_e32 v10, vcc, s10, v10
	v_addc_co_u32_e32 v11, vcc, 0, v5, vcc
	v_mov_b32_e32 v5, 11
	v_cmp_lt_i16_sdwa s[0:1], s18, v5 src0_sel:BYTE_0 src1_sel:DWORD
	s_and_b64 vcc, exec, s[0:1]
	s_cbranch_vccnz .LBB7_1407
; %bb.1401:
	v_mov_b32_e32 v5, 25
	v_cmp_gt_i16_sdwa s[0:1], s18, v5 src0_sel:BYTE_0 src1_sel:DWORD
	s_mov_b64 s[6:7], 0
	s_and_b64 vcc, exec, s[0:1]
	s_cbranch_vccz .LBB7_1409
; %bb.1402:
	v_mov_b32_e32 v5, 28
	v_cmp_gt_i16_sdwa s[0:1], s18, v5 src0_sel:BYTE_0 src1_sel:DWORD
	s_and_b64 vcc, exec, s[0:1]
	s_cbranch_vccz .LBB7_1410
; %bb.1403:
	v_mov_b32_e32 v5, 43
	v_cmp_gt_i16_sdwa s[0:1], s18, v5 src0_sel:BYTE_0 src1_sel:DWORD
	s_and_b64 vcc, exec, s[0:1]
	s_cbranch_vccz .LBB7_1411
; %bb.1404:
	v_mov_b32_e32 v5, 45
	v_cmp_gt_i16_sdwa s[0:1], s18, v5 src0_sel:BYTE_0 src1_sel:DWORD
	s_and_b64 vcc, exec, s[0:1]
	s_cbranch_vccz .LBB7_1413
; %bb.1405:
	v_mov_b32_e32 v5, 46
	v_cmp_eq_u16_sdwa s[0:1], s18, v5 src0_sel:BYTE_0 src1_sel:DWORD
	s_mov_b64 s[14:15], 0
	s_and_b64 vcc, exec, s[0:1]
	s_cbranch_vccz .LBB7_1414
; %bb.1406:
	global_load_dword v5, v[10:11], off
	s_mov_b64 s[0:1], 0
	s_mov_b64 s[12:13], -1
	s_waitcnt vmcnt(0)
	v_lshlrev_b32_e32 v5, 16, v5
	v_cvt_f16_f32_e32 v12, v5
	s_branch .LBB7_1415
.LBB7_1407:
	s_mov_b64 s[12:13], 0
                                        ; implicit-def: $vgpr12
	s_cbranch_execnz .LBB7_1481
.LBB7_1408:
	s_andn2_b64 vcc, exec, s[12:13]
	s_cbranch_vccnz .LBB7_1666
	s_branch .LBB7_1529
.LBB7_1409:
	s_mov_b64 s[14:15], -1
	s_mov_b64 s[12:13], 0
	s_mov_b64 s[0:1], 0
                                        ; implicit-def: $vgpr12
	s_branch .LBB7_1444
.LBB7_1410:
	s_mov_b64 s[14:15], -1
	s_mov_b64 s[12:13], 0
	s_mov_b64 s[0:1], 0
                                        ; implicit-def: $vgpr12
	s_branch .LBB7_1425
.LBB7_1411:
	s_mov_b64 s[14:15], -1
	s_mov_b64 s[12:13], 0
	s_mov_b64 s[0:1], 0
                                        ; implicit-def: $vgpr12
	s_branch .LBB7_1420
.LBB7_1412:
	s_trap 2
	s_or_b64 s[2:3], s[2:3], exec
                                        ; implicit-def: $vgpr3
	s_cbranch_execz .LBB7_1351
	s_branch .LBB7_1352
.LBB7_1413:
	s_mov_b64 s[14:15], -1
	s_mov_b64 s[12:13], 0
	s_mov_b64 s[0:1], 0
                                        ; implicit-def: $vgpr12
	s_branch .LBB7_1415
.LBB7_1414:
	s_mov_b64 s[0:1], -1
                                        ; implicit-def: $vgpr12
	s_mov_b64 s[12:13], 0
.LBB7_1415:
	s_and_b64 vcc, exec, s[14:15]
	s_cbranch_vccz .LBB7_1419
; %bb.1416:
	v_mov_b32_e32 v5, 44
	v_cmp_eq_u16_sdwa s[0:1], s18, v5 src0_sel:BYTE_0 src1_sel:DWORD
	s_and_b64 vcc, exec, s[0:1]
	s_cbranch_vccz .LBB7_1418
; %bb.1417:
	global_load_ubyte v5, v[10:11], off
	s_movk_i32 s12, 0xff
	v_mov_b32_e32 v9, 0x7e00
	s_mov_b64 s[0:1], 0
	s_waitcnt vmcnt(0)
	v_lshlrev_b32_e32 v7, 23, v5
	v_cvt_f16_f32_e32 v7, v7
	v_cmp_ne_u32_e32 vcc, s12, v5
	s_mov_b64 s[12:13], -1
	v_cndmask_b32_e32 v7, v9, v7, vcc
	v_cmp_ne_u32_e32 vcc, 0, v5
	v_cndmask_b32_e32 v12, 0, v7, vcc
	s_branch .LBB7_1419
.LBB7_1418:
	s_mov_b64 s[0:1], -1
                                        ; implicit-def: $vgpr12
.LBB7_1419:
	s_mov_b64 s[14:15], 0
.LBB7_1420:
	s_and_b64 vcc, exec, s[14:15]
	s_cbranch_vccz .LBB7_1424
; %bb.1421:
	v_mov_b32_e32 v5, 29
	v_cmp_eq_u16_sdwa s[0:1], s18, v5 src0_sel:BYTE_0 src1_sel:DWORD
	s_and_b64 vcc, exec, s[0:1]
	s_cbranch_vccz .LBB7_1423
; %bb.1422:
	global_load_dwordx2 v[12:13], v[10:11], off
	s_mov_b64 s[0:1], 0
	s_mov_b64 s[12:13], -1
	s_mov_b64 s[14:15], 0
	s_waitcnt vmcnt(0)
	v_ffbh_u32_e32 v5, v13
	v_min_u32_e32 v5, 32, v5
	v_lshlrev_b64 v[12:13], v5, v[12:13]
	v_min_u32_e32 v7, 1, v12
	v_or_b32_e32 v7, v13, v7
	v_cvt_f32_u32_e32 v7, v7
	v_sub_u32_e32 v5, 32, v5
	v_ldexp_f32 v5, v7, v5
	v_cvt_f16_f32_e32 v12, v5
	s_branch .LBB7_1425
.LBB7_1423:
	s_mov_b64 s[0:1], -1
                                        ; implicit-def: $vgpr12
.LBB7_1424:
	s_mov_b64 s[14:15], 0
.LBB7_1425:
	s_and_b64 vcc, exec, s[14:15]
	s_cbranch_vccz .LBB7_1443
; %bb.1426:
	v_mov_b32_e32 v5, 27
	v_cmp_lt_i16_sdwa s[12:13], s18, v5 src0_sel:BYTE_0 src1_sel:DWORD
	s_and_b64 vcc, exec, s[12:13]
	s_cbranch_vccnz .LBB7_1429
; %bb.1427:
	v_cmp_gt_i16_sdwa s[12:13], s18, v5 src0_sel:BYTE_0 src1_sel:DWORD
	s_and_b64 vcc, exec, s[12:13]
	s_cbranch_vccz .LBB7_1430
; %bb.1428:
	global_load_dword v5, v[10:11], off
	s_mov_b64 s[12:13], 0
	s_waitcnt vmcnt(0)
	v_cvt_f32_u32_e32 v5, v5
	v_cvt_f16_f32_e32 v12, v5
	s_branch .LBB7_1431
.LBB7_1429:
	s_mov_b64 s[12:13], -1
                                        ; implicit-def: $vgpr12
	s_branch .LBB7_1434
.LBB7_1430:
	s_mov_b64 s[12:13], -1
                                        ; implicit-def: $vgpr12
.LBB7_1431:
	s_andn2_b64 vcc, exec, s[12:13]
	s_cbranch_vccnz .LBB7_1433
; %bb.1432:
	global_load_ushort v5, v[10:11], off
	s_waitcnt vmcnt(0)
	v_cvt_f16_u16_e32 v12, v5
.LBB7_1433:
	s_mov_b64 s[12:13], 0
.LBB7_1434:
	s_andn2_b64 vcc, exec, s[12:13]
	s_cbranch_vccnz .LBB7_1442
; %bb.1435:
	global_load_ubyte v5, v[10:11], off
	s_movk_i32 s12, 0x7f
                                        ; implicit-def: $sgpr19
	s_waitcnt vmcnt(0)
	v_cmp_lt_i16_e32 vcc, s12, v5
	s_mov_b64 s[12:13], 0
	s_and_saveexec_b64 s[14:15], vcc
	s_xor_b64 s[14:15], exec, s[14:15]
	s_cbranch_execz .LBB7_1456
; %bb.1436:
	s_movk_i32 s12, 0x80
	v_cmp_eq_u16_e32 vcc, s12, v5
	s_mov_b64 s[12:13], -1
                                        ; implicit-def: $sgpr19
	s_and_saveexec_b64 s[16:17], vcc
; %bb.1437:
	s_movk_i32 s19, 0x7e00
	s_xor_b64 s[12:13], exec, -1
; %bb.1438:
	s_or_b64 exec, exec, s[16:17]
	s_and_b64 s[12:13], s[12:13], exec
	s_or_saveexec_b64 s[14:15], s[14:15]
	v_mov_b32_e32 v12, s19
	s_xor_b64 exec, exec, s[14:15]
	s_cbranch_execnz .LBB7_1457
.LBB7_1439:
	s_or_b64 exec, exec, s[14:15]
	s_and_saveexec_b64 s[14:15], s[12:13]
	s_cbranch_execz .LBB7_1441
.LBB7_1440:
	v_lshlrev_b32_e32 v7, 24, v5
	v_and_b32_e32 v5, 0xffff, v5
	v_and_b32_e32 v9, 7, v5
	v_ffbh_u32_e32 v13, v9
	v_min_u32_e32 v13, 32, v13
	v_subrev_u32_e32 v14, 28, v13
	v_bfe_u32 v12, v5, 3, 4
	v_lshlrev_b32_e32 v5, v14, v5
	v_sub_u32_e32 v13, 29, v13
	v_and_b32_e32 v5, 7, v5
	v_cmp_eq_u32_e32 vcc, 0, v12
	v_cndmask_b32_e32 v12, v12, v13, vcc
	v_cndmask_b32_e32 v5, v9, v5, vcc
	v_mov_b32_e32 v9, 0x3b800000
	v_lshlrev_b32_e32 v5, 20, v5
	v_and_b32_e32 v7, 0x80000000, v7
	v_lshl_add_u32 v9, v12, 23, v9
	v_or3_b32 v5, v7, v9, v5
	v_cvt_f16_f32_e32 v12, v5
.LBB7_1441:
	s_or_b64 exec, exec, s[14:15]
.LBB7_1442:
	s_mov_b64 s[12:13], -1
.LBB7_1443:
	s_mov_b64 s[14:15], 0
.LBB7_1444:
	s_and_b64 vcc, exec, s[14:15]
	s_cbranch_vccz .LBB7_1477
; %bb.1445:
	v_mov_b32_e32 v5, 22
	v_cmp_gt_i16_sdwa s[6:7], s18, v5 src0_sel:BYTE_0 src1_sel:DWORD
	s_and_b64 vcc, exec, s[6:7]
	s_cbranch_vccz .LBB7_1455
; %bb.1446:
	v_mov_b32_e32 v5, 24
	v_cmp_lt_i16_sdwa s[6:7], s18, v5 src0_sel:BYTE_0 src1_sel:DWORD
	s_and_b64 vcc, exec, s[6:7]
	s_cbranch_vccnz .LBB7_1458
; %bb.1447:
	v_cmp_gt_i16_sdwa s[6:7], s18, v5 src0_sel:BYTE_0 src1_sel:DWORD
	s_and_b64 vcc, exec, s[6:7]
	s_cbranch_vccz .LBB7_1459
; %bb.1448:
	global_load_ubyte v5, v[10:11], off
	s_movk_i32 s6, 0x7f
                                        ; implicit-def: $sgpr16
	s_waitcnt vmcnt(0)
	v_cmp_lt_i16_e32 vcc, s6, v5
	s_mov_b64 s[6:7], 0
	s_and_saveexec_b64 s[12:13], vcc
	s_xor_b64 s[12:13], exec, s[12:13]
	s_cbranch_execz .LBB7_1471
; %bb.1449:
	s_movk_i32 s6, 0x80
	v_cmp_eq_u16_e32 vcc, s6, v5
	s_mov_b64 s[6:7], -1
                                        ; implicit-def: $sgpr16
	s_and_saveexec_b64 s[14:15], vcc
; %bb.1450:
	s_movk_i32 s16, 0x7e00
	s_xor_b64 s[6:7], exec, -1
; %bb.1451:
	s_or_b64 exec, exec, s[14:15]
	s_and_b64 s[6:7], s[6:7], exec
	s_or_saveexec_b64 s[12:13], s[12:13]
	v_mov_b32_e32 v12, s16
	s_xor_b64 exec, exec, s[12:13]
	s_cbranch_execnz .LBB7_1472
.LBB7_1452:
	s_or_b64 exec, exec, s[12:13]
	s_and_saveexec_b64 s[12:13], s[6:7]
	s_cbranch_execz .LBB7_1454
.LBB7_1453:
	v_lshlrev_b32_e32 v7, 24, v5
	v_and_b32_e32 v5, 0xffff, v5
	v_and_b32_e32 v9, 3, v5
	v_ffbh_u32_e32 v13, v9
	v_min_u32_e32 v13, 32, v13
	v_subrev_u32_e32 v14, 29, v13
	v_bfe_u32 v12, v5, 2, 5
	v_lshlrev_b32_e32 v5, v14, v5
	v_sub_u32_e32 v13, 30, v13
	v_and_b32_e32 v5, 3, v5
	v_cmp_eq_u32_e32 vcc, 0, v12
	v_cndmask_b32_e32 v12, v12, v13, vcc
	v_cndmask_b32_e32 v5, v9, v5, vcc
	v_mov_b32_e32 v9, 0x37800000
	v_lshlrev_b32_e32 v5, 21, v5
	v_and_b32_e32 v7, 0x80000000, v7
	v_lshl_add_u32 v9, v12, 23, v9
	v_or3_b32 v5, v7, v9, v5
	v_cvt_f16_f32_e32 v12, v5
.LBB7_1454:
	s_or_b64 exec, exec, s[12:13]
	s_mov_b64 s[6:7], 0
	s_branch .LBB7_1460
.LBB7_1455:
	s_mov_b64 s[6:7], -1
                                        ; implicit-def: $vgpr12
	s_branch .LBB7_1466
.LBB7_1456:
	s_or_saveexec_b64 s[14:15], s[14:15]
	v_mov_b32_e32 v12, s19
	s_xor_b64 exec, exec, s[14:15]
	s_cbranch_execz .LBB7_1439
.LBB7_1457:
	v_cmp_ne_u16_e32 vcc, 0, v5
	s_andn2_b64 s[12:13], s[12:13], exec
	s_and_b64 s[16:17], vcc, exec
	s_or_b64 s[12:13], s[12:13], s[16:17]
	v_mov_b32_e32 v12, v5
	s_or_b64 exec, exec, s[14:15]
	s_and_saveexec_b64 s[14:15], s[12:13]
	s_cbranch_execnz .LBB7_1440
	s_branch .LBB7_1441
.LBB7_1458:
	s_mov_b64 s[6:7], -1
                                        ; implicit-def: $vgpr12
	s_branch .LBB7_1463
.LBB7_1459:
	s_mov_b64 s[6:7], -1
                                        ; implicit-def: $vgpr12
.LBB7_1460:
	s_and_b64 vcc, exec, s[6:7]
	s_cbranch_vccz .LBB7_1462
; %bb.1461:
	global_load_ubyte v5, v[10:11], off
	s_mov_b32 s6, 0x7f800000
	s_waitcnt vmcnt(0)
	v_lshlrev_b32_e32 v5, 24, v5
	v_and_b32_e32 v7, 0x7f000000, v5
	v_ffbh_u32_e32 v9, v7
	v_min_u32_e32 v9, 32, v9
	v_sub_u32_e64 v9, v9, 4 clamp
	v_lshlrev_b32_e32 v13, v9, v7
	v_lshlrev_b32_e32 v9, 23, v9
	v_lshrrev_b32_e32 v13, 4, v13
	v_add_u32_e32 v12, 0x1000000, v7
	v_sub_u32_e32 v9, v13, v9
	v_ashrrev_i32_e32 v12, 8, v12
	v_add_u32_e32 v9, 0x3c000000, v9
	v_and_or_b32 v9, v12, s6, v9
	v_cmp_ne_u32_e32 vcc, 0, v7
	v_cndmask_b32_e32 v7, 0, v9, vcc
	s_brev_b32 s6, 1
	v_and_or_b32 v5, v5, s6, v7
	v_cvt_f16_f32_e32 v12, v5
.LBB7_1462:
	s_mov_b64 s[6:7], 0
.LBB7_1463:
	s_andn2_b64 vcc, exec, s[6:7]
	s_cbranch_vccnz .LBB7_1465
; %bb.1464:
	global_load_ubyte v5, v[10:11], off
	s_movk_i32 s6, 0x7f00
	s_brev_b32 s7, 16
	s_waitcnt vmcnt(0)
	v_lshlrev_b16_e32 v7, 8, v5
	v_lshlrev_b32_e32 v5, 25, v5
	v_lshrrev_b32_e32 v9, 4, v5
	v_and_or_b32 v12, v7, s6, 0.5
	v_or_b32_e32 v9, 0x70000000, v9
	v_add_f32_e32 v12, -0.5, v12
	v_mul_f32_e32 v9, 0x7800000, v9
	v_cmp_gt_u32_e32 vcc, s7, v5
	v_bfe_i32 v7, v7, 0, 16
	v_cndmask_b32_e32 v5, v9, v12, vcc
	s_brev_b32 s6, 1
	v_and_or_b32 v5, v7, s6, v5
	v_cvt_f16_f32_e32 v12, v5
.LBB7_1465:
	s_mov_b64 s[6:7], 0
	s_mov_b64 s[12:13], -1
.LBB7_1466:
	s_andn2_b64 vcc, exec, s[6:7]
	s_mov_b64 s[6:7], 0
	s_cbranch_vccnz .LBB7_1477
; %bb.1467:
	v_mov_b32_e32 v5, 14
	v_cmp_gt_i16_sdwa s[6:7], s18, v5 src0_sel:BYTE_0 src1_sel:DWORD
	s_and_b64 vcc, exec, s[6:7]
	s_cbranch_vccz .LBB7_1470
; %bb.1468:
	v_mov_b32_e32 v5, 15
	v_cmp_eq_u16_sdwa s[0:1], s18, v5 src0_sel:BYTE_0 src1_sel:DWORD
	s_and_b64 vcc, exec, s[0:1]
	s_cbranch_vccz .LBB7_1473
; %bb.1469:
	global_load_ushort v5, v[10:11], off
	s_mov_b64 s[0:1], 0
	s_mov_b64 s[12:13], -1
	s_waitcnt vmcnt(0)
	v_lshlrev_b32_e32 v5, 16, v5
	v_cvt_f16_f32_e32 v12, v5
	s_branch .LBB7_1474
.LBB7_1470:
	s_mov_b64 s[14:15], -1
                                        ; implicit-def: $vgpr12
	s_branch .LBB7_1475
.LBB7_1471:
	s_or_saveexec_b64 s[12:13], s[12:13]
	v_mov_b32_e32 v12, s16
	s_xor_b64 exec, exec, s[12:13]
	s_cbranch_execz .LBB7_1452
.LBB7_1472:
	v_cmp_ne_u16_e32 vcc, 0, v5
	s_andn2_b64 s[6:7], s[6:7], exec
	s_and_b64 s[14:15], vcc, exec
	s_or_b64 s[6:7], s[6:7], s[14:15]
	v_mov_b32_e32 v12, v5
	s_or_b64 exec, exec, s[12:13]
	s_and_saveexec_b64 s[12:13], s[6:7]
	s_cbranch_execnz .LBB7_1453
	s_branch .LBB7_1454
.LBB7_1473:
	s_mov_b64 s[0:1], -1
                                        ; implicit-def: $vgpr12
.LBB7_1474:
	s_mov_b64 s[14:15], 0
.LBB7_1475:
	s_mov_b64 s[6:7], 0
	s_and_b64 vcc, exec, s[14:15]
	s_cbranch_vccz .LBB7_1477
; %bb.1476:
	v_mov_b32_e32 v5, 11
	v_cmp_ne_u16_sdwa s[0:1], s18, v5 src0_sel:BYTE_0 src1_sel:DWORD
	s_mov_b64 s[6:7], -1
                                        ; implicit-def: $vgpr12
.LBB7_1477:
	s_and_b64 vcc, exec, s[0:1]
	s_cbranch_vccnz .LBB7_1540
; %bb.1478:
	s_andn2_b64 vcc, exec, s[6:7]
	s_cbranch_vccnz .LBB7_1480
.LBB7_1479:
	global_load_ubyte v5, v[10:11], off
	v_mov_b32_e32 v7, 0x3c00
	s_mov_b64 s[12:13], -1
	s_waitcnt vmcnt(0)
	v_cmp_ne_u16_e32 vcc, 0, v5
	v_cndmask_b32_e32 v12, 0, v7, vcc
.LBB7_1480:
	s_branch .LBB7_1408
.LBB7_1481:
	v_mov_b32_e32 v5, 5
	v_cmp_lt_i16_sdwa s[0:1], s18, v5 src0_sel:BYTE_0 src1_sel:DWORD
	s_and_b64 vcc, exec, s[0:1]
	s_cbranch_vccnz .LBB7_1486
; %bb.1482:
	v_mov_b32_e32 v5, 8
	v_cmp_lt_i16_sdwa s[0:1], s18, v5 src0_sel:BYTE_0 src1_sel:DWORD
	s_and_b64 vcc, exec, s[0:1]
	s_cbranch_vccnz .LBB7_1487
; %bb.1483:
	;; [unrolled: 5-line block ×3, first 2 shown]
	v_cmp_gt_i16_sdwa s[0:1], s18, v5 src0_sel:BYTE_0 src1_sel:DWORD
	s_and_b64 vcc, exec, s[0:1]
	s_cbranch_vccz .LBB7_1489
; %bb.1485:
	global_load_dwordx2 v[12:13], v[10:11], off
	s_mov_b64 s[0:1], 0
	s_waitcnt vmcnt(0)
	v_cvt_f32_f64_e32 v5, v[12:13]
	v_cvt_f16_f32_e32 v12, v5
	s_branch .LBB7_1490
.LBB7_1486:
	s_mov_b64 s[0:1], -1
                                        ; implicit-def: $vgpr12
	s_branch .LBB7_1508
.LBB7_1487:
	s_mov_b64 s[0:1], -1
                                        ; implicit-def: $vgpr12
	s_branch .LBB7_1496
.LBB7_1488:
	s_mov_b64 s[0:1], -1
                                        ; implicit-def: $vgpr12
	s_branch .LBB7_1493
.LBB7_1489:
	s_mov_b64 s[0:1], -1
                                        ; implicit-def: $vgpr12
.LBB7_1490:
	s_andn2_b64 vcc, exec, s[0:1]
	s_cbranch_vccnz .LBB7_1492
; %bb.1491:
	global_load_dword v5, v[10:11], off
	s_waitcnt vmcnt(0)
	v_cvt_f16_f32_e32 v12, v5
.LBB7_1492:
	s_mov_b64 s[0:1], 0
.LBB7_1493:
	s_andn2_b64 vcc, exec, s[0:1]
	s_cbranch_vccnz .LBB7_1495
; %bb.1494:
	global_load_dword v12, v[10:11], off
.LBB7_1495:
	s_mov_b64 s[0:1], 0
.LBB7_1496:
	s_andn2_b64 vcc, exec, s[0:1]
	s_cbranch_vccnz .LBB7_1507
; %bb.1497:
	v_mov_b32_e32 v5, 6
	v_cmp_lt_i16_sdwa s[0:1], s18, v5 src0_sel:BYTE_0 src1_sel:DWORD
	s_and_b64 vcc, exec, s[0:1]
	s_cbranch_vccnz .LBB7_1500
; %bb.1498:
	v_cmp_gt_i16_sdwa s[0:1], s18, v5 src0_sel:BYTE_0 src1_sel:DWORD
	s_and_b64 vcc, exec, s[0:1]
	s_cbranch_vccz .LBB7_1501
; %bb.1499:
	global_load_dwordx2 v[12:13], v[10:11], off
	s_mov_b64 s[0:1], 0
	s_waitcnt vmcnt(0)
	v_cvt_f32_f64_e32 v5, v[12:13]
	v_cvt_f16_f32_e32 v12, v5
	s_branch .LBB7_1502
.LBB7_1500:
	s_mov_b64 s[0:1], -1
                                        ; implicit-def: $vgpr12
	s_branch .LBB7_1505
.LBB7_1501:
	s_mov_b64 s[0:1], -1
                                        ; implicit-def: $vgpr12
.LBB7_1502:
	s_andn2_b64 vcc, exec, s[0:1]
	s_cbranch_vccnz .LBB7_1504
; %bb.1503:
	global_load_dword v5, v[10:11], off
	s_waitcnt vmcnt(0)
	v_cvt_f16_f32_e32 v12, v5
.LBB7_1504:
	s_mov_b64 s[0:1], 0
.LBB7_1505:
	s_andn2_b64 vcc, exec, s[0:1]
	s_cbranch_vccnz .LBB7_1507
; %bb.1506:
	global_load_ushort v12, v[10:11], off
.LBB7_1507:
	s_mov_b64 s[0:1], 0
.LBB7_1508:
	s_andn2_b64 vcc, exec, s[0:1]
	s_cbranch_vccnz .LBB7_1528
; %bb.1509:
	v_mov_b32_e32 v5, 2
	v_cmp_lt_i16_sdwa s[0:1], s18, v5 src0_sel:BYTE_0 src1_sel:DWORD
	s_and_b64 vcc, exec, s[0:1]
	s_cbranch_vccnz .LBB7_1513
; %bb.1510:
	v_mov_b32_e32 v5, 3
	v_cmp_lt_i16_sdwa s[0:1], s18, v5 src0_sel:BYTE_0 src1_sel:DWORD
	s_and_b64 vcc, exec, s[0:1]
	s_cbranch_vccnz .LBB7_1514
; %bb.1511:
	v_cmp_gt_i16_sdwa s[0:1], s18, v5 src0_sel:BYTE_0 src1_sel:DWORD
	s_and_b64 vcc, exec, s[0:1]
	s_cbranch_vccz .LBB7_1515
; %bb.1512:
	global_load_dwordx2 v[12:13], v[10:11], off
	s_mov_b64 s[0:1], 0
	s_waitcnt vmcnt(0)
	v_xor_b32_e32 v7, v12, v13
	v_ffbh_i32_e32 v5, v13
	v_ashrrev_i32_e32 v7, 31, v7
	v_add_u32_e32 v5, -1, v5
	v_add_u32_e32 v7, 32, v7
	v_min_u32_e32 v5, v5, v7
	v_lshlrev_b64 v[12:13], v5, v[12:13]
	v_min_u32_e32 v7, 1, v12
	v_or_b32_e32 v7, v13, v7
	v_cvt_f32_i32_e32 v7, v7
	v_sub_u32_e32 v5, 32, v5
	v_ldexp_f32 v5, v7, v5
	v_cvt_f16_f32_e32 v12, v5
	s_branch .LBB7_1516
.LBB7_1513:
	s_mov_b64 s[0:1], -1
                                        ; implicit-def: $vgpr12
	s_branch .LBB7_1522
.LBB7_1514:
	s_mov_b64 s[0:1], -1
                                        ; implicit-def: $vgpr12
	s_branch .LBB7_1519
.LBB7_1515:
	s_mov_b64 s[0:1], -1
                                        ; implicit-def: $vgpr12
.LBB7_1516:
	s_andn2_b64 vcc, exec, s[0:1]
	s_cbranch_vccnz .LBB7_1518
; %bb.1517:
	global_load_dword v5, v[10:11], off
	s_waitcnt vmcnt(0)
	v_cvt_f32_i32_e32 v5, v5
	v_cvt_f16_f32_e32 v12, v5
.LBB7_1518:
	s_mov_b64 s[0:1], 0
.LBB7_1519:
	s_andn2_b64 vcc, exec, s[0:1]
	s_cbranch_vccnz .LBB7_1521
; %bb.1520:
	global_load_ushort v5, v[10:11], off
	s_waitcnt vmcnt(0)
	v_cvt_f16_i16_e32 v12, v5
.LBB7_1521:
	s_mov_b64 s[0:1], 0
.LBB7_1522:
	s_andn2_b64 vcc, exec, s[0:1]
	s_cbranch_vccnz .LBB7_1528
; %bb.1523:
	v_mov_b32_e32 v5, 0
	v_cmp_gt_i16_sdwa s[0:1], s18, v5 src0_sel:BYTE_0 src1_sel:DWORD
	s_and_b64 vcc, exec, s[0:1]
	s_cbranch_vccz .LBB7_1525
; %bb.1524:
	global_load_sbyte v5, v[10:11], off
	s_mov_b64 s[0:1], 0
	s_waitcnt vmcnt(0)
	v_cvt_f16_i16_e32 v12, v5
	s_branch .LBB7_1526
.LBB7_1525:
	s_mov_b64 s[0:1], -1
                                        ; implicit-def: $vgpr12
.LBB7_1526:
	s_andn2_b64 vcc, exec, s[0:1]
	s_cbranch_vccnz .LBB7_1528
; %bb.1527:
	global_load_ubyte v5, v[10:11], off
	s_waitcnt vmcnt(0)
	v_cvt_f16_u16_e32 v12, v5
.LBB7_1528:
.LBB7_1529:
	v_mov_b32_e32 v5, s11
	v_add_co_u32_e32 v8, vcc, s10, v8
	v_addc_co_u32_e32 v9, vcc, 0, v5, vcc
	v_mov_b32_e32 v5, 11
	v_cmp_lt_i16_sdwa s[0:1], s18, v5 src0_sel:BYTE_0 src1_sel:DWORD
	s_and_b64 vcc, exec, s[0:1]
	s_cbranch_vccnz .LBB7_1536
; %bb.1530:
	v_mov_b32_e32 v5, 25
	v_cmp_gt_i16_sdwa s[0:1], s18, v5 src0_sel:BYTE_0 src1_sel:DWORD
	s_mov_b64 s[6:7], 0
	s_and_b64 vcc, exec, s[0:1]
	s_cbranch_vccz .LBB7_1537
; %bb.1531:
	v_mov_b32_e32 v5, 28
	v_cmp_gt_i16_sdwa s[0:1], s18, v5 src0_sel:BYTE_0 src1_sel:DWORD
	s_and_b64 vcc, exec, s[0:1]
	s_cbranch_vccz .LBB7_1538
; %bb.1532:
	v_mov_b32_e32 v5, 43
	v_cmp_gt_i16_sdwa s[0:1], s18, v5 src0_sel:BYTE_0 src1_sel:DWORD
	;; [unrolled: 5-line block ×3, first 2 shown]
	s_and_b64 vcc, exec, s[0:1]
	s_cbranch_vccz .LBB7_1541
; %bb.1534:
	v_mov_b32_e32 v5, 46
	v_cmp_eq_u16_sdwa s[0:1], s18, v5 src0_sel:BYTE_0 src1_sel:DWORD
	s_mov_b64 s[12:13], 0
	s_and_b64 vcc, exec, s[0:1]
	s_cbranch_vccz .LBB7_1542
; %bb.1535:
	global_load_dword v5, v[8:9], off
	s_mov_b64 s[0:1], 0
	s_mov_b64 s[10:11], -1
	s_waitcnt vmcnt(0)
	v_lshlrev_b32_e32 v5, 16, v5
	v_cvt_f16_f32_e32 v10, v5
	s_branch .LBB7_1543
.LBB7_1536:
	s_mov_b64 s[0:1], -1
	s_mov_b64 s[10:11], 0
                                        ; implicit-def: $vgpr10
	s_branch .LBB7_1609
.LBB7_1537:
	s_mov_b64 s[12:13], -1
	s_mov_b64 s[10:11], 0
	s_mov_b64 s[0:1], 0
                                        ; implicit-def: $vgpr10
	s_branch .LBB7_1572
.LBB7_1538:
	s_mov_b64 s[12:13], -1
	s_mov_b64 s[10:11], 0
	s_mov_b64 s[0:1], 0
                                        ; implicit-def: $vgpr10
	s_branch .LBB7_1553
.LBB7_1539:
	s_mov_b64 s[12:13], -1
	s_mov_b64 s[10:11], 0
	s_mov_b64 s[0:1], 0
                                        ; implicit-def: $vgpr10
	s_branch .LBB7_1548
.LBB7_1540:
	s_trap 2
	s_or_b64 s[2:3], s[2:3], exec
                                        ; implicit-def: $vgpr12
	s_cbranch_execz .LBB7_1479
	s_branch .LBB7_1480
.LBB7_1541:
	s_mov_b64 s[12:13], -1
	s_mov_b64 s[10:11], 0
	s_mov_b64 s[0:1], 0
                                        ; implicit-def: $vgpr10
	s_branch .LBB7_1543
.LBB7_1542:
	s_mov_b64 s[0:1], -1
                                        ; implicit-def: $vgpr10
	s_mov_b64 s[10:11], 0
.LBB7_1543:
	s_and_b64 vcc, exec, s[12:13]
	s_cbranch_vccz .LBB7_1547
; %bb.1544:
	v_mov_b32_e32 v5, 44
	v_cmp_eq_u16_sdwa s[0:1], s18, v5 src0_sel:BYTE_0 src1_sel:DWORD
	s_and_b64 vcc, exec, s[0:1]
	s_cbranch_vccz .LBB7_1546
; %bb.1545:
	global_load_ubyte v5, v[8:9], off
	s_movk_i32 s10, 0xff
	v_mov_b32_e32 v10, 0x7e00
	s_mov_b64 s[0:1], 0
	s_waitcnt vmcnt(0)
	v_lshlrev_b32_e32 v7, 23, v5
	v_cvt_f16_f32_e32 v7, v7
	v_cmp_ne_u32_e32 vcc, s10, v5
	s_mov_b64 s[10:11], -1
	v_cndmask_b32_e32 v7, v10, v7, vcc
	v_cmp_ne_u32_e32 vcc, 0, v5
	v_cndmask_b32_e32 v10, 0, v7, vcc
	s_branch .LBB7_1547
.LBB7_1546:
	s_mov_b64 s[0:1], -1
                                        ; implicit-def: $vgpr10
.LBB7_1547:
	s_mov_b64 s[12:13], 0
.LBB7_1548:
	s_and_b64 vcc, exec, s[12:13]
	s_cbranch_vccz .LBB7_1552
; %bb.1549:
	v_mov_b32_e32 v5, 29
	v_cmp_eq_u16_sdwa s[0:1], s18, v5 src0_sel:BYTE_0 src1_sel:DWORD
	s_and_b64 vcc, exec, s[0:1]
	s_cbranch_vccz .LBB7_1551
; %bb.1550:
	global_load_dwordx2 v[10:11], v[8:9], off
	s_mov_b64 s[0:1], 0
	s_mov_b64 s[10:11], -1
	s_mov_b64 s[12:13], 0
	s_waitcnt vmcnt(0)
	v_ffbh_u32_e32 v5, v11
	v_min_u32_e32 v5, 32, v5
	v_lshlrev_b64 v[10:11], v5, v[10:11]
	v_min_u32_e32 v7, 1, v10
	v_or_b32_e32 v7, v11, v7
	v_cvt_f32_u32_e32 v7, v7
	v_sub_u32_e32 v5, 32, v5
	v_ldexp_f32 v5, v7, v5
	v_cvt_f16_f32_e32 v10, v5
	s_branch .LBB7_1553
.LBB7_1551:
	s_mov_b64 s[0:1], -1
                                        ; implicit-def: $vgpr10
.LBB7_1552:
	s_mov_b64 s[12:13], 0
.LBB7_1553:
	s_and_b64 vcc, exec, s[12:13]
	s_cbranch_vccz .LBB7_1571
; %bb.1554:
	v_mov_b32_e32 v5, 27
	v_cmp_lt_i16_sdwa s[10:11], s18, v5 src0_sel:BYTE_0 src1_sel:DWORD
	s_and_b64 vcc, exec, s[10:11]
	s_cbranch_vccnz .LBB7_1557
; %bb.1555:
	v_cmp_gt_i16_sdwa s[10:11], s18, v5 src0_sel:BYTE_0 src1_sel:DWORD
	s_and_b64 vcc, exec, s[10:11]
	s_cbranch_vccz .LBB7_1558
; %bb.1556:
	global_load_dword v5, v[8:9], off
	s_mov_b64 s[10:11], 0
	s_waitcnt vmcnt(0)
	v_cvt_f32_u32_e32 v5, v5
	v_cvt_f16_f32_e32 v10, v5
	s_branch .LBB7_1559
.LBB7_1557:
	s_mov_b64 s[10:11], -1
                                        ; implicit-def: $vgpr10
	s_branch .LBB7_1562
.LBB7_1558:
	s_mov_b64 s[10:11], -1
                                        ; implicit-def: $vgpr10
.LBB7_1559:
	s_andn2_b64 vcc, exec, s[10:11]
	s_cbranch_vccnz .LBB7_1561
; %bb.1560:
	global_load_ushort v5, v[8:9], off
	s_waitcnt vmcnt(0)
	v_cvt_f16_u16_e32 v10, v5
.LBB7_1561:
	s_mov_b64 s[10:11], 0
.LBB7_1562:
	s_andn2_b64 vcc, exec, s[10:11]
	s_cbranch_vccnz .LBB7_1570
; %bb.1563:
	global_load_ubyte v5, v[8:9], off
	s_movk_i32 s10, 0x7f
                                        ; implicit-def: $sgpr16
	s_waitcnt vmcnt(0)
	v_cmp_lt_i16_e32 vcc, s10, v5
	s_mov_b64 s[10:11], 0
	s_and_saveexec_b64 s[12:13], vcc
	s_xor_b64 s[12:13], exec, s[12:13]
	s_cbranch_execz .LBB7_1584
; %bb.1564:
	s_movk_i32 s10, 0x80
	v_cmp_eq_u16_e32 vcc, s10, v5
	s_mov_b64 s[10:11], -1
                                        ; implicit-def: $sgpr16
	s_and_saveexec_b64 s[14:15], vcc
; %bb.1565:
	s_movk_i32 s16, 0x7e00
	s_xor_b64 s[10:11], exec, -1
; %bb.1566:
	s_or_b64 exec, exec, s[14:15]
	s_and_b64 s[10:11], s[10:11], exec
	s_or_saveexec_b64 s[12:13], s[12:13]
	v_mov_b32_e32 v10, s16
	s_xor_b64 exec, exec, s[12:13]
	s_cbranch_execnz .LBB7_1585
.LBB7_1567:
	s_or_b64 exec, exec, s[12:13]
	s_and_saveexec_b64 s[12:13], s[10:11]
	s_cbranch_execz .LBB7_1569
.LBB7_1568:
	v_lshlrev_b32_e32 v7, 24, v5
	v_and_b32_e32 v5, 0xffff, v5
	v_and_b32_e32 v10, 7, v5
	v_ffbh_u32_e32 v13, v10
	v_min_u32_e32 v13, 32, v13
	v_subrev_u32_e32 v14, 28, v13
	v_bfe_u32 v11, v5, 3, 4
	v_lshlrev_b32_e32 v5, v14, v5
	v_sub_u32_e32 v13, 29, v13
	v_and_b32_e32 v5, 7, v5
	v_cmp_eq_u32_e32 vcc, 0, v11
	v_cndmask_b32_e32 v11, v11, v13, vcc
	v_cndmask_b32_e32 v5, v10, v5, vcc
	v_mov_b32_e32 v10, 0x3b800000
	v_lshlrev_b32_e32 v5, 20, v5
	v_and_b32_e32 v7, 0x80000000, v7
	v_lshl_add_u32 v10, v11, 23, v10
	v_or3_b32 v5, v7, v10, v5
	v_cvt_f16_f32_e32 v10, v5
.LBB7_1569:
	s_or_b64 exec, exec, s[12:13]
.LBB7_1570:
	s_mov_b64 s[10:11], -1
.LBB7_1571:
	s_mov_b64 s[12:13], 0
.LBB7_1572:
	s_and_b64 vcc, exec, s[12:13]
	s_cbranch_vccz .LBB7_1605
; %bb.1573:
	v_mov_b32_e32 v5, 22
	v_cmp_gt_i16_sdwa s[6:7], s18, v5 src0_sel:BYTE_0 src1_sel:DWORD
	s_and_b64 vcc, exec, s[6:7]
	s_cbranch_vccz .LBB7_1583
; %bb.1574:
	v_mov_b32_e32 v5, 24
	v_cmp_lt_i16_sdwa s[6:7], s18, v5 src0_sel:BYTE_0 src1_sel:DWORD
	s_and_b64 vcc, exec, s[6:7]
	s_cbranch_vccnz .LBB7_1586
; %bb.1575:
	v_cmp_gt_i16_sdwa s[6:7], s18, v5 src0_sel:BYTE_0 src1_sel:DWORD
	s_and_b64 vcc, exec, s[6:7]
	s_cbranch_vccz .LBB7_1587
; %bb.1576:
	global_load_ubyte v5, v[8:9], off
	s_movk_i32 s6, 0x7f
                                        ; implicit-def: $sgpr14
	s_waitcnt vmcnt(0)
	v_cmp_lt_i16_e32 vcc, s6, v5
	s_mov_b64 s[6:7], 0
	s_and_saveexec_b64 s[10:11], vcc
	s_xor_b64 s[10:11], exec, s[10:11]
	s_cbranch_execz .LBB7_1599
; %bb.1577:
	s_movk_i32 s6, 0x80
	v_cmp_eq_u16_e32 vcc, s6, v5
	s_mov_b64 s[6:7], -1
                                        ; implicit-def: $sgpr14
	s_and_saveexec_b64 s[12:13], vcc
; %bb.1578:
	s_movk_i32 s14, 0x7e00
	s_xor_b64 s[6:7], exec, -1
; %bb.1579:
	s_or_b64 exec, exec, s[12:13]
	s_and_b64 s[6:7], s[6:7], exec
	s_or_saveexec_b64 s[10:11], s[10:11]
	v_mov_b32_e32 v10, s14
	s_xor_b64 exec, exec, s[10:11]
	s_cbranch_execnz .LBB7_1600
.LBB7_1580:
	s_or_b64 exec, exec, s[10:11]
	s_and_saveexec_b64 s[10:11], s[6:7]
	s_cbranch_execz .LBB7_1582
.LBB7_1581:
	v_lshlrev_b32_e32 v7, 24, v5
	v_and_b32_e32 v5, 0xffff, v5
	v_and_b32_e32 v10, 3, v5
	v_ffbh_u32_e32 v13, v10
	v_min_u32_e32 v13, 32, v13
	v_subrev_u32_e32 v14, 29, v13
	v_bfe_u32 v11, v5, 2, 5
	v_lshlrev_b32_e32 v5, v14, v5
	v_sub_u32_e32 v13, 30, v13
	v_and_b32_e32 v5, 3, v5
	v_cmp_eq_u32_e32 vcc, 0, v11
	v_cndmask_b32_e32 v11, v11, v13, vcc
	v_cndmask_b32_e32 v5, v10, v5, vcc
	v_mov_b32_e32 v10, 0x37800000
	v_lshlrev_b32_e32 v5, 21, v5
	v_and_b32_e32 v7, 0x80000000, v7
	v_lshl_add_u32 v10, v11, 23, v10
	v_or3_b32 v5, v7, v10, v5
	v_cvt_f16_f32_e32 v10, v5
.LBB7_1582:
	s_or_b64 exec, exec, s[10:11]
	s_mov_b64 s[6:7], 0
	s_branch .LBB7_1588
.LBB7_1583:
	s_mov_b64 s[6:7], -1
                                        ; implicit-def: $vgpr10
	s_branch .LBB7_1594
.LBB7_1584:
	s_or_saveexec_b64 s[12:13], s[12:13]
	v_mov_b32_e32 v10, s16
	s_xor_b64 exec, exec, s[12:13]
	s_cbranch_execz .LBB7_1567
.LBB7_1585:
	v_cmp_ne_u16_e32 vcc, 0, v5
	s_andn2_b64 s[10:11], s[10:11], exec
	s_and_b64 s[14:15], vcc, exec
	s_or_b64 s[10:11], s[10:11], s[14:15]
	v_mov_b32_e32 v10, v5
	s_or_b64 exec, exec, s[12:13]
	s_and_saveexec_b64 s[12:13], s[10:11]
	s_cbranch_execnz .LBB7_1568
	s_branch .LBB7_1569
.LBB7_1586:
	s_mov_b64 s[6:7], -1
                                        ; implicit-def: $vgpr10
	s_branch .LBB7_1591
.LBB7_1587:
	s_mov_b64 s[6:7], -1
                                        ; implicit-def: $vgpr10
.LBB7_1588:
	s_and_b64 vcc, exec, s[6:7]
	s_cbranch_vccz .LBB7_1590
; %bb.1589:
	global_load_ubyte v5, v[8:9], off
	s_mov_b32 s6, 0x7f800000
	s_waitcnt vmcnt(0)
	v_lshlrev_b32_e32 v5, 24, v5
	v_and_b32_e32 v7, 0x7f000000, v5
	v_ffbh_u32_e32 v10, v7
	v_min_u32_e32 v10, 32, v10
	v_sub_u32_e64 v10, v10, 4 clamp
	v_lshlrev_b32_e32 v13, v10, v7
	v_lshlrev_b32_e32 v10, 23, v10
	v_lshrrev_b32_e32 v13, 4, v13
	v_add_u32_e32 v11, 0x1000000, v7
	v_sub_u32_e32 v10, v13, v10
	v_ashrrev_i32_e32 v11, 8, v11
	v_add_u32_e32 v10, 0x3c000000, v10
	v_and_or_b32 v10, v11, s6, v10
	v_cmp_ne_u32_e32 vcc, 0, v7
	v_cndmask_b32_e32 v7, 0, v10, vcc
	s_brev_b32 s6, 1
	v_and_or_b32 v5, v5, s6, v7
	v_cvt_f16_f32_e32 v10, v5
.LBB7_1590:
	s_mov_b64 s[6:7], 0
.LBB7_1591:
	s_andn2_b64 vcc, exec, s[6:7]
	s_cbranch_vccnz .LBB7_1593
; %bb.1592:
	global_load_ubyte v5, v[8:9], off
	s_movk_i32 s6, 0x7f00
	s_brev_b32 s7, 16
	s_waitcnt vmcnt(0)
	v_lshlrev_b16_e32 v7, 8, v5
	v_lshlrev_b32_e32 v5, 25, v5
	v_lshrrev_b32_e32 v10, 4, v5
	v_and_or_b32 v11, v7, s6, 0.5
	v_or_b32_e32 v10, 0x70000000, v10
	v_add_f32_e32 v11, -0.5, v11
	v_mul_f32_e32 v10, 0x7800000, v10
	v_cmp_gt_u32_e32 vcc, s7, v5
	v_bfe_i32 v7, v7, 0, 16
	v_cndmask_b32_e32 v5, v10, v11, vcc
	s_brev_b32 s6, 1
	v_and_or_b32 v5, v7, s6, v5
	v_cvt_f16_f32_e32 v10, v5
.LBB7_1593:
	s_mov_b64 s[6:7], 0
	s_mov_b64 s[10:11], -1
.LBB7_1594:
	s_andn2_b64 vcc, exec, s[6:7]
	s_mov_b64 s[6:7], 0
	s_cbranch_vccnz .LBB7_1605
; %bb.1595:
	v_mov_b32_e32 v5, 14
	v_cmp_gt_i16_sdwa s[6:7], s18, v5 src0_sel:BYTE_0 src1_sel:DWORD
	s_and_b64 vcc, exec, s[6:7]
	s_cbranch_vccz .LBB7_1598
; %bb.1596:
	v_mov_b32_e32 v5, 15
	v_cmp_eq_u16_sdwa s[0:1], s18, v5 src0_sel:BYTE_0 src1_sel:DWORD
	s_and_b64 vcc, exec, s[0:1]
	s_cbranch_vccz .LBB7_1601
; %bb.1597:
	global_load_ushort v5, v[8:9], off
	s_mov_b64 s[0:1], 0
	s_mov_b64 s[10:11], -1
	s_waitcnt vmcnt(0)
	v_lshlrev_b32_e32 v5, 16, v5
	v_cvt_f16_f32_e32 v10, v5
	s_branch .LBB7_1602
.LBB7_1598:
	s_mov_b64 s[12:13], -1
                                        ; implicit-def: $vgpr10
	s_branch .LBB7_1603
.LBB7_1599:
	s_or_saveexec_b64 s[10:11], s[10:11]
	v_mov_b32_e32 v10, s14
	s_xor_b64 exec, exec, s[10:11]
	s_cbranch_execz .LBB7_1580
.LBB7_1600:
	v_cmp_ne_u16_e32 vcc, 0, v5
	s_andn2_b64 s[6:7], s[6:7], exec
	s_and_b64 s[12:13], vcc, exec
	s_or_b64 s[6:7], s[6:7], s[12:13]
	v_mov_b32_e32 v10, v5
	s_or_b64 exec, exec, s[10:11]
	s_and_saveexec_b64 s[10:11], s[6:7]
	s_cbranch_execnz .LBB7_1581
	s_branch .LBB7_1582
.LBB7_1601:
	s_mov_b64 s[0:1], -1
                                        ; implicit-def: $vgpr10
.LBB7_1602:
	s_mov_b64 s[12:13], 0
.LBB7_1603:
	s_mov_b64 s[6:7], 0
	s_and_b64 vcc, exec, s[12:13]
	s_cbranch_vccz .LBB7_1605
; %bb.1604:
	v_mov_b32_e32 v5, 11
	v_cmp_ne_u16_sdwa s[0:1], s18, v5 src0_sel:BYTE_0 src1_sel:DWORD
	s_mov_b64 s[6:7], -1
                                        ; implicit-def: $vgpr10
.LBB7_1605:
	s_and_b64 vcc, exec, s[0:1]
	s_cbranch_vccnz .LBB7_1715
; %bb.1606:
	s_andn2_b64 vcc, exec, s[6:7]
	s_cbranch_vccnz .LBB7_1608
.LBB7_1607:
	global_load_ubyte v5, v[8:9], off
	v_mov_b32_e32 v7, 0x3c00
	s_mov_b64 s[10:11], -1
	s_waitcnt vmcnt(0)
	v_cmp_ne_u16_e32 vcc, 0, v5
	v_cndmask_b32_e32 v10, 0, v7, vcc
.LBB7_1608:
	s_mov_b64 s[0:1], 0
.LBB7_1609:
	s_and_b64 vcc, exec, s[0:1]
	s_cbranch_vccz .LBB7_1658
; %bb.1610:
	v_mov_b32_e32 v5, 5
	v_cmp_lt_i16_sdwa s[0:1], s18, v5 src0_sel:BYTE_0 src1_sel:DWORD
	s_and_b64 vcc, exec, s[0:1]
	s_cbranch_vccnz .LBB7_1615
; %bb.1611:
	v_mov_b32_e32 v5, 8
	v_cmp_lt_i16_sdwa s[0:1], s18, v5 src0_sel:BYTE_0 src1_sel:DWORD
	s_and_b64 vcc, exec, s[0:1]
	s_cbranch_vccnz .LBB7_1616
	;; [unrolled: 5-line block ×3, first 2 shown]
; %bb.1613:
	v_cmp_gt_i16_sdwa s[0:1], s18, v5 src0_sel:BYTE_0 src1_sel:DWORD
	s_and_b64 vcc, exec, s[0:1]
	s_cbranch_vccz .LBB7_1618
; %bb.1614:
	global_load_dwordx2 v[10:11], v[8:9], off
	s_mov_b64 s[0:1], 0
	s_waitcnt vmcnt(0)
	v_cvt_f32_f64_e32 v5, v[10:11]
	v_cvt_f16_f32_e32 v10, v5
	s_branch .LBB7_1619
.LBB7_1615:
	s_mov_b64 s[0:1], -1
                                        ; implicit-def: $vgpr10
	s_branch .LBB7_1637
.LBB7_1616:
	s_mov_b64 s[0:1], -1
                                        ; implicit-def: $vgpr10
	s_branch .LBB7_1625
.LBB7_1617:
	s_mov_b64 s[0:1], -1
                                        ; implicit-def: $vgpr10
	s_branch .LBB7_1622
.LBB7_1618:
	s_mov_b64 s[0:1], -1
                                        ; implicit-def: $vgpr10
.LBB7_1619:
	s_andn2_b64 vcc, exec, s[0:1]
	s_cbranch_vccnz .LBB7_1621
; %bb.1620:
	global_load_dword v5, v[8:9], off
	s_waitcnt vmcnt(0)
	v_cvt_f16_f32_e32 v10, v5
.LBB7_1621:
	s_mov_b64 s[0:1], 0
.LBB7_1622:
	s_andn2_b64 vcc, exec, s[0:1]
	s_cbranch_vccnz .LBB7_1624
; %bb.1623:
	global_load_dword v10, v[8:9], off
.LBB7_1624:
	s_mov_b64 s[0:1], 0
.LBB7_1625:
	s_andn2_b64 vcc, exec, s[0:1]
	s_cbranch_vccnz .LBB7_1636
; %bb.1626:
	v_mov_b32_e32 v5, 6
	v_cmp_lt_i16_sdwa s[0:1], s18, v5 src0_sel:BYTE_0 src1_sel:DWORD
	s_and_b64 vcc, exec, s[0:1]
	s_cbranch_vccnz .LBB7_1629
; %bb.1627:
	v_cmp_gt_i16_sdwa s[0:1], s18, v5 src0_sel:BYTE_0 src1_sel:DWORD
	s_and_b64 vcc, exec, s[0:1]
	s_cbranch_vccz .LBB7_1630
; %bb.1628:
	global_load_dwordx2 v[10:11], v[8:9], off
	s_mov_b64 s[0:1], 0
	s_waitcnt vmcnt(0)
	v_cvt_f32_f64_e32 v5, v[10:11]
	v_cvt_f16_f32_e32 v10, v5
	s_branch .LBB7_1631
.LBB7_1629:
	s_mov_b64 s[0:1], -1
                                        ; implicit-def: $vgpr10
	s_branch .LBB7_1634
.LBB7_1630:
	s_mov_b64 s[0:1], -1
                                        ; implicit-def: $vgpr10
.LBB7_1631:
	s_andn2_b64 vcc, exec, s[0:1]
	s_cbranch_vccnz .LBB7_1633
; %bb.1632:
	global_load_dword v5, v[8:9], off
	s_waitcnt vmcnt(0)
	v_cvt_f16_f32_e32 v10, v5
.LBB7_1633:
	s_mov_b64 s[0:1], 0
.LBB7_1634:
	s_andn2_b64 vcc, exec, s[0:1]
	s_cbranch_vccnz .LBB7_1636
; %bb.1635:
	global_load_ushort v10, v[8:9], off
.LBB7_1636:
	s_mov_b64 s[0:1], 0
.LBB7_1637:
	s_andn2_b64 vcc, exec, s[0:1]
	s_cbranch_vccnz .LBB7_1657
; %bb.1638:
	v_mov_b32_e32 v5, 2
	v_cmp_lt_i16_sdwa s[0:1], s18, v5 src0_sel:BYTE_0 src1_sel:DWORD
	s_and_b64 vcc, exec, s[0:1]
	s_cbranch_vccnz .LBB7_1642
; %bb.1639:
	v_mov_b32_e32 v5, 3
	v_cmp_lt_i16_sdwa s[0:1], s18, v5 src0_sel:BYTE_0 src1_sel:DWORD
	s_and_b64 vcc, exec, s[0:1]
	s_cbranch_vccnz .LBB7_1643
; %bb.1640:
	v_cmp_gt_i16_sdwa s[0:1], s18, v5 src0_sel:BYTE_0 src1_sel:DWORD
	s_and_b64 vcc, exec, s[0:1]
	s_cbranch_vccz .LBB7_1644
; %bb.1641:
	global_load_dwordx2 v[10:11], v[8:9], off
	s_mov_b64 s[0:1], 0
	s_waitcnt vmcnt(0)
	v_xor_b32_e32 v7, v10, v11
	v_ffbh_i32_e32 v5, v11
	v_ashrrev_i32_e32 v7, 31, v7
	v_add_u32_e32 v5, -1, v5
	v_add_u32_e32 v7, 32, v7
	v_min_u32_e32 v5, v5, v7
	v_lshlrev_b64 v[10:11], v5, v[10:11]
	v_min_u32_e32 v7, 1, v10
	v_or_b32_e32 v7, v11, v7
	v_cvt_f32_i32_e32 v7, v7
	v_sub_u32_e32 v5, 32, v5
	v_ldexp_f32 v5, v7, v5
	v_cvt_f16_f32_e32 v10, v5
	s_branch .LBB7_1645
.LBB7_1642:
	s_mov_b64 s[0:1], -1
                                        ; implicit-def: $vgpr10
	s_branch .LBB7_1651
.LBB7_1643:
	s_mov_b64 s[0:1], -1
                                        ; implicit-def: $vgpr10
	s_branch .LBB7_1648
.LBB7_1644:
	s_mov_b64 s[0:1], -1
                                        ; implicit-def: $vgpr10
.LBB7_1645:
	s_andn2_b64 vcc, exec, s[0:1]
	s_cbranch_vccnz .LBB7_1647
; %bb.1646:
	global_load_dword v5, v[8:9], off
	s_waitcnt vmcnt(0)
	v_cvt_f32_i32_e32 v5, v5
	v_cvt_f16_f32_e32 v10, v5
.LBB7_1647:
	s_mov_b64 s[0:1], 0
.LBB7_1648:
	s_andn2_b64 vcc, exec, s[0:1]
	s_cbranch_vccnz .LBB7_1650
; %bb.1649:
	global_load_ushort v5, v[8:9], off
	s_waitcnt vmcnt(0)
	v_cvt_f16_i16_e32 v10, v5
.LBB7_1650:
	s_mov_b64 s[0:1], 0
.LBB7_1651:
	s_andn2_b64 vcc, exec, s[0:1]
	s_cbranch_vccnz .LBB7_1657
; %bb.1652:
	v_mov_b32_e32 v5, 0
	v_cmp_gt_i16_sdwa s[0:1], s18, v5 src0_sel:BYTE_0 src1_sel:DWORD
	s_and_b64 vcc, exec, s[0:1]
	s_cbranch_vccz .LBB7_1654
; %bb.1653:
	global_load_sbyte v5, v[8:9], off
	s_mov_b64 s[0:1], 0
	s_waitcnt vmcnt(0)
	v_cvt_f16_i16_e32 v10, v5
	s_branch .LBB7_1655
.LBB7_1654:
	s_mov_b64 s[0:1], -1
                                        ; implicit-def: $vgpr10
.LBB7_1655:
	s_andn2_b64 vcc, exec, s[0:1]
	s_cbranch_vccnz .LBB7_1657
; %bb.1656:
	global_load_ubyte v5, v[8:9], off
	s_waitcnt vmcnt(0)
	v_cvt_f16_u16_e32 v10, v5
.LBB7_1657:
	s_mov_b64 s[10:11], -1
.LBB7_1658:
	s_andn2_b64 vcc, exec, s[10:11]
	s_cbranch_vccnz .LBB7_1666
; %bb.1659:
	s_load_dword s0, s[4:5], 0x160
	s_load_dword s1, s[34:35], 0x15c
	v_mov_b32_e32 v5, 0x7fff
	v_add_co_u32_e32 v6, vcc, s8, v6
	s_waitcnt lgkmcnt(0)
	s_lshr_b32 s0, s0, 16
	s_and_b32 s16, s1, 0xff
	v_and_b32_e32 v9, s0, v5
	v_mov_b32_e32 v5, s9
	s_waitcnt vmcnt(0)
	v_and_b32_e32 v1, 0xffff8000, v1
	v_addc_co_u32_e32 v7, vcc, 0, v5, vcc
	v_cmp_lt_i16_e64 s[4:5], s16, 11
	v_or_b32_e32 v1, v1, v9
	s_and_b64 vcc, exec, s[4:5]
	s_cbranch_vccnz .LBB7_1712
; %bb.1660:
	v_cmp_gt_i16_e64 s[0:1], s16, 25
	s_mov_b64 s[12:13], -1
	s_mov_b64 s[6:7], 0
	s_and_b64 vcc, exec, s[0:1]
	s_mov_b64 s[10:11], 0
	s_mov_b64 s[0:1], 0
	s_cbranch_vccz .LBB7_1744
; %bb.1661:
	v_cmp_gt_i16_e64 s[0:1], s16, 28
	s_and_b64 vcc, exec, s[0:1]
	s_cbranch_vccz .LBB7_1713
; %bb.1662:
	v_cmp_gt_i16_e64 s[0:1], s16, 43
	s_and_b64 vcc, exec, s[0:1]
	;; [unrolled: 4-line block ×3, first 2 shown]
	s_cbranch_vccz .LBB7_1716
; %bb.1664:
	v_cmp_eq_u16_e64 s[10:11], s16, 46
	s_mov_b64 s[0:1], -1
	s_mov_b64 s[12:13], 0
	s_and_b64 vcc, exec, s[10:11]
	s_mov_b64 s[10:11], 0
	s_cbranch_vccz .LBB7_1717
; %bb.1665:
	v_cvt_f32_f16_e32 v5, v1
	s_movk_i32 s0, 0x7fff
	v_mov_b32_e32 v8, 0x7fc0
	v_cmp_o_f16_e32 vcc, v1, v1
	v_bfe_u32 v11, v5, 16, 1
	v_add3_u32 v5, v5, v11, s0
	v_lshrrev_b32_e32 v5, 16, v5
	v_cndmask_b32_e32 v5, v8, v5, vcc
	global_store_dword v[6:7], v5, off
	s_mov_b64 s[0:1], 0
	s_mov_b64 s[10:11], -1
	s_branch .LBB7_1717
.LBB7_1666:
	s_mov_b64 s[0:1], 0
                                        ; implicit-def: $vgpr0_vgpr1
                                        ; implicit-def: $sgpr16
                                        ; implicit-def: $vgpr2
                                        ; implicit-def: $vgpr9
.LBB7_1667:
	s_mov_b64 s[4:5], 0
.LBB7_1668:
	s_and_b64 s[6:7], s[4:5], exec
	s_andn2_b64 s[4:5], s[28:29], exec
	s_and_b64 s[2:3], s[2:3], exec
	s_and_b64 s[0:1], s[0:1], exec
	s_or_b64 s[28:29], s[4:5], s[2:3]
.LBB7_1669:
	s_or_b64 exec, exec, s[30:31]
	s_and_saveexec_b64 s[2:3], s[28:29]
	s_cbranch_execz .LBB7_1672
; %bb.1670:
	; divergent unreachable
	s_or_b64 exec, exec, s[2:3]
	s_and_saveexec_b64 s[2:3], s[6:7]
	s_xor_b64 s[2:3], exec, s[2:3]
	s_cbranch_execnz .LBB7_1673
.LBB7_1671:
	s_or_b64 exec, exec, s[2:3]
	s_and_saveexec_b64 s[2:3], s[0:1]
	s_cbranch_execnz .LBB7_1674
	s_branch .LBB7_1711
.LBB7_1672:
	s_or_b64 exec, exec, s[2:3]
	s_and_saveexec_b64 s[2:3], s[6:7]
	s_xor_b64 s[2:3], exec, s[2:3]
	s_cbranch_execz .LBB7_1671
.LBB7_1673:
	v_cmp_ne_u16_e32 vcc, 0, v9
	s_waitcnt vmcnt(0)
	v_cndmask_b32_e64 v3, 0, 1, vcc
	global_store_byte v[0:1], v3, off
	s_or_b64 exec, exec, s[2:3]
	s_and_saveexec_b64 s[2:3], s[0:1]
	s_cbranch_execz .LBB7_1711
.LBB7_1674:
	v_cmp_lt_i16_e64 s[2:3], s16, 5
	s_mov_b64 s[0:1], -1
	s_and_b64 vcc, exec, s[2:3]
	s_cbranch_vccnz .LBB7_1695
; %bb.1675:
	v_cmp_lt_i16_e64 s[2:3], s16, 8
	s_and_b64 vcc, exec, s[2:3]
	s_cbranch_vccnz .LBB7_1685
; %bb.1676:
	v_cmp_lt_i16_e64 s[2:3], s16, 9
	s_and_b64 vcc, exec, s[2:3]
	s_cbranch_vccnz .LBB7_1682
; %bb.1677:
	v_cmp_gt_i16_e64 s[2:3], s16, 9
	s_and_b64 vcc, exec, s[2:3]
	s_cbranch_vccz .LBB7_1679
; %bb.1678:
	s_waitcnt vmcnt(0)
	v_cvt_f32_f16_e32 v3, v2
	v_mov_b32_e32 v6, 0
	v_mov_b32_e32 v7, v6
	s_mov_b64 s[0:1], 0
	v_cvt_f64_f32_e32 v[4:5], v3
	global_store_dwordx4 v[0:1], v[4:7], off
.LBB7_1679:
	s_andn2_b64 vcc, exec, s[0:1]
	s_cbranch_vccnz .LBB7_1681
; %bb.1680:
	v_cvt_f32_f16_e32 v4, v2
	v_mov_b32_e32 v5, 0
	s_waitcnt vmcnt(0)
	global_store_dwordx2 v[0:1], v[4:5], off
.LBB7_1681:
	s_mov_b64 s[0:1], 0
.LBB7_1682:
	s_andn2_b64 vcc, exec, s[0:1]
	s_cbranch_vccnz .LBB7_1684
; %bb.1683:
	s_waitcnt vmcnt(0)
	v_and_b32_e32 v3, 0xffff, v2
	global_store_dword v[0:1], v3, off
.LBB7_1684:
	s_mov_b64 s[0:1], 0
.LBB7_1685:
	s_andn2_b64 vcc, exec, s[0:1]
	s_cbranch_vccnz .LBB7_1694
; %bb.1686:
	v_cmp_lt_i16_e64 s[2:3], s16, 6
	s_mov_b64 s[0:1], -1
	s_and_b64 vcc, exec, s[2:3]
	s_cbranch_vccnz .LBB7_1692
; %bb.1687:
	v_cmp_gt_i16_e64 s[2:3], s16, 6
	s_and_b64 vcc, exec, s[2:3]
	s_cbranch_vccz .LBB7_1689
; %bb.1688:
	s_waitcnt vmcnt(0)
	v_cvt_f32_f16_e32 v3, v2
	s_mov_b64 s[0:1], 0
	v_cvt_f64_f32_e32 v[4:5], v3
	global_store_dwordx2 v[0:1], v[4:5], off
.LBB7_1689:
	s_andn2_b64 vcc, exec, s[0:1]
	s_cbranch_vccnz .LBB7_1691
; %bb.1690:
	s_waitcnt vmcnt(0)
	v_cvt_f32_f16_e32 v3, v2
	global_store_dword v[0:1], v3, off
.LBB7_1691:
	s_mov_b64 s[0:1], 0
.LBB7_1692:
	s_andn2_b64 vcc, exec, s[0:1]
	s_cbranch_vccnz .LBB7_1694
; %bb.1693:
	s_waitcnt vmcnt(0)
	global_store_short v[0:1], v2, off
.LBB7_1694:
	s_mov_b64 s[0:1], 0
.LBB7_1695:
	s_andn2_b64 vcc, exec, s[0:1]
	s_cbranch_vccnz .LBB7_1711
; %bb.1696:
	v_cmp_lt_i16_e64 s[2:3], s16, 2
	s_mov_b64 s[0:1], -1
	s_and_b64 vcc, exec, s[2:3]
	s_cbranch_vccnz .LBB7_1706
; %bb.1697:
	v_cmp_lt_i16_e64 s[2:3], s16, 3
	s_and_b64 vcc, exec, s[2:3]
	s_cbranch_vccnz .LBB7_1703
; %bb.1698:
	v_cmp_gt_i16_e64 s[2:3], s16, 3
	s_and_b64 vcc, exec, s[2:3]
	s_cbranch_vccz .LBB7_1700
; %bb.1699:
	s_waitcnt vmcnt(0)
	v_cvt_f32_f16_e32 v3, v2
	s_mov_b64 s[0:1], 0
	v_cvt_i32_f32_e32 v4, v3
	v_ashrrev_i32_e32 v5, 31, v4
	global_store_dwordx2 v[0:1], v[4:5], off
.LBB7_1700:
	s_andn2_b64 vcc, exec, s[0:1]
	s_cbranch_vccnz .LBB7_1702
; %bb.1701:
	s_waitcnt vmcnt(0)
	v_cvt_f32_f16_e32 v3, v2
	v_cvt_i32_f32_e32 v3, v3
	global_store_dword v[0:1], v3, off
.LBB7_1702:
	s_mov_b64 s[0:1], 0
.LBB7_1703:
	s_andn2_b64 vcc, exec, s[0:1]
	s_cbranch_vccnz .LBB7_1705
; %bb.1704:
	s_waitcnt vmcnt(0)
	v_cvt_i16_f16_e32 v3, v2
	global_store_short v[0:1], v3, off
.LBB7_1705:
	s_mov_b64 s[0:1], 0
.LBB7_1706:
	s_andn2_b64 vcc, exec, s[0:1]
	s_cbranch_vccnz .LBB7_1711
; %bb.1707:
	v_cmp_gt_i16_e64 s[2:3], s16, 0
	s_mov_b64 s[0:1], -1
	s_and_b64 vcc, exec, s[2:3]
	s_cbranch_vccz .LBB7_1709
; %bb.1708:
	s_waitcnt vmcnt(0)
	v_cvt_i16_f16_e32 v3, v2
	global_store_byte v[0:1], v3, off
	s_mov_b64 s[0:1], 0
.LBB7_1709:
	s_andn2_b64 vcc, exec, s[0:1]
	s_cbranch_vccnz .LBB7_1711
; %bb.1710:
	v_cvt_f32_f16_e32 v2, v2
	v_cvt_i32_f32_e32 v2, v2
	s_waitcnt vmcnt(0)
	global_store_byte v[0:1], v2, off
	s_endpgm
.LBB7_1711:
	s_endpgm
.LBB7_1712:
	s_mov_b64 s[0:1], -1
	s_mov_b64 s[10:11], 0
	s_branch .LBB7_1788
.LBB7_1713:
	s_mov_b64 s[0:1], 0
	s_branch .LBB7_1727
.LBB7_1714:
	s_mov_b64 s[0:1], 0
	s_branch .LBB7_1723
.LBB7_1715:
	s_trap 2
	s_or_b64 s[2:3], s[2:3], exec
                                        ; implicit-def: $vgpr10
	s_cbranch_execz .LBB7_1607
	s_branch .LBB7_1608
.LBB7_1716:
	s_mov_b64 s[0:1], 0
.LBB7_1717:
	s_and_b64 vcc, exec, s[12:13]
	s_cbranch_vccz .LBB7_1722
; %bb.1718:
	v_cmp_eq_u16_e64 s[12:13], s16, 44
	s_mov_b64 s[0:1], -1
	s_and_b64 vcc, exec, s[12:13]
	s_cbranch_vccz .LBB7_1722
; %bb.1719:
	v_cvt_f32_f16_e32 v5, v1
	s_movk_i32 s0, 0xff
	v_mov_b32_e32 v11, 0xff
	v_bfe_u32 v8, v5, 23, 8
	v_cmp_ne_u32_e32 vcc, s0, v8
	s_and_saveexec_b64 s[10:11], vcc
; %bb.1720:
	s_mov_b32 s0, 0x3fffff
	v_lshrrev_b32_e32 v11, 23, v5
	v_and_b32_e32 v13, 0x400000, v5
	v_and_or_b32 v5, v5, s0, v8
	v_cmp_ne_u32_e32 vcc, 0, v13
	v_cmp_ne_u32_e64 s[0:1], 0, v5
	s_and_b64 s[0:1], vcc, s[0:1]
	v_cndmask_b32_e64 v5, 0, 1, s[0:1]
	v_add_u32_e32 v11, v11, v5
; %bb.1721:
	s_or_b64 exec, exec, s[10:11]
	s_mov_b64 s[0:1], 0
	s_mov_b64 s[10:11], -1
	global_store_byte v[6:7], v11, off
.LBB7_1722:
	s_mov_b64 s[12:13], 0
.LBB7_1723:
	s_and_b64 vcc, exec, s[12:13]
	s_cbranch_vccz .LBB7_1726
; %bb.1724:
	v_cmp_eq_u16_e64 s[12:13], s16, 29
	s_mov_b64 s[0:1], -1
	s_and_b64 vcc, exec, s[12:13]
	s_cbranch_vccz .LBB7_1726
; %bb.1725:
	v_cvt_f32_f16_e32 v5, v1
	v_mov_b32_e32 v15, 0
	s_mov_b64 s[0:1], 0
	s_mov_b64 s[10:11], -1
	v_cvt_u32_f32_e32 v14, v5
	s_mov_b64 s[12:13], 0
	global_store_dwordx2 v[6:7], v[14:15], off
	s_branch .LBB7_1727
.LBB7_1726:
	s_mov_b64 s[12:13], 0
.LBB7_1727:
	s_and_b64 vcc, exec, s[12:13]
	s_cbranch_vccz .LBB7_1743
; %bb.1728:
	v_cmp_lt_i16_e64 s[12:13], s16, 27
	s_mov_b64 s[10:11], -1
	s_and_b64 vcc, exec, s[12:13]
	s_cbranch_vccnz .LBB7_1734
; %bb.1729:
	v_cmp_gt_i16_e64 s[12:13], s16, 27
	s_and_b64 vcc, exec, s[12:13]
	s_cbranch_vccz .LBB7_1731
; %bb.1730:
	v_cvt_f32_f16_e32 v5, v1
	s_mov_b64 s[10:11], 0
	v_cvt_u32_f32_e32 v5, v5
	global_store_dword v[6:7], v5, off
.LBB7_1731:
	s_andn2_b64 vcc, exec, s[10:11]
	s_cbranch_vccnz .LBB7_1733
; %bb.1732:
	v_cvt_u16_f16_e32 v5, v1
	global_store_short v[6:7], v5, off
.LBB7_1733:
	s_mov_b64 s[10:11], 0
.LBB7_1734:
	s_andn2_b64 vcc, exec, s[10:11]
	s_cbranch_vccnz .LBB7_1742
; %bb.1735:
	v_cvt_f32_f16_e32 v5, v1
	s_mov_b32 s10, 0x43800000
	v_mov_b32_e32 v11, 0x80
	v_and_b32_e32 v8, 0x7fffffff, v5
	v_cmp_gt_u32_e32 vcc, s10, v8
	s_and_saveexec_b64 s[10:11], vcc
	s_cbranch_execz .LBB7_1741
; %bb.1736:
	s_mov_b32 s12, 0x3bffffff
	v_cmp_lt_u32_e32 vcc, s12, v8
	s_mov_b64 s[12:13], 0
                                        ; implicit-def: $vgpr8
	s_and_saveexec_b64 s[14:15], vcc
	s_xor_b64 s[14:15], exec, s[14:15]
	s_cbranch_execz .LBB7_1837
; %bb.1737:
	v_bfe_u32 v8, v5, 20, 1
	s_mov_b32 s17, 0x487ffff
	v_add3_u32 v8, v5, v8, s17
	s_mov_b64 s[12:13], exec
	v_lshrrev_b32_e32 v8, 20, v8
	s_or_saveexec_b64 s[14:15], s[14:15]
                                        ; implicit-def: $sgpr17
	s_xor_b64 exec, exec, s[14:15]
	s_cbranch_execnz .LBB7_1838
.LBB7_1738:
	s_or_b64 exec, exec, s[14:15]
	v_mov_b32_e32 v11, s17
	s_and_saveexec_b64 s[14:15], s[12:13]
.LBB7_1739:
	v_lshrrev_b32_e32 v5, 24, v5
	s_movk_i32 s12, 0x80
	v_and_or_b32 v11, v5, s12, v8
.LBB7_1740:
	s_or_b64 exec, exec, s[14:15]
.LBB7_1741:
	s_or_b64 exec, exec, s[10:11]
	global_store_byte v[6:7], v11, off
.LBB7_1742:
	s_mov_b64 s[10:11], -1
.LBB7_1743:
	s_mov_b64 s[12:13], 0
.LBB7_1744:
	s_and_b64 vcc, exec, s[12:13]
	s_cbranch_vccz .LBB7_1784
; %bb.1745:
	v_cmp_gt_i16_e64 s[12:13], s16, 22
	s_mov_b64 s[6:7], -1
	s_and_b64 vcc, exec, s[12:13]
	s_cbranch_vccz .LBB7_1777
; %bb.1746:
	v_cmp_lt_i16_e64 s[10:11], s16, 24
	s_and_b64 vcc, exec, s[10:11]
	s_cbranch_vccnz .LBB7_1766
; %bb.1747:
	v_cmp_gt_i16_e64 s[10:11], s16, 24
	s_and_b64 vcc, exec, s[10:11]
	s_cbranch_vccz .LBB7_1755
; %bb.1748:
	v_cvt_f32_f16_e32 v5, v1
	s_mov_b32 s6, 0x47800000
	v_mov_b32_e32 v11, 0x80
	v_and_b32_e32 v8, 0x7fffffff, v5
	v_cmp_gt_u32_e32 vcc, s6, v8
	s_and_saveexec_b64 s[6:7], vcc
	s_cbranch_execz .LBB7_1754
; %bb.1749:
	s_mov_b32 s10, 0x37ffffff
	v_cmp_lt_u32_e32 vcc, s10, v8
	s_mov_b64 s[10:11], 0
                                        ; implicit-def: $vgpr8
	s_and_saveexec_b64 s[12:13], vcc
	s_xor_b64 s[12:13], exec, s[12:13]
	s_cbranch_execz .LBB7_1841
; %bb.1750:
	v_bfe_u32 v8, v5, 21, 1
	s_mov_b32 s14, 0x88fffff
	v_add3_u32 v8, v5, v8, s14
	s_mov_b64 s[10:11], exec
	v_lshrrev_b32_e32 v8, 21, v8
	s_or_saveexec_b64 s[12:13], s[12:13]
                                        ; implicit-def: $sgpr14
	s_xor_b64 exec, exec, s[12:13]
	s_cbranch_execnz .LBB7_1842
.LBB7_1751:
	s_or_b64 exec, exec, s[12:13]
	v_mov_b32_e32 v11, s14
	s_and_saveexec_b64 s[12:13], s[10:11]
.LBB7_1752:
	v_lshrrev_b32_e32 v5, 24, v5
	s_movk_i32 s10, 0x80
	v_and_or_b32 v11, v5, s10, v8
.LBB7_1753:
	s_or_b64 exec, exec, s[12:13]
.LBB7_1754:
	s_or_b64 exec, exec, s[6:7]
	s_mov_b64 s[6:7], 0
	global_store_byte v[6:7], v11, off
.LBB7_1755:
	s_and_b64 vcc, exec, s[6:7]
	s_cbranch_vccz .LBB7_1765
; %bb.1756:
	v_cvt_f32_f16_e32 v5, v1
	s_mov_b32 s6, 0x43f00000
                                        ; implicit-def: $vgpr8
	v_and_b32_e32 v11, 0x7fffffff, v5
	v_cmp_gt_u32_e32 vcc, s6, v11
	s_and_saveexec_b64 s[6:7], vcc
	s_xor_b64 s[6:7], exec, s[6:7]
	s_cbranch_execz .LBB7_1762
; %bb.1757:
	s_mov_b32 s10, 0x3c7fffff
	v_cmp_lt_u32_e32 vcc, s10, v11
                                        ; implicit-def: $vgpr8
	s_and_saveexec_b64 s[10:11], vcc
	s_xor_b64 s[10:11], exec, s[10:11]
; %bb.1758:
	v_bfe_u32 v8, v5, 20, 1
	s_mov_b32 s12, 0x407ffff
	v_add3_u32 v8, v5, v8, s12
	v_lshrrev_b32_e32 v11, 20, v8
	v_and_b32_e32 v8, 0xff00000, v8
	s_mov_b32 s12, 0x7f00000
	v_mov_b32_e32 v13, 0x7e
	v_cmp_ne_u32_e32 vcc, s12, v8
	v_cndmask_b32_e32 v8, v13, v11, vcc
; %bb.1759:
	s_andn2_saveexec_b64 s[10:11], s[10:11]
; %bb.1760:
	s_mov_b32 s12, 0x46800000
	v_add_f32_e64 v8, |v5|, s12
; %bb.1761:
	s_or_b64 exec, exec, s[10:11]
                                        ; implicit-def: $vgpr11
.LBB7_1762:
	s_andn2_saveexec_b64 s[6:7], s[6:7]
; %bb.1763:
	s_mov_b32 s10, 0x7f800000
	v_mov_b32_e32 v8, 0x7e
	v_mov_b32_e32 v13, 0x7f
	v_cmp_lt_u32_e32 vcc, s10, v11
	v_cndmask_b32_e32 v8, v8, v13, vcc
; %bb.1764:
	s_or_b64 exec, exec, s[6:7]
	v_lshrrev_b32_e32 v5, 24, v5
	s_movk_i32 s6, 0x80
	v_and_or_b32 v5, v5, s6, v8
	global_store_byte v[6:7], v5, off
.LBB7_1765:
	s_mov_b64 s[6:7], 0
.LBB7_1766:
	s_andn2_b64 vcc, exec, s[6:7]
	s_cbranch_vccnz .LBB7_1776
; %bb.1767:
	v_cvt_f32_f16_e32 v5, v1
	s_mov_b32 s6, 0x47800000
                                        ; implicit-def: $vgpr8
	v_and_b32_e32 v11, 0x7fffffff, v5
	v_cmp_gt_u32_e32 vcc, s6, v11
	s_and_saveexec_b64 s[6:7], vcc
	s_xor_b64 s[6:7], exec, s[6:7]
	s_cbranch_execz .LBB7_1773
; %bb.1768:
	s_mov_b32 s10, 0x387fffff
	v_cmp_lt_u32_e32 vcc, s10, v11
                                        ; implicit-def: $vgpr8
	s_and_saveexec_b64 s[10:11], vcc
	s_xor_b64 s[10:11], exec, s[10:11]
; %bb.1769:
	v_bfe_u32 v8, v5, 21, 1
	s_mov_b32 s12, 0x80fffff
	v_add3_u32 v8, v5, v8, s12
	v_lshrrev_b32_e32 v8, 21, v8
; %bb.1770:
	s_andn2_saveexec_b64 s[10:11], s[10:11]
; %bb.1771:
	s_mov_b32 s12, 0x43000000
	v_add_f32_e64 v8, |v5|, s12
; %bb.1772:
	s_or_b64 exec, exec, s[10:11]
                                        ; implicit-def: $vgpr11
.LBB7_1773:
	s_andn2_saveexec_b64 s[6:7], s[6:7]
; %bb.1774:
	s_mov_b32 s10, 0x7f800000
	v_mov_b32_e32 v8, 0x7c
	v_mov_b32_e32 v13, 0x7f
	v_cmp_lt_u32_e32 vcc, s10, v11
	v_cndmask_b32_e32 v8, v8, v13, vcc
; %bb.1775:
	s_or_b64 exec, exec, s[6:7]
	v_lshrrev_b32_e32 v5, 24, v5
	s_movk_i32 s6, 0x80
	v_and_or_b32 v5, v5, s6, v8
	global_store_byte v[6:7], v5, off
.LBB7_1776:
	s_mov_b64 s[6:7], 0
	s_mov_b64 s[10:11], -1
.LBB7_1777:
	s_andn2_b64 vcc, exec, s[6:7]
	s_mov_b64 s[6:7], 0
	s_cbranch_vccnz .LBB7_1784
; %bb.1778:
	v_cmp_gt_i16_e64 s[6:7], s16, 14
	s_mov_b64 s[12:13], -1
	s_and_b64 vcc, exec, s[6:7]
	s_cbranch_vccz .LBB7_1782
; %bb.1779:
	v_cmp_eq_u16_e64 s[6:7], s16, 15
	s_mov_b64 s[0:1], -1
	s_and_b64 vcc, exec, s[6:7]
	s_cbranch_vccz .LBB7_1781
; %bb.1780:
	v_cvt_f32_f16_e32 v5, v1
	s_movk_i32 s0, 0x7fff
	v_mov_b32_e32 v8, 0x7fc0
	v_cmp_o_f16_e32 vcc, v1, v1
	v_bfe_u32 v11, v5, 16, 1
	v_add3_u32 v5, v5, v11, s0
	v_lshrrev_b32_e32 v5, 16, v5
	v_cndmask_b32_e32 v5, v8, v5, vcc
	global_store_short v[6:7], v5, off
	s_mov_b64 s[0:1], 0
	s_mov_b64 s[10:11], -1
.LBB7_1781:
	s_mov_b64 s[12:13], 0
.LBB7_1782:
	s_mov_b64 s[6:7], 0
	s_and_b64 vcc, exec, s[12:13]
	s_cbranch_vccz .LBB7_1784
; %bb.1783:
	v_cmp_ne_u16_e64 s[0:1], s16, 11
	s_mov_b64 s[6:7], -1
.LBB7_1784:
	s_and_b64 vcc, exec, s[0:1]
	s_cbranch_vccnz .LBB7_1840
; %bb.1785:
	s_andn2_b64 vcc, exec, s[6:7]
	s_cbranch_vccnz .LBB7_1787
.LBB7_1786:
	v_cmp_ne_u16_e32 vcc, 0, v9
	v_cndmask_b32_e64 v5, 0, 1, vcc
	s_mov_b64 s[10:11], -1
	global_store_byte v[6:7], v5, off
.LBB7_1787:
	s_mov_b64 s[0:1], 0
.LBB7_1788:
	s_and_b64 vcc, exec, s[0:1]
	s_cbranch_vccz .LBB7_1827
; %bb.1789:
	v_cmp_lt_i16_e64 s[6:7], s16, 5
	s_mov_b64 s[0:1], -1
	s_and_b64 vcc, exec, s[6:7]
	s_cbranch_vccnz .LBB7_1810
; %bb.1790:
	v_cmp_lt_i16_e64 s[6:7], s16, 8
	s_and_b64 vcc, exec, s[6:7]
	s_cbranch_vccnz .LBB7_1800
; %bb.1791:
	v_cmp_lt_i16_e64 s[6:7], s16, 9
	s_and_b64 vcc, exec, s[6:7]
	s_cbranch_vccnz .LBB7_1797
; %bb.1792:
	v_cmp_gt_i16_e64 s[6:7], s16, 9
	s_and_b64 vcc, exec, s[6:7]
	s_cbranch_vccz .LBB7_1794
; %bb.1793:
	v_cvt_f32_f16_e32 v5, v1
	v_mov_b32_e32 v16, 0
	v_mov_b32_e32 v17, v16
	s_mov_b64 s[0:1], 0
	v_cvt_f64_f32_e32 v[14:15], v5
	global_store_dwordx4 v[6:7], v[14:17], off
.LBB7_1794:
	s_andn2_b64 vcc, exec, s[0:1]
	s_cbranch_vccnz .LBB7_1796
; %bb.1795:
	v_cvt_f32_f16_e32 v14, v1
	v_mov_b32_e32 v15, 0
	global_store_dwordx2 v[6:7], v[14:15], off
.LBB7_1796:
	s_mov_b64 s[0:1], 0
.LBB7_1797:
	s_andn2_b64 vcc, exec, s[0:1]
	s_cbranch_vccnz .LBB7_1799
; %bb.1798:
	v_and_b32_e32 v5, 0xffff, v1
	global_store_dword v[6:7], v5, off
.LBB7_1799:
	s_mov_b64 s[0:1], 0
.LBB7_1800:
	s_andn2_b64 vcc, exec, s[0:1]
	s_cbranch_vccnz .LBB7_1809
; %bb.1801:
	v_cmp_lt_i16_e64 s[6:7], s16, 6
	s_mov_b64 s[0:1], -1
	s_and_b64 vcc, exec, s[6:7]
	s_cbranch_vccnz .LBB7_1807
; %bb.1802:
	v_cmp_gt_i16_e64 s[6:7], s16, 6
	s_and_b64 vcc, exec, s[6:7]
	s_cbranch_vccz .LBB7_1804
; %bb.1803:
	v_cvt_f32_f16_e32 v5, v1
	s_mov_b64 s[0:1], 0
	v_cvt_f64_f32_e32 v[14:15], v5
	global_store_dwordx2 v[6:7], v[14:15], off
.LBB7_1804:
	s_andn2_b64 vcc, exec, s[0:1]
	s_cbranch_vccnz .LBB7_1806
; %bb.1805:
	v_cvt_f32_f16_e32 v5, v1
	global_store_dword v[6:7], v5, off
.LBB7_1806:
	s_mov_b64 s[0:1], 0
.LBB7_1807:
	s_andn2_b64 vcc, exec, s[0:1]
	s_cbranch_vccnz .LBB7_1809
; %bb.1808:
	global_store_short v[6:7], v1, off
.LBB7_1809:
	s_mov_b64 s[0:1], 0
.LBB7_1810:
	s_andn2_b64 vcc, exec, s[0:1]
	s_cbranch_vccnz .LBB7_1826
; %bb.1811:
	v_cmp_lt_i16_e64 s[6:7], s16, 2
	s_mov_b64 s[0:1], -1
	s_and_b64 vcc, exec, s[6:7]
	s_cbranch_vccnz .LBB7_1821
; %bb.1812:
	v_cmp_lt_i16_e64 s[6:7], s16, 3
	s_and_b64 vcc, exec, s[6:7]
	s_cbranch_vccnz .LBB7_1818
; %bb.1813:
	v_cmp_gt_i16_e64 s[6:7], s16, 3
	s_and_b64 vcc, exec, s[6:7]
	s_cbranch_vccz .LBB7_1815
; %bb.1814:
	v_cvt_f32_f16_e32 v5, v1
	s_mov_b64 s[0:1], 0
	v_cvt_i32_f32_e32 v14, v5
	v_ashrrev_i32_e32 v15, 31, v14
	global_store_dwordx2 v[6:7], v[14:15], off
.LBB7_1815:
	s_andn2_b64 vcc, exec, s[0:1]
	s_cbranch_vccnz .LBB7_1817
; %bb.1816:
	v_cvt_f32_f16_e32 v5, v1
	v_cvt_i32_f32_e32 v5, v5
	global_store_dword v[6:7], v5, off
.LBB7_1817:
	s_mov_b64 s[0:1], 0
.LBB7_1818:
	s_andn2_b64 vcc, exec, s[0:1]
	s_cbranch_vccnz .LBB7_1820
; %bb.1819:
	v_cvt_i16_f16_e32 v5, v1
	global_store_short v[6:7], v5, off
.LBB7_1820:
	s_mov_b64 s[0:1], 0
.LBB7_1821:
	s_andn2_b64 vcc, exec, s[0:1]
	s_cbranch_vccnz .LBB7_1826
; %bb.1822:
	v_cmp_gt_i16_e64 s[6:7], s16, 0
	s_mov_b64 s[0:1], -1
	s_and_b64 vcc, exec, s[6:7]
	s_cbranch_vccz .LBB7_1824
; %bb.1823:
	v_cvt_i16_f16_e32 v5, v1
	global_store_byte v[6:7], v5, off
	s_mov_b64 s[0:1], 0
.LBB7_1824:
	s_andn2_b64 vcc, exec, s[0:1]
	s_cbranch_vccnz .LBB7_1826
; %bb.1825:
	v_cvt_f32_f16_e32 v1, v1
	v_cvt_i32_f32_e32 v1, v1
	global_store_byte v[6:7], v1, off
.LBB7_1826:
	s_mov_b64 s[10:11], -1
.LBB7_1827:
	s_andn2_b64 vcc, exec, s[10:11]
	s_cbranch_vccnz .LBB7_2090
; %bb.1828:
	v_and_b32_e32 v1, 0xffff8000, v3
	v_mov_b32_e32 v3, s9
	v_add_co_u32_e32 v4, vcc, s8, v4
	v_addc_co_u32_e32 v5, vcc, 0, v3, vcc
	v_or_b32_e32 v1, v1, v9
	s_and_b64 vcc, exec, s[4:5]
	s_cbranch_vccnz .LBB7_1835
; %bb.1829:
	v_cmp_gt_i16_e64 s[0:1], s16, 25
	s_mov_b64 s[12:13], -1
	s_mov_b64 s[6:7], 0
	s_and_b64 vcc, exec, s[0:1]
	s_mov_b64 s[10:11], 0
	s_mov_b64 s[0:1], 0
	s_cbranch_vccz .LBB7_1871
; %bb.1830:
	v_cmp_gt_i16_e64 s[0:1], s16, 28
	s_and_b64 vcc, exec, s[0:1]
	s_cbranch_vccz .LBB7_1836
; %bb.1831:
	v_cmp_gt_i16_e64 s[0:1], s16, 43
	s_and_b64 vcc, exec, s[0:1]
	;; [unrolled: 4-line block ×3, first 2 shown]
	s_cbranch_vccz .LBB7_1843
; %bb.1833:
	v_cmp_eq_u16_e64 s[10:11], s16, 46
	s_mov_b64 s[0:1], -1
	s_mov_b64 s[12:13], 0
	s_and_b64 vcc, exec, s[10:11]
	s_mov_b64 s[10:11], 0
	s_cbranch_vccz .LBB7_1844
; %bb.1834:
	v_cvt_f32_f16_e32 v3, v1
	s_movk_i32 s0, 0x7fff
	v_mov_b32_e32 v6, 0x7fc0
	v_cmp_o_f16_e32 vcc, v1, v1
	v_bfe_u32 v7, v3, 16, 1
	v_add3_u32 v3, v3, v7, s0
	v_lshrrev_b32_e32 v3, 16, v3
	v_cndmask_b32_e32 v3, v6, v3, vcc
	global_store_dword v[4:5], v3, off
	s_mov_b64 s[0:1], 0
	s_mov_b64 s[10:11], -1
	s_branch .LBB7_1844
.LBB7_1835:
	s_mov_b64 s[0:1], -1
	s_mov_b64 s[10:11], 0
	s_branch .LBB7_1915
.LBB7_1836:
	s_mov_b64 s[0:1], 0
	s_branch .LBB7_1854
.LBB7_1837:
	s_or_saveexec_b64 s[14:15], s[14:15]
                                        ; implicit-def: $sgpr17
	s_xor_b64 exec, exec, s[14:15]
	s_cbranch_execz .LBB7_1738
.LBB7_1838:
	s_mov_b32 s17, 0x46000000
	v_add_f32_e64 v8, |v5|, s17
	v_and_b32_e32 v8, 0xff, v8
	v_cmp_ne_u32_e32 vcc, 0, v8
	s_andn2_b64 s[12:13], s[12:13], exec
	s_and_b64 s[18:19], vcc, exec
	s_mov_b32 s17, 0
	s_or_b64 s[12:13], s[12:13], s[18:19]
	s_or_b64 exec, exec, s[14:15]
	v_mov_b32_e32 v11, s17
	s_and_saveexec_b64 s[14:15], s[12:13]
	s_cbranch_execnz .LBB7_1739
	s_branch .LBB7_1740
.LBB7_1839:
	s_mov_b64 s[0:1], 0
	s_branch .LBB7_1850
.LBB7_1840:
	s_trap 2
	s_or_b64 s[2:3], s[2:3], exec
	s_cbranch_execz .LBB7_1786
	s_branch .LBB7_1787
.LBB7_1841:
	s_or_saveexec_b64 s[12:13], s[12:13]
                                        ; implicit-def: $sgpr14
	s_xor_b64 exec, exec, s[12:13]
	s_cbranch_execz .LBB7_1751
.LBB7_1842:
	s_mov_b32 s14, 0x42800000
	v_add_f32_e64 v8, |v5|, s14
	v_and_b32_e32 v8, 0xff, v8
	v_cmp_ne_u32_e32 vcc, 0, v8
	s_andn2_b64 s[10:11], s[10:11], exec
	s_and_b64 s[18:19], vcc, exec
	s_mov_b32 s14, 0
	s_or_b64 s[10:11], s[10:11], s[18:19]
	s_or_b64 exec, exec, s[12:13]
	v_mov_b32_e32 v11, s14
	s_and_saveexec_b64 s[12:13], s[10:11]
	s_cbranch_execnz .LBB7_1752
	s_branch .LBB7_1753
.LBB7_1843:
	s_mov_b64 s[0:1], 0
.LBB7_1844:
	s_and_b64 vcc, exec, s[12:13]
	s_cbranch_vccz .LBB7_1849
; %bb.1845:
	v_cmp_eq_u16_e64 s[12:13], s16, 44
	s_mov_b64 s[0:1], -1
	s_and_b64 vcc, exec, s[12:13]
	s_cbranch_vccz .LBB7_1849
; %bb.1846:
	v_cvt_f32_f16_e32 v3, v1
	s_movk_i32 s0, 0xff
	v_mov_b32_e32 v7, 0xff
	v_bfe_u32 v6, v3, 23, 8
	v_cmp_ne_u32_e32 vcc, s0, v6
	s_and_saveexec_b64 s[10:11], vcc
; %bb.1847:
	s_mov_b32 s0, 0x3fffff
	v_lshrrev_b32_e32 v7, 23, v3
	v_and_b32_e32 v8, 0x400000, v3
	v_and_or_b32 v3, v3, s0, v6
	v_cmp_ne_u32_e32 vcc, 0, v8
	v_cmp_ne_u32_e64 s[0:1], 0, v3
	s_and_b64 s[0:1], vcc, s[0:1]
	v_cndmask_b32_e64 v3, 0, 1, s[0:1]
	v_add_u32_e32 v7, v7, v3
; %bb.1848:
	s_or_b64 exec, exec, s[10:11]
	s_mov_b64 s[0:1], 0
	s_mov_b64 s[10:11], -1
	global_store_byte v[4:5], v7, off
.LBB7_1849:
	s_mov_b64 s[12:13], 0
.LBB7_1850:
	s_and_b64 vcc, exec, s[12:13]
	s_cbranch_vccz .LBB7_1853
; %bb.1851:
	v_cmp_eq_u16_e64 s[12:13], s16, 29
	s_mov_b64 s[0:1], -1
	s_and_b64 vcc, exec, s[12:13]
	s_cbranch_vccz .LBB7_1853
; %bb.1852:
	v_cvt_f32_f16_e32 v3, v1
	v_mov_b32_e32 v7, 0
	s_mov_b64 s[0:1], 0
	s_mov_b64 s[10:11], -1
	v_cvt_u32_f32_e32 v6, v3
	s_mov_b64 s[12:13], 0
	global_store_dwordx2 v[4:5], v[6:7], off
	s_branch .LBB7_1854
.LBB7_1853:
	s_mov_b64 s[12:13], 0
.LBB7_1854:
	s_and_b64 vcc, exec, s[12:13]
	s_cbranch_vccz .LBB7_1870
; %bb.1855:
	v_cmp_lt_i16_e64 s[12:13], s16, 27
	s_mov_b64 s[10:11], -1
	s_and_b64 vcc, exec, s[12:13]
	s_cbranch_vccnz .LBB7_1861
; %bb.1856:
	v_cmp_gt_i16_e64 s[12:13], s16, 27
	s_and_b64 vcc, exec, s[12:13]
	s_cbranch_vccz .LBB7_1858
; %bb.1857:
	v_cvt_f32_f16_e32 v3, v1
	s_mov_b64 s[10:11], 0
	v_cvt_u32_f32_e32 v3, v3
	global_store_dword v[4:5], v3, off
.LBB7_1858:
	s_andn2_b64 vcc, exec, s[10:11]
	s_cbranch_vccnz .LBB7_1860
; %bb.1859:
	v_cvt_u16_f16_e32 v3, v1
	global_store_short v[4:5], v3, off
.LBB7_1860:
	s_mov_b64 s[10:11], 0
.LBB7_1861:
	s_andn2_b64 vcc, exec, s[10:11]
	s_cbranch_vccnz .LBB7_1869
; %bb.1862:
	v_cvt_f32_f16_e32 v3, v1
	s_mov_b32 s10, 0x43800000
	v_mov_b32_e32 v7, 0x80
	v_and_b32_e32 v6, 0x7fffffff, v3
	v_cmp_gt_u32_e32 vcc, s10, v6
	s_and_saveexec_b64 s[10:11], vcc
	s_cbranch_execz .LBB7_1868
; %bb.1863:
	s_mov_b32 s12, 0x3bffffff
	v_cmp_lt_u32_e32 vcc, s12, v6
	s_mov_b64 s[12:13], 0
                                        ; implicit-def: $vgpr6
	s_and_saveexec_b64 s[14:15], vcc
	s_xor_b64 s[14:15], exec, s[14:15]
	s_cbranch_execz .LBB7_1964
; %bb.1864:
	v_bfe_u32 v6, v3, 20, 1
	s_mov_b32 s17, 0x487ffff
	v_add3_u32 v6, v3, v6, s17
	s_mov_b64 s[12:13], exec
	v_lshrrev_b32_e32 v6, 20, v6
	s_or_saveexec_b64 s[14:15], s[14:15]
                                        ; implicit-def: $sgpr17
	s_xor_b64 exec, exec, s[14:15]
	s_cbranch_execnz .LBB7_1965
.LBB7_1865:
	s_or_b64 exec, exec, s[14:15]
	v_mov_b32_e32 v7, s17
	s_and_saveexec_b64 s[14:15], s[12:13]
.LBB7_1866:
	v_lshrrev_b32_e32 v3, 24, v3
	s_movk_i32 s12, 0x80
	v_and_or_b32 v7, v3, s12, v6
.LBB7_1867:
	s_or_b64 exec, exec, s[14:15]
.LBB7_1868:
	s_or_b64 exec, exec, s[10:11]
	global_store_byte v[4:5], v7, off
.LBB7_1869:
	s_mov_b64 s[10:11], -1
.LBB7_1870:
	s_mov_b64 s[12:13], 0
.LBB7_1871:
	s_and_b64 vcc, exec, s[12:13]
	s_cbranch_vccz .LBB7_1911
; %bb.1872:
	v_cmp_gt_i16_e64 s[12:13], s16, 22
	s_mov_b64 s[6:7], -1
	s_and_b64 vcc, exec, s[12:13]
	s_cbranch_vccz .LBB7_1904
; %bb.1873:
	v_cmp_lt_i16_e64 s[10:11], s16, 24
	s_and_b64 vcc, exec, s[10:11]
	s_cbranch_vccnz .LBB7_1893
; %bb.1874:
	v_cmp_gt_i16_e64 s[10:11], s16, 24
	s_and_b64 vcc, exec, s[10:11]
	s_cbranch_vccz .LBB7_1882
; %bb.1875:
	v_cvt_f32_f16_e32 v3, v1
	s_mov_b32 s6, 0x47800000
	v_mov_b32_e32 v7, 0x80
	v_and_b32_e32 v6, 0x7fffffff, v3
	v_cmp_gt_u32_e32 vcc, s6, v6
	s_and_saveexec_b64 s[6:7], vcc
	s_cbranch_execz .LBB7_1881
; %bb.1876:
	s_mov_b32 s10, 0x37ffffff
	v_cmp_lt_u32_e32 vcc, s10, v6
	s_mov_b64 s[10:11], 0
                                        ; implicit-def: $vgpr6
	s_and_saveexec_b64 s[12:13], vcc
	s_xor_b64 s[12:13], exec, s[12:13]
	s_cbranch_execz .LBB7_1968
; %bb.1877:
	v_bfe_u32 v6, v3, 21, 1
	s_mov_b32 s14, 0x88fffff
	v_add3_u32 v6, v3, v6, s14
	s_mov_b64 s[10:11], exec
	v_lshrrev_b32_e32 v6, 21, v6
	s_or_saveexec_b64 s[12:13], s[12:13]
                                        ; implicit-def: $sgpr14
	s_xor_b64 exec, exec, s[12:13]
	s_cbranch_execnz .LBB7_1969
.LBB7_1878:
	s_or_b64 exec, exec, s[12:13]
	v_mov_b32_e32 v7, s14
	s_and_saveexec_b64 s[12:13], s[10:11]
.LBB7_1879:
	v_lshrrev_b32_e32 v3, 24, v3
	s_movk_i32 s10, 0x80
	v_and_or_b32 v7, v3, s10, v6
.LBB7_1880:
	s_or_b64 exec, exec, s[12:13]
.LBB7_1881:
	s_or_b64 exec, exec, s[6:7]
	s_mov_b64 s[6:7], 0
	global_store_byte v[4:5], v7, off
.LBB7_1882:
	s_and_b64 vcc, exec, s[6:7]
	s_cbranch_vccz .LBB7_1892
; %bb.1883:
	v_cvt_f32_f16_e32 v3, v1
	s_mov_b32 s6, 0x43f00000
                                        ; implicit-def: $vgpr6
	v_and_b32_e32 v7, 0x7fffffff, v3
	v_cmp_gt_u32_e32 vcc, s6, v7
	s_and_saveexec_b64 s[6:7], vcc
	s_xor_b64 s[6:7], exec, s[6:7]
	s_cbranch_execz .LBB7_1889
; %bb.1884:
	s_mov_b32 s10, 0x3c7fffff
	v_cmp_lt_u32_e32 vcc, s10, v7
                                        ; implicit-def: $vgpr6
	s_and_saveexec_b64 s[10:11], vcc
	s_xor_b64 s[10:11], exec, s[10:11]
; %bb.1885:
	v_bfe_u32 v6, v3, 20, 1
	s_mov_b32 s12, 0x407ffff
	v_add3_u32 v6, v3, v6, s12
	v_lshrrev_b32_e32 v7, 20, v6
	v_and_b32_e32 v6, 0xff00000, v6
	s_mov_b32 s12, 0x7f00000
	v_mov_b32_e32 v8, 0x7e
	v_cmp_ne_u32_e32 vcc, s12, v6
	v_cndmask_b32_e32 v6, v8, v7, vcc
; %bb.1886:
	s_andn2_saveexec_b64 s[10:11], s[10:11]
; %bb.1887:
	s_mov_b32 s12, 0x46800000
	v_add_f32_e64 v6, |v3|, s12
; %bb.1888:
	s_or_b64 exec, exec, s[10:11]
                                        ; implicit-def: $vgpr7
.LBB7_1889:
	s_andn2_saveexec_b64 s[6:7], s[6:7]
; %bb.1890:
	s_mov_b32 s10, 0x7f800000
	v_mov_b32_e32 v6, 0x7e
	v_mov_b32_e32 v8, 0x7f
	v_cmp_lt_u32_e32 vcc, s10, v7
	v_cndmask_b32_e32 v6, v6, v8, vcc
; %bb.1891:
	s_or_b64 exec, exec, s[6:7]
	v_lshrrev_b32_e32 v3, 24, v3
	s_movk_i32 s6, 0x80
	v_and_or_b32 v3, v3, s6, v6
	global_store_byte v[4:5], v3, off
.LBB7_1892:
	s_mov_b64 s[6:7], 0
.LBB7_1893:
	s_andn2_b64 vcc, exec, s[6:7]
	s_cbranch_vccnz .LBB7_1903
; %bb.1894:
	v_cvt_f32_f16_e32 v3, v1
	s_mov_b32 s6, 0x47800000
                                        ; implicit-def: $vgpr6
	v_and_b32_e32 v7, 0x7fffffff, v3
	v_cmp_gt_u32_e32 vcc, s6, v7
	s_and_saveexec_b64 s[6:7], vcc
	s_xor_b64 s[6:7], exec, s[6:7]
	s_cbranch_execz .LBB7_1900
; %bb.1895:
	s_mov_b32 s10, 0x387fffff
	v_cmp_lt_u32_e32 vcc, s10, v7
                                        ; implicit-def: $vgpr6
	s_and_saveexec_b64 s[10:11], vcc
	s_xor_b64 s[10:11], exec, s[10:11]
; %bb.1896:
	v_bfe_u32 v6, v3, 21, 1
	s_mov_b32 s12, 0x80fffff
	v_add3_u32 v6, v3, v6, s12
	v_lshrrev_b32_e32 v6, 21, v6
; %bb.1897:
	s_andn2_saveexec_b64 s[10:11], s[10:11]
; %bb.1898:
	s_mov_b32 s12, 0x43000000
	v_add_f32_e64 v6, |v3|, s12
; %bb.1899:
	s_or_b64 exec, exec, s[10:11]
                                        ; implicit-def: $vgpr7
.LBB7_1900:
	s_andn2_saveexec_b64 s[6:7], s[6:7]
; %bb.1901:
	s_mov_b32 s10, 0x7f800000
	v_mov_b32_e32 v6, 0x7c
	v_mov_b32_e32 v8, 0x7f
	v_cmp_lt_u32_e32 vcc, s10, v7
	v_cndmask_b32_e32 v6, v6, v8, vcc
; %bb.1902:
	s_or_b64 exec, exec, s[6:7]
	v_lshrrev_b32_e32 v3, 24, v3
	s_movk_i32 s6, 0x80
	v_and_or_b32 v3, v3, s6, v6
	global_store_byte v[4:5], v3, off
.LBB7_1903:
	s_mov_b64 s[6:7], 0
	s_mov_b64 s[10:11], -1
.LBB7_1904:
	s_andn2_b64 vcc, exec, s[6:7]
	s_mov_b64 s[6:7], 0
	s_cbranch_vccnz .LBB7_1911
; %bb.1905:
	v_cmp_gt_i16_e64 s[6:7], s16, 14
	s_mov_b64 s[12:13], -1
	s_and_b64 vcc, exec, s[6:7]
	s_cbranch_vccz .LBB7_1909
; %bb.1906:
	v_cmp_eq_u16_e64 s[6:7], s16, 15
	s_mov_b64 s[0:1], -1
	s_and_b64 vcc, exec, s[6:7]
	s_cbranch_vccz .LBB7_1908
; %bb.1907:
	v_cvt_f32_f16_e32 v3, v1
	s_movk_i32 s0, 0x7fff
	v_mov_b32_e32 v6, 0x7fc0
	v_cmp_o_f16_e32 vcc, v1, v1
	v_bfe_u32 v7, v3, 16, 1
	v_add3_u32 v3, v3, v7, s0
	v_lshrrev_b32_e32 v3, 16, v3
	v_cndmask_b32_e32 v3, v6, v3, vcc
	global_store_short v[4:5], v3, off
	s_mov_b64 s[0:1], 0
	s_mov_b64 s[10:11], -1
.LBB7_1908:
	s_mov_b64 s[12:13], 0
.LBB7_1909:
	s_mov_b64 s[6:7], 0
	s_and_b64 vcc, exec, s[12:13]
	s_cbranch_vccz .LBB7_1911
; %bb.1910:
	v_cmp_ne_u16_e64 s[0:1], s16, 11
	s_mov_b64 s[6:7], -1
.LBB7_1911:
	s_and_b64 vcc, exec, s[0:1]
	s_cbranch_vccnz .LBB7_1967
; %bb.1912:
	s_andn2_b64 vcc, exec, s[6:7]
	s_cbranch_vccnz .LBB7_1914
.LBB7_1913:
	v_cmp_ne_u16_e32 vcc, 0, v9
	v_cndmask_b32_e64 v3, 0, 1, vcc
	s_mov_b64 s[10:11], -1
	global_store_byte v[4:5], v3, off
.LBB7_1914:
	s_mov_b64 s[0:1], 0
.LBB7_1915:
	s_and_b64 vcc, exec, s[0:1]
	s_cbranch_vccz .LBB7_1954
; %bb.1916:
	v_cmp_lt_i16_e64 s[6:7], s16, 5
	s_mov_b64 s[0:1], -1
	s_and_b64 vcc, exec, s[6:7]
	s_cbranch_vccnz .LBB7_1937
; %bb.1917:
	v_cmp_lt_i16_e64 s[6:7], s16, 8
	s_and_b64 vcc, exec, s[6:7]
	s_cbranch_vccnz .LBB7_1927
; %bb.1918:
	v_cmp_lt_i16_e64 s[6:7], s16, 9
	s_and_b64 vcc, exec, s[6:7]
	s_cbranch_vccnz .LBB7_1924
; %bb.1919:
	v_cmp_gt_i16_e64 s[6:7], s16, 9
	s_and_b64 vcc, exec, s[6:7]
	s_cbranch_vccz .LBB7_1921
; %bb.1920:
	v_cvt_f32_f16_e32 v3, v1
	v_mov_b32_e32 v16, 0
	v_mov_b32_e32 v17, v16
	s_mov_b64 s[0:1], 0
	v_cvt_f64_f32_e32 v[14:15], v3
	global_store_dwordx4 v[4:5], v[14:17], off
.LBB7_1921:
	s_andn2_b64 vcc, exec, s[0:1]
	s_cbranch_vccnz .LBB7_1923
; %bb.1922:
	v_cvt_f32_f16_e32 v6, v1
	v_mov_b32_e32 v7, 0
	global_store_dwordx2 v[4:5], v[6:7], off
.LBB7_1923:
	s_mov_b64 s[0:1], 0
.LBB7_1924:
	s_andn2_b64 vcc, exec, s[0:1]
	s_cbranch_vccnz .LBB7_1926
; %bb.1925:
	v_and_b32_e32 v3, 0xffff, v1
	global_store_dword v[4:5], v3, off
.LBB7_1926:
	s_mov_b64 s[0:1], 0
.LBB7_1927:
	s_andn2_b64 vcc, exec, s[0:1]
	s_cbranch_vccnz .LBB7_1936
; %bb.1928:
	v_cmp_lt_i16_e64 s[6:7], s16, 6
	s_mov_b64 s[0:1], -1
	s_and_b64 vcc, exec, s[6:7]
	s_cbranch_vccnz .LBB7_1934
; %bb.1929:
	v_cmp_gt_i16_e64 s[6:7], s16, 6
	s_and_b64 vcc, exec, s[6:7]
	s_cbranch_vccz .LBB7_1931
; %bb.1930:
	v_cvt_f32_f16_e32 v3, v1
	s_mov_b64 s[0:1], 0
	v_cvt_f64_f32_e32 v[6:7], v3
	global_store_dwordx2 v[4:5], v[6:7], off
.LBB7_1931:
	s_andn2_b64 vcc, exec, s[0:1]
	s_cbranch_vccnz .LBB7_1933
; %bb.1932:
	v_cvt_f32_f16_e32 v3, v1
	global_store_dword v[4:5], v3, off
.LBB7_1933:
	s_mov_b64 s[0:1], 0
.LBB7_1934:
	s_andn2_b64 vcc, exec, s[0:1]
	s_cbranch_vccnz .LBB7_1936
; %bb.1935:
	global_store_short v[4:5], v1, off
.LBB7_1936:
	s_mov_b64 s[0:1], 0
.LBB7_1937:
	s_andn2_b64 vcc, exec, s[0:1]
	s_cbranch_vccnz .LBB7_1953
; %bb.1938:
	v_cmp_lt_i16_e64 s[6:7], s16, 2
	s_mov_b64 s[0:1], -1
	s_and_b64 vcc, exec, s[6:7]
	s_cbranch_vccnz .LBB7_1948
; %bb.1939:
	v_cmp_lt_i16_e64 s[6:7], s16, 3
	s_and_b64 vcc, exec, s[6:7]
	s_cbranch_vccnz .LBB7_1945
; %bb.1940:
	v_cmp_gt_i16_e64 s[6:7], s16, 3
	s_and_b64 vcc, exec, s[6:7]
	s_cbranch_vccz .LBB7_1942
; %bb.1941:
	v_cvt_f32_f16_e32 v3, v1
	s_mov_b64 s[0:1], 0
	v_cvt_i32_f32_e32 v6, v3
	v_ashrrev_i32_e32 v7, 31, v6
	global_store_dwordx2 v[4:5], v[6:7], off
.LBB7_1942:
	s_andn2_b64 vcc, exec, s[0:1]
	s_cbranch_vccnz .LBB7_1944
; %bb.1943:
	v_cvt_f32_f16_e32 v3, v1
	v_cvt_i32_f32_e32 v3, v3
	global_store_dword v[4:5], v3, off
.LBB7_1944:
	s_mov_b64 s[0:1], 0
.LBB7_1945:
	s_andn2_b64 vcc, exec, s[0:1]
	s_cbranch_vccnz .LBB7_1947
; %bb.1946:
	v_cvt_i16_f16_e32 v3, v1
	global_store_short v[4:5], v3, off
.LBB7_1947:
	s_mov_b64 s[0:1], 0
.LBB7_1948:
	s_andn2_b64 vcc, exec, s[0:1]
	s_cbranch_vccnz .LBB7_1953
; %bb.1949:
	v_cmp_gt_i16_e64 s[6:7], s16, 0
	s_mov_b64 s[0:1], -1
	s_and_b64 vcc, exec, s[6:7]
	s_cbranch_vccz .LBB7_1951
; %bb.1950:
	v_cvt_i16_f16_e32 v3, v1
	global_store_byte v[4:5], v3, off
	s_mov_b64 s[0:1], 0
.LBB7_1951:
	s_andn2_b64 vcc, exec, s[0:1]
	s_cbranch_vccnz .LBB7_1953
; %bb.1952:
	v_cvt_f32_f16_e32 v1, v1
	v_cvt_i32_f32_e32 v1, v1
	global_store_byte v[4:5], v1, off
.LBB7_1953:
	s_mov_b64 s[10:11], -1
.LBB7_1954:
	s_andn2_b64 vcc, exec, s[10:11]
	s_cbranch_vccnz .LBB7_2090
; %bb.1955:
	v_mov_b32_e32 v3, s9
	v_add_co_u32_e32 v2, vcc, s8, v2
	v_and_b32_e32 v1, 0xffff8000, v12
	v_addc_co_u32_e32 v3, vcc, 0, v3, vcc
	v_or_b32_e32 v1, v1, v9
	s_and_b64 vcc, exec, s[4:5]
	s_cbranch_vccnz .LBB7_1962
; %bb.1956:
	v_cmp_gt_i16_e64 s[0:1], s16, 25
	s_mov_b64 s[12:13], -1
	s_mov_b64 s[6:7], 0
	s_and_b64 vcc, exec, s[0:1]
	s_mov_b64 s[10:11], 0
	s_mov_b64 s[0:1], 0
	s_cbranch_vccz .LBB7_1998
; %bb.1957:
	v_cmp_gt_i16_e64 s[0:1], s16, 28
	s_and_b64 vcc, exec, s[0:1]
	s_cbranch_vccz .LBB7_1963
; %bb.1958:
	v_cmp_gt_i16_e64 s[0:1], s16, 43
	s_and_b64 vcc, exec, s[0:1]
	;; [unrolled: 4-line block ×3, first 2 shown]
	s_cbranch_vccz .LBB7_1970
; %bb.1960:
	v_cmp_eq_u16_e64 s[10:11], s16, 46
	s_mov_b64 s[0:1], -1
	s_mov_b64 s[12:13], 0
	s_and_b64 vcc, exec, s[10:11]
	s_mov_b64 s[10:11], 0
	s_cbranch_vccz .LBB7_1971
; %bb.1961:
	v_cvt_f32_f16_e32 v4, v1
	s_movk_i32 s0, 0x7fff
	v_mov_b32_e32 v5, 0x7fc0
	v_cmp_o_f16_e32 vcc, v1, v1
	v_bfe_u32 v6, v4, 16, 1
	v_add3_u32 v4, v4, v6, s0
	v_lshrrev_b32_e32 v4, 16, v4
	v_cndmask_b32_e32 v4, v5, v4, vcc
	global_store_dword v[2:3], v4, off
	s_mov_b64 s[0:1], 0
	s_mov_b64 s[10:11], -1
	s_branch .LBB7_1971
.LBB7_1962:
	s_mov_b64 s[0:1], -1
	s_mov_b64 s[10:11], 0
	s_branch .LBB7_2042
.LBB7_1963:
	s_mov_b64 s[0:1], 0
	s_branch .LBB7_1981
.LBB7_1964:
	s_or_saveexec_b64 s[14:15], s[14:15]
                                        ; implicit-def: $sgpr17
	s_xor_b64 exec, exec, s[14:15]
	s_cbranch_execz .LBB7_1865
.LBB7_1965:
	s_mov_b32 s17, 0x46000000
	v_add_f32_e64 v6, |v3|, s17
	v_and_b32_e32 v6, 0xff, v6
	v_cmp_ne_u32_e32 vcc, 0, v6
	s_andn2_b64 s[12:13], s[12:13], exec
	s_and_b64 s[18:19], vcc, exec
	s_mov_b32 s17, 0
	s_or_b64 s[12:13], s[12:13], s[18:19]
	s_or_b64 exec, exec, s[14:15]
	v_mov_b32_e32 v7, s17
	s_and_saveexec_b64 s[14:15], s[12:13]
	s_cbranch_execnz .LBB7_1866
	s_branch .LBB7_1867
.LBB7_1966:
	s_mov_b64 s[0:1], 0
	s_branch .LBB7_1977
.LBB7_1967:
	s_trap 2
	s_or_b64 s[2:3], s[2:3], exec
	s_cbranch_execz .LBB7_1913
	s_branch .LBB7_1914
.LBB7_1968:
	s_or_saveexec_b64 s[12:13], s[12:13]
                                        ; implicit-def: $sgpr14
	s_xor_b64 exec, exec, s[12:13]
	s_cbranch_execz .LBB7_1878
.LBB7_1969:
	s_mov_b32 s14, 0x42800000
	v_add_f32_e64 v6, |v3|, s14
	v_and_b32_e32 v6, 0xff, v6
	v_cmp_ne_u32_e32 vcc, 0, v6
	s_andn2_b64 s[10:11], s[10:11], exec
	s_and_b64 s[18:19], vcc, exec
	s_mov_b32 s14, 0
	s_or_b64 s[10:11], s[10:11], s[18:19]
	s_or_b64 exec, exec, s[12:13]
	v_mov_b32_e32 v7, s14
	s_and_saveexec_b64 s[12:13], s[10:11]
	s_cbranch_execnz .LBB7_1879
	s_branch .LBB7_1880
.LBB7_1970:
	s_mov_b64 s[0:1], 0
.LBB7_1971:
	s_and_b64 vcc, exec, s[12:13]
	s_cbranch_vccz .LBB7_1976
; %bb.1972:
	v_cmp_eq_u16_e64 s[12:13], s16, 44
	s_mov_b64 s[0:1], -1
	s_and_b64 vcc, exec, s[12:13]
	s_cbranch_vccz .LBB7_1976
; %bb.1973:
	v_cvt_f32_f16_e32 v4, v1
	s_movk_i32 s0, 0xff
	v_mov_b32_e32 v6, 0xff
	v_bfe_u32 v5, v4, 23, 8
	v_cmp_ne_u32_e32 vcc, s0, v5
	s_and_saveexec_b64 s[10:11], vcc
; %bb.1974:
	s_mov_b32 s0, 0x3fffff
	v_lshrrev_b32_e32 v6, 23, v4
	v_and_b32_e32 v7, 0x400000, v4
	v_and_or_b32 v4, v4, s0, v5
	v_cmp_ne_u32_e32 vcc, 0, v7
	v_cmp_ne_u32_e64 s[0:1], 0, v4
	s_and_b64 s[0:1], vcc, s[0:1]
	v_cndmask_b32_e64 v4, 0, 1, s[0:1]
	v_add_u32_e32 v6, v6, v4
; %bb.1975:
	s_or_b64 exec, exec, s[10:11]
	s_mov_b64 s[0:1], 0
	s_mov_b64 s[10:11], -1
	global_store_byte v[2:3], v6, off
.LBB7_1976:
	s_mov_b64 s[12:13], 0
.LBB7_1977:
	s_and_b64 vcc, exec, s[12:13]
	s_cbranch_vccz .LBB7_1980
; %bb.1978:
	v_cmp_eq_u16_e64 s[12:13], s16, 29
	s_mov_b64 s[0:1], -1
	s_and_b64 vcc, exec, s[12:13]
	s_cbranch_vccz .LBB7_1980
; %bb.1979:
	v_cvt_f32_f16_e32 v4, v1
	v_mov_b32_e32 v5, 0
	s_mov_b64 s[0:1], 0
	s_mov_b64 s[10:11], -1
	v_cvt_u32_f32_e32 v4, v4
	s_mov_b64 s[12:13], 0
	global_store_dwordx2 v[2:3], v[4:5], off
	s_branch .LBB7_1981
.LBB7_1980:
	s_mov_b64 s[12:13], 0
.LBB7_1981:
	s_and_b64 vcc, exec, s[12:13]
	s_cbranch_vccz .LBB7_1997
; %bb.1982:
	v_cmp_lt_i16_e64 s[12:13], s16, 27
	s_mov_b64 s[10:11], -1
	s_and_b64 vcc, exec, s[12:13]
	s_cbranch_vccnz .LBB7_1988
; %bb.1983:
	v_cmp_gt_i16_e64 s[12:13], s16, 27
	s_and_b64 vcc, exec, s[12:13]
	s_cbranch_vccz .LBB7_1985
; %bb.1984:
	v_cvt_f32_f16_e32 v4, v1
	s_mov_b64 s[10:11], 0
	v_cvt_u32_f32_e32 v4, v4
	global_store_dword v[2:3], v4, off
.LBB7_1985:
	s_andn2_b64 vcc, exec, s[10:11]
	s_cbranch_vccnz .LBB7_1987
; %bb.1986:
	v_cvt_u16_f16_e32 v4, v1
	global_store_short v[2:3], v4, off
.LBB7_1987:
	s_mov_b64 s[10:11], 0
.LBB7_1988:
	s_andn2_b64 vcc, exec, s[10:11]
	s_cbranch_vccnz .LBB7_1996
; %bb.1989:
	v_cvt_f32_f16_e32 v4, v1
	s_mov_b32 s10, 0x43800000
	v_mov_b32_e32 v6, 0x80
	v_and_b32_e32 v5, 0x7fffffff, v4
	v_cmp_gt_u32_e32 vcc, s10, v5
	s_and_saveexec_b64 s[10:11], vcc
	s_cbranch_execz .LBB7_1995
; %bb.1990:
	s_mov_b32 s12, 0x3bffffff
	v_cmp_lt_u32_e32 vcc, s12, v5
	s_mov_b64 s[12:13], 0
                                        ; implicit-def: $vgpr5
	s_and_saveexec_b64 s[14:15], vcc
	s_xor_b64 s[14:15], exec, s[14:15]
	s_cbranch_execz .LBB7_2093
; %bb.1991:
	v_bfe_u32 v5, v4, 20, 1
	s_mov_b32 s17, 0x487ffff
	v_add3_u32 v5, v4, v5, s17
	s_mov_b64 s[12:13], exec
	v_lshrrev_b32_e32 v5, 20, v5
	s_or_saveexec_b64 s[14:15], s[14:15]
                                        ; implicit-def: $sgpr17
	s_xor_b64 exec, exec, s[14:15]
	s_cbranch_execnz .LBB7_2094
.LBB7_1992:
	s_or_b64 exec, exec, s[14:15]
	v_mov_b32_e32 v6, s17
	s_and_saveexec_b64 s[14:15], s[12:13]
.LBB7_1993:
	v_lshrrev_b32_e32 v4, 24, v4
	s_movk_i32 s12, 0x80
	v_and_or_b32 v6, v4, s12, v5
.LBB7_1994:
	s_or_b64 exec, exec, s[14:15]
.LBB7_1995:
	s_or_b64 exec, exec, s[10:11]
	global_store_byte v[2:3], v6, off
.LBB7_1996:
	s_mov_b64 s[10:11], -1
.LBB7_1997:
	s_mov_b64 s[12:13], 0
.LBB7_1998:
	s_and_b64 vcc, exec, s[12:13]
	s_cbranch_vccz .LBB7_2038
; %bb.1999:
	v_cmp_gt_i16_e64 s[12:13], s16, 22
	s_mov_b64 s[6:7], -1
	s_and_b64 vcc, exec, s[12:13]
	s_cbranch_vccz .LBB7_2031
; %bb.2000:
	v_cmp_lt_i16_e64 s[10:11], s16, 24
	s_and_b64 vcc, exec, s[10:11]
	s_cbranch_vccnz .LBB7_2020
; %bb.2001:
	v_cmp_gt_i16_e64 s[10:11], s16, 24
	s_and_b64 vcc, exec, s[10:11]
	s_cbranch_vccz .LBB7_2009
; %bb.2002:
	v_cvt_f32_f16_e32 v4, v1
	s_mov_b32 s6, 0x47800000
	v_mov_b32_e32 v6, 0x80
	v_and_b32_e32 v5, 0x7fffffff, v4
	v_cmp_gt_u32_e32 vcc, s6, v5
	s_and_saveexec_b64 s[6:7], vcc
	s_cbranch_execz .LBB7_2008
; %bb.2003:
	s_mov_b32 s10, 0x37ffffff
	v_cmp_lt_u32_e32 vcc, s10, v5
	s_mov_b64 s[10:11], 0
                                        ; implicit-def: $vgpr5
	s_and_saveexec_b64 s[12:13], vcc
	s_xor_b64 s[12:13], exec, s[12:13]
	s_cbranch_execz .LBB7_2097
; %bb.2004:
	v_bfe_u32 v5, v4, 21, 1
	s_mov_b32 s14, 0x88fffff
	v_add3_u32 v5, v4, v5, s14
	s_mov_b64 s[10:11], exec
	v_lshrrev_b32_e32 v5, 21, v5
	s_or_saveexec_b64 s[12:13], s[12:13]
                                        ; implicit-def: $sgpr14
	s_xor_b64 exec, exec, s[12:13]
	s_cbranch_execnz .LBB7_2098
.LBB7_2005:
	s_or_b64 exec, exec, s[12:13]
	v_mov_b32_e32 v6, s14
	s_and_saveexec_b64 s[12:13], s[10:11]
.LBB7_2006:
	v_lshrrev_b32_e32 v4, 24, v4
	s_movk_i32 s10, 0x80
	v_and_or_b32 v6, v4, s10, v5
.LBB7_2007:
	s_or_b64 exec, exec, s[12:13]
.LBB7_2008:
	s_or_b64 exec, exec, s[6:7]
	s_mov_b64 s[6:7], 0
	global_store_byte v[2:3], v6, off
.LBB7_2009:
	s_and_b64 vcc, exec, s[6:7]
	s_cbranch_vccz .LBB7_2019
; %bb.2010:
	v_cvt_f32_f16_e32 v4, v1
	s_mov_b32 s6, 0x43f00000
                                        ; implicit-def: $vgpr5
	v_and_b32_e32 v6, 0x7fffffff, v4
	v_cmp_gt_u32_e32 vcc, s6, v6
	s_and_saveexec_b64 s[6:7], vcc
	s_xor_b64 s[6:7], exec, s[6:7]
	s_cbranch_execz .LBB7_2016
; %bb.2011:
	s_mov_b32 s10, 0x3c7fffff
	v_cmp_lt_u32_e32 vcc, s10, v6
                                        ; implicit-def: $vgpr5
	s_and_saveexec_b64 s[10:11], vcc
	s_xor_b64 s[10:11], exec, s[10:11]
; %bb.2012:
	v_bfe_u32 v5, v4, 20, 1
	s_mov_b32 s12, 0x407ffff
	v_add3_u32 v5, v4, v5, s12
	v_lshrrev_b32_e32 v6, 20, v5
	v_and_b32_e32 v5, 0xff00000, v5
	s_mov_b32 s12, 0x7f00000
	v_mov_b32_e32 v7, 0x7e
	v_cmp_ne_u32_e32 vcc, s12, v5
	v_cndmask_b32_e32 v5, v7, v6, vcc
; %bb.2013:
	s_andn2_saveexec_b64 s[10:11], s[10:11]
; %bb.2014:
	s_mov_b32 s12, 0x46800000
	v_add_f32_e64 v5, |v4|, s12
; %bb.2015:
	s_or_b64 exec, exec, s[10:11]
                                        ; implicit-def: $vgpr6
.LBB7_2016:
	s_andn2_saveexec_b64 s[6:7], s[6:7]
; %bb.2017:
	s_mov_b32 s10, 0x7f800000
	v_mov_b32_e32 v5, 0x7e
	v_mov_b32_e32 v7, 0x7f
	v_cmp_lt_u32_e32 vcc, s10, v6
	v_cndmask_b32_e32 v5, v5, v7, vcc
; %bb.2018:
	s_or_b64 exec, exec, s[6:7]
	v_lshrrev_b32_e32 v4, 24, v4
	s_movk_i32 s6, 0x80
	v_and_or_b32 v4, v4, s6, v5
	global_store_byte v[2:3], v4, off
.LBB7_2019:
	s_mov_b64 s[6:7], 0
.LBB7_2020:
	s_andn2_b64 vcc, exec, s[6:7]
	s_cbranch_vccnz .LBB7_2030
; %bb.2021:
	v_cvt_f32_f16_e32 v4, v1
	s_mov_b32 s6, 0x47800000
                                        ; implicit-def: $vgpr5
	v_and_b32_e32 v6, 0x7fffffff, v4
	v_cmp_gt_u32_e32 vcc, s6, v6
	s_and_saveexec_b64 s[6:7], vcc
	s_xor_b64 s[6:7], exec, s[6:7]
	s_cbranch_execz .LBB7_2027
; %bb.2022:
	s_mov_b32 s10, 0x387fffff
	v_cmp_lt_u32_e32 vcc, s10, v6
                                        ; implicit-def: $vgpr5
	s_and_saveexec_b64 s[10:11], vcc
	s_xor_b64 s[10:11], exec, s[10:11]
; %bb.2023:
	v_bfe_u32 v5, v4, 21, 1
	s_mov_b32 s12, 0x80fffff
	v_add3_u32 v5, v4, v5, s12
	v_lshrrev_b32_e32 v5, 21, v5
; %bb.2024:
	s_andn2_saveexec_b64 s[10:11], s[10:11]
; %bb.2025:
	s_mov_b32 s12, 0x43000000
	v_add_f32_e64 v5, |v4|, s12
; %bb.2026:
	s_or_b64 exec, exec, s[10:11]
                                        ; implicit-def: $vgpr6
.LBB7_2027:
	s_andn2_saveexec_b64 s[6:7], s[6:7]
; %bb.2028:
	s_mov_b32 s10, 0x7f800000
	v_mov_b32_e32 v5, 0x7c
	v_mov_b32_e32 v7, 0x7f
	v_cmp_lt_u32_e32 vcc, s10, v6
	v_cndmask_b32_e32 v5, v5, v7, vcc
; %bb.2029:
	s_or_b64 exec, exec, s[6:7]
	v_lshrrev_b32_e32 v4, 24, v4
	s_movk_i32 s6, 0x80
	v_and_or_b32 v4, v4, s6, v5
	global_store_byte v[2:3], v4, off
.LBB7_2030:
	s_mov_b64 s[6:7], 0
	s_mov_b64 s[10:11], -1
.LBB7_2031:
	s_andn2_b64 vcc, exec, s[6:7]
	s_mov_b64 s[6:7], 0
	s_cbranch_vccnz .LBB7_2038
; %bb.2032:
	v_cmp_gt_i16_e64 s[6:7], s16, 14
	s_mov_b64 s[12:13], -1
	s_and_b64 vcc, exec, s[6:7]
	s_cbranch_vccz .LBB7_2036
; %bb.2033:
	v_cmp_eq_u16_e64 s[6:7], s16, 15
	s_mov_b64 s[0:1], -1
	s_and_b64 vcc, exec, s[6:7]
	s_cbranch_vccz .LBB7_2035
; %bb.2034:
	v_cvt_f32_f16_e32 v4, v1
	s_movk_i32 s0, 0x7fff
	v_mov_b32_e32 v5, 0x7fc0
	v_cmp_o_f16_e32 vcc, v1, v1
	v_bfe_u32 v6, v4, 16, 1
	v_add3_u32 v4, v4, v6, s0
	v_lshrrev_b32_e32 v4, 16, v4
	v_cndmask_b32_e32 v4, v5, v4, vcc
	global_store_short v[2:3], v4, off
	s_mov_b64 s[0:1], 0
	s_mov_b64 s[10:11], -1
.LBB7_2035:
	s_mov_b64 s[12:13], 0
.LBB7_2036:
	s_mov_b64 s[6:7], 0
	s_and_b64 vcc, exec, s[12:13]
	s_cbranch_vccz .LBB7_2038
; %bb.2037:
	v_cmp_ne_u16_e64 s[0:1], s16, 11
	s_mov_b64 s[6:7], -1
.LBB7_2038:
	s_and_b64 vcc, exec, s[0:1]
	s_cbranch_vccnz .LBB7_2096
; %bb.2039:
	s_andn2_b64 vcc, exec, s[6:7]
	s_cbranch_vccnz .LBB7_2041
.LBB7_2040:
	v_cmp_ne_u16_e32 vcc, 0, v9
	v_cndmask_b32_e64 v4, 0, 1, vcc
	s_mov_b64 s[10:11], -1
	global_store_byte v[2:3], v4, off
.LBB7_2041:
	s_mov_b64 s[0:1], 0
.LBB7_2042:
	s_and_b64 vcc, exec, s[0:1]
	s_cbranch_vccz .LBB7_2081
; %bb.2043:
	v_cmp_lt_i16_e64 s[6:7], s16, 5
	s_mov_b64 s[0:1], -1
	s_and_b64 vcc, exec, s[6:7]
	s_cbranch_vccnz .LBB7_2064
; %bb.2044:
	v_cmp_lt_i16_e64 s[6:7], s16, 8
	s_and_b64 vcc, exec, s[6:7]
	s_cbranch_vccnz .LBB7_2054
; %bb.2045:
	v_cmp_lt_i16_e64 s[6:7], s16, 9
	s_and_b64 vcc, exec, s[6:7]
	s_cbranch_vccnz .LBB7_2051
; %bb.2046:
	v_cmp_gt_i16_e64 s[6:7], s16, 9
	s_and_b64 vcc, exec, s[6:7]
	s_cbranch_vccz .LBB7_2048
; %bb.2047:
	v_cvt_f32_f16_e32 v4, v1
	v_mov_b32_e32 v6, 0
	v_mov_b32_e32 v7, v6
	s_mov_b64 s[0:1], 0
	v_cvt_f64_f32_e32 v[4:5], v4
	global_store_dwordx4 v[2:3], v[4:7], off
.LBB7_2048:
	s_andn2_b64 vcc, exec, s[0:1]
	s_cbranch_vccnz .LBB7_2050
; %bb.2049:
	v_cvt_f32_f16_e32 v4, v1
	v_mov_b32_e32 v5, 0
	global_store_dwordx2 v[2:3], v[4:5], off
.LBB7_2050:
	s_mov_b64 s[0:1], 0
.LBB7_2051:
	s_andn2_b64 vcc, exec, s[0:1]
	s_cbranch_vccnz .LBB7_2053
; %bb.2052:
	v_and_b32_e32 v4, 0xffff, v1
	global_store_dword v[2:3], v4, off
.LBB7_2053:
	s_mov_b64 s[0:1], 0
.LBB7_2054:
	s_andn2_b64 vcc, exec, s[0:1]
	s_cbranch_vccnz .LBB7_2063
; %bb.2055:
	v_cmp_lt_i16_e64 s[6:7], s16, 6
	s_mov_b64 s[0:1], -1
	s_and_b64 vcc, exec, s[6:7]
	s_cbranch_vccnz .LBB7_2061
; %bb.2056:
	v_cmp_gt_i16_e64 s[6:7], s16, 6
	s_and_b64 vcc, exec, s[6:7]
	s_cbranch_vccz .LBB7_2058
; %bb.2057:
	v_cvt_f32_f16_e32 v4, v1
	s_mov_b64 s[0:1], 0
	v_cvt_f64_f32_e32 v[4:5], v4
	global_store_dwordx2 v[2:3], v[4:5], off
.LBB7_2058:
	s_andn2_b64 vcc, exec, s[0:1]
	s_cbranch_vccnz .LBB7_2060
; %bb.2059:
	v_cvt_f32_f16_e32 v4, v1
	global_store_dword v[2:3], v4, off
.LBB7_2060:
	s_mov_b64 s[0:1], 0
.LBB7_2061:
	s_andn2_b64 vcc, exec, s[0:1]
	s_cbranch_vccnz .LBB7_2063
; %bb.2062:
	global_store_short v[2:3], v1, off
.LBB7_2063:
	s_mov_b64 s[0:1], 0
.LBB7_2064:
	s_andn2_b64 vcc, exec, s[0:1]
	s_cbranch_vccnz .LBB7_2080
; %bb.2065:
	v_cmp_lt_i16_e64 s[6:7], s16, 2
	s_mov_b64 s[0:1], -1
	s_and_b64 vcc, exec, s[6:7]
	s_cbranch_vccnz .LBB7_2075
; %bb.2066:
	v_cmp_lt_i16_e64 s[6:7], s16, 3
	s_and_b64 vcc, exec, s[6:7]
	s_cbranch_vccnz .LBB7_2072
; %bb.2067:
	v_cmp_gt_i16_e64 s[6:7], s16, 3
	s_and_b64 vcc, exec, s[6:7]
	s_cbranch_vccz .LBB7_2069
; %bb.2068:
	v_cvt_f32_f16_e32 v4, v1
	s_mov_b64 s[0:1], 0
	v_cvt_i32_f32_e32 v4, v4
	v_ashrrev_i32_e32 v5, 31, v4
	global_store_dwordx2 v[2:3], v[4:5], off
.LBB7_2069:
	s_andn2_b64 vcc, exec, s[0:1]
	s_cbranch_vccnz .LBB7_2071
; %bb.2070:
	v_cvt_f32_f16_e32 v4, v1
	v_cvt_i32_f32_e32 v4, v4
	global_store_dword v[2:3], v4, off
.LBB7_2071:
	s_mov_b64 s[0:1], 0
.LBB7_2072:
	s_andn2_b64 vcc, exec, s[0:1]
	s_cbranch_vccnz .LBB7_2074
; %bb.2073:
	v_cvt_i16_f16_e32 v4, v1
	global_store_short v[2:3], v4, off
.LBB7_2074:
	s_mov_b64 s[0:1], 0
.LBB7_2075:
	s_andn2_b64 vcc, exec, s[0:1]
	s_cbranch_vccnz .LBB7_2080
; %bb.2076:
	v_cmp_gt_i16_e64 s[6:7], s16, 0
	s_mov_b64 s[0:1], -1
	s_and_b64 vcc, exec, s[6:7]
	s_cbranch_vccz .LBB7_2078
; %bb.2077:
	v_cvt_i16_f16_e32 v4, v1
	global_store_byte v[2:3], v4, off
	s_mov_b64 s[0:1], 0
.LBB7_2078:
	s_andn2_b64 vcc, exec, s[0:1]
	s_cbranch_vccnz .LBB7_2080
; %bb.2079:
	v_cvt_f32_f16_e32 v1, v1
	v_cvt_i32_f32_e32 v1, v1
	global_store_byte v[2:3], v1, off
.LBB7_2080:
	s_mov_b64 s[10:11], -1
.LBB7_2081:
	s_andn2_b64 vcc, exec, s[10:11]
	s_cbranch_vccnz .LBB7_2090
; %bb.2082:
	v_and_b32_e32 v1, 0xffff8000, v10
	v_or_b32_e32 v2, v1, v9
	v_mov_b32_e32 v1, s9
	v_add_co_u32_e32 v0, vcc, s8, v0
	v_addc_co_u32_e32 v1, vcc, 0, v1, vcc
	s_and_b64 vcc, exec, s[4:5]
	s_cbranch_vccnz .LBB7_2091
; %bb.2083:
	v_cmp_gt_i16_e64 s[0:1], s16, 25
	s_mov_b64 s[6:7], -1
	s_mov_b64 s[4:5], 0
	s_and_b64 vcc, exec, s[0:1]
	s_mov_b64 s[0:1], 0
	s_cbranch_vccz .LBB7_2126
; %bb.2084:
	v_cmp_gt_i16_e64 s[0:1], s16, 28
	s_and_b64 vcc, exec, s[0:1]
	s_cbranch_vccz .LBB7_2092
; %bb.2085:
	v_cmp_gt_i16_e64 s[0:1], s16, 43
	s_and_b64 vcc, exec, s[0:1]
	;; [unrolled: 4-line block ×3, first 2 shown]
	s_cbranch_vccz .LBB7_2099
; %bb.2087:
	v_cmp_eq_u16_e64 s[6:7], s16, 46
	s_mov_b64 s[0:1], -1
	s_and_b64 vcc, exec, s[6:7]
	s_cbranch_vccz .LBB7_2089
; %bb.2088:
	v_cvt_f32_f16_e32 v3, v2
	s_movk_i32 s0, 0x7fff
	v_mov_b32_e32 v4, 0x7fc0
	v_cmp_o_f16_e32 vcc, v2, v2
	v_bfe_u32 v5, v3, 16, 1
	v_add3_u32 v3, v3, v5, s0
	v_lshrrev_b32_e32 v3, 16, v3
	v_cndmask_b32_e32 v3, v4, v3, vcc
	global_store_dword v[0:1], v3, off
	s_mov_b64 s[0:1], 0
.LBB7_2089:
	s_mov_b64 s[6:7], 0
	s_branch .LBB7_2100
.LBB7_2090:
	s_mov_b64 s[0:1], 0
                                        ; implicit-def: $vgpr0_vgpr1
                                        ; implicit-def: $sgpr16
                                        ; implicit-def: $vgpr2
	s_branch .LBB7_1667
.LBB7_2091:
	s_mov_b64 s[4:5], 0
	s_mov_b64 s[0:1], -1
	s_branch .LBB7_1668
.LBB7_2092:
	s_mov_b64 s[0:1], 0
	s_branch .LBB7_2110
.LBB7_2093:
	s_or_saveexec_b64 s[14:15], s[14:15]
                                        ; implicit-def: $sgpr17
	s_xor_b64 exec, exec, s[14:15]
	s_cbranch_execz .LBB7_1992
.LBB7_2094:
	s_mov_b32 s17, 0x46000000
	v_add_f32_e64 v5, |v4|, s17
	v_and_b32_e32 v5, 0xff, v5
	v_cmp_ne_u32_e32 vcc, 0, v5
	s_andn2_b64 s[12:13], s[12:13], exec
	s_and_b64 s[18:19], vcc, exec
	s_mov_b32 s17, 0
	s_or_b64 s[12:13], s[12:13], s[18:19]
	s_or_b64 exec, exec, s[14:15]
	v_mov_b32_e32 v6, s17
	s_and_saveexec_b64 s[14:15], s[12:13]
	s_cbranch_execnz .LBB7_1993
	s_branch .LBB7_1994
.LBB7_2095:
	s_mov_b64 s[0:1], 0
	s_branch .LBB7_2106
.LBB7_2096:
	s_trap 2
	s_or_b64 s[2:3], s[2:3], exec
	s_cbranch_execz .LBB7_2040
	s_branch .LBB7_2041
.LBB7_2097:
	s_or_saveexec_b64 s[12:13], s[12:13]
                                        ; implicit-def: $sgpr14
	s_xor_b64 exec, exec, s[12:13]
	s_cbranch_execz .LBB7_2005
.LBB7_2098:
	s_mov_b32 s14, 0x42800000
	v_add_f32_e64 v5, |v4|, s14
	v_and_b32_e32 v5, 0xff, v5
	v_cmp_ne_u32_e32 vcc, 0, v5
	s_andn2_b64 s[10:11], s[10:11], exec
	s_and_b64 s[18:19], vcc, exec
	s_mov_b32 s14, 0
	s_or_b64 s[10:11], s[10:11], s[18:19]
	s_or_b64 exec, exec, s[12:13]
	v_mov_b32_e32 v6, s14
	s_and_saveexec_b64 s[12:13], s[10:11]
	s_cbranch_execnz .LBB7_2006
	s_branch .LBB7_2007
.LBB7_2099:
	s_mov_b64 s[0:1], 0
.LBB7_2100:
	s_and_b64 vcc, exec, s[6:7]
	s_cbranch_vccz .LBB7_2105
; %bb.2101:
	v_cmp_eq_u16_e64 s[6:7], s16, 44
	s_mov_b64 s[0:1], -1
	s_and_b64 vcc, exec, s[6:7]
	s_cbranch_vccz .LBB7_2105
; %bb.2102:
	v_cvt_f32_f16_e32 v3, v2
	s_movk_i32 s0, 0xff
	v_mov_b32_e32 v5, 0xff
	v_bfe_u32 v4, v3, 23, 8
	v_cmp_ne_u32_e32 vcc, s0, v4
	s_and_saveexec_b64 s[6:7], vcc
; %bb.2103:
	s_mov_b32 s0, 0x3fffff
	v_lshrrev_b32_e32 v5, 23, v3
	v_and_b32_e32 v6, 0x400000, v3
	v_and_or_b32 v3, v3, s0, v4
	v_cmp_ne_u32_e32 vcc, 0, v6
	v_cmp_ne_u32_e64 s[0:1], 0, v3
	s_and_b64 s[0:1], vcc, s[0:1]
	v_cndmask_b32_e64 v3, 0, 1, s[0:1]
	v_add_u32_e32 v5, v5, v3
; %bb.2104:
	s_or_b64 exec, exec, s[6:7]
	s_mov_b64 s[0:1], 0
	global_store_byte v[0:1], v5, off
.LBB7_2105:
	s_mov_b64 s[6:7], 0
.LBB7_2106:
	s_and_b64 vcc, exec, s[6:7]
	s_cbranch_vccz .LBB7_2109
; %bb.2107:
	v_cmp_eq_u16_e64 s[6:7], s16, 29
	s_mov_b64 s[0:1], -1
	s_and_b64 vcc, exec, s[6:7]
	s_cbranch_vccz .LBB7_2109
; %bb.2108:
	v_cvt_f32_f16_e32 v3, v2
	v_mov_b32_e32 v5, 0
	s_mov_b64 s[0:1], 0
	v_cvt_u32_f32_e32 v4, v3
	global_store_dwordx2 v[0:1], v[4:5], off
.LBB7_2109:
	s_mov_b64 s[6:7], 0
.LBB7_2110:
	s_and_b64 vcc, exec, s[6:7]
	s_cbranch_vccz .LBB7_2125
; %bb.2111:
	v_cmp_lt_i16_e64 s[8:9], s16, 27
	s_mov_b64 s[6:7], -1
	s_and_b64 vcc, exec, s[8:9]
	s_cbranch_vccnz .LBB7_2117
; %bb.2112:
	v_cmp_gt_i16_e64 s[8:9], s16, 27
	s_and_b64 vcc, exec, s[8:9]
	s_cbranch_vccz .LBB7_2114
; %bb.2113:
	v_cvt_f32_f16_e32 v3, v2
	s_mov_b64 s[6:7], 0
	v_cvt_u32_f32_e32 v3, v3
	global_store_dword v[0:1], v3, off
.LBB7_2114:
	s_andn2_b64 vcc, exec, s[6:7]
	s_cbranch_vccnz .LBB7_2116
; %bb.2115:
	v_cvt_u16_f16_e32 v3, v2
	global_store_short v[0:1], v3, off
.LBB7_2116:
	s_mov_b64 s[6:7], 0
.LBB7_2117:
	s_andn2_b64 vcc, exec, s[6:7]
	s_cbranch_vccnz .LBB7_2125
; %bb.2118:
	v_cvt_f32_f16_e32 v3, v2
	s_mov_b32 s6, 0x43800000
	v_mov_b32_e32 v5, 0x80
	v_and_b32_e32 v4, 0x7fffffff, v3
	v_cmp_gt_u32_e32 vcc, s6, v4
	s_and_saveexec_b64 s[6:7], vcc
	s_cbranch_execz .LBB7_2124
; %bb.2119:
	s_mov_b32 s8, 0x3bffffff
	v_cmp_lt_u32_e32 vcc, s8, v4
	s_mov_b64 s[8:9], 0
                                        ; implicit-def: $vgpr4
	s_and_saveexec_b64 s[10:11], vcc
	s_xor_b64 s[10:11], exec, s[10:11]
	s_cbranch_execz .LBB7_2168
; %bb.2120:
	v_bfe_u32 v4, v3, 20, 1
	s_mov_b32 s12, 0x487ffff
	v_add3_u32 v4, v3, v4, s12
	s_mov_b64 s[8:9], exec
	v_lshrrev_b32_e32 v4, 20, v4
	s_or_saveexec_b64 s[10:11], s[10:11]
                                        ; implicit-def: $sgpr12
	s_xor_b64 exec, exec, s[10:11]
	s_cbranch_execnz .LBB7_2169
.LBB7_2121:
	s_or_b64 exec, exec, s[10:11]
	v_mov_b32_e32 v5, s12
	s_and_saveexec_b64 s[10:11], s[8:9]
.LBB7_2122:
	v_lshrrev_b32_e32 v3, 24, v3
	s_movk_i32 s8, 0x80
	v_and_or_b32 v5, v3, s8, v4
.LBB7_2123:
	s_or_b64 exec, exec, s[10:11]
.LBB7_2124:
	s_or_b64 exec, exec, s[6:7]
	global_store_byte v[0:1], v5, off
.LBB7_2125:
	s_mov_b64 s[6:7], 0
.LBB7_2126:
	s_and_b64 vcc, exec, s[6:7]
	s_cbranch_vccz .LBB7_2166
; %bb.2127:
	v_cmp_gt_i16_e64 s[6:7], s16, 22
	s_mov_b64 s[4:5], -1
	s_and_b64 vcc, exec, s[6:7]
	s_cbranch_vccz .LBB7_2159
; %bb.2128:
	v_cmp_lt_i16_e64 s[6:7], s16, 24
	s_and_b64 vcc, exec, s[6:7]
	s_cbranch_vccnz .LBB7_2148
; %bb.2129:
	v_cmp_gt_i16_e64 s[6:7], s16, 24
	s_and_b64 vcc, exec, s[6:7]
	s_cbranch_vccz .LBB7_2137
; %bb.2130:
	v_cvt_f32_f16_e32 v3, v2
	s_mov_b32 s4, 0x47800000
	v_mov_b32_e32 v5, 0x80
	v_and_b32_e32 v4, 0x7fffffff, v3
	v_cmp_gt_u32_e32 vcc, s4, v4
	s_and_saveexec_b64 s[4:5], vcc
	s_cbranch_execz .LBB7_2136
; %bb.2131:
	s_mov_b32 s6, 0x37ffffff
	v_cmp_lt_u32_e32 vcc, s6, v4
	s_mov_b64 s[6:7], 0
                                        ; implicit-def: $vgpr4
	s_and_saveexec_b64 s[8:9], vcc
	s_xor_b64 s[8:9], exec, s[8:9]
	s_cbranch_execz .LBB7_2171
; %bb.2132:
	v_bfe_u32 v4, v3, 21, 1
	s_mov_b32 s10, 0x88fffff
	v_add3_u32 v4, v3, v4, s10
	s_mov_b64 s[6:7], exec
	v_lshrrev_b32_e32 v4, 21, v4
	s_or_saveexec_b64 s[8:9], s[8:9]
                                        ; implicit-def: $sgpr10
	s_xor_b64 exec, exec, s[8:9]
	s_cbranch_execnz .LBB7_2172
.LBB7_2133:
	s_or_b64 exec, exec, s[8:9]
	v_mov_b32_e32 v5, s10
	s_and_saveexec_b64 s[8:9], s[6:7]
.LBB7_2134:
	v_lshrrev_b32_e32 v3, 24, v3
	s_movk_i32 s6, 0x80
	v_and_or_b32 v5, v3, s6, v4
.LBB7_2135:
	s_or_b64 exec, exec, s[8:9]
.LBB7_2136:
	s_or_b64 exec, exec, s[4:5]
	s_mov_b64 s[4:5], 0
	global_store_byte v[0:1], v5, off
.LBB7_2137:
	s_and_b64 vcc, exec, s[4:5]
	s_cbranch_vccz .LBB7_2147
; %bb.2138:
	v_cvt_f32_f16_e32 v3, v2
	s_mov_b32 s4, 0x43f00000
                                        ; implicit-def: $vgpr4
	v_and_b32_e32 v5, 0x7fffffff, v3
	v_cmp_gt_u32_e32 vcc, s4, v5
	s_and_saveexec_b64 s[4:5], vcc
	s_xor_b64 s[4:5], exec, s[4:5]
	s_cbranch_execz .LBB7_2144
; %bb.2139:
	s_mov_b32 s6, 0x3c7fffff
	v_cmp_lt_u32_e32 vcc, s6, v5
                                        ; implicit-def: $vgpr4
	s_and_saveexec_b64 s[6:7], vcc
	s_xor_b64 s[6:7], exec, s[6:7]
; %bb.2140:
	v_bfe_u32 v4, v3, 20, 1
	s_mov_b32 s8, 0x407ffff
	v_add3_u32 v4, v3, v4, s8
	v_lshrrev_b32_e32 v5, 20, v4
	v_and_b32_e32 v4, 0xff00000, v4
	s_mov_b32 s8, 0x7f00000
	v_mov_b32_e32 v6, 0x7e
	v_cmp_ne_u32_e32 vcc, s8, v4
	v_cndmask_b32_e32 v4, v6, v5, vcc
; %bb.2141:
	s_andn2_saveexec_b64 s[6:7], s[6:7]
; %bb.2142:
	s_mov_b32 s8, 0x46800000
	v_add_f32_e64 v4, |v3|, s8
; %bb.2143:
	s_or_b64 exec, exec, s[6:7]
                                        ; implicit-def: $vgpr5
.LBB7_2144:
	s_andn2_saveexec_b64 s[4:5], s[4:5]
; %bb.2145:
	s_mov_b32 s6, 0x7f800000
	v_mov_b32_e32 v4, 0x7e
	v_mov_b32_e32 v6, 0x7f
	v_cmp_lt_u32_e32 vcc, s6, v5
	v_cndmask_b32_e32 v4, v4, v6, vcc
; %bb.2146:
	s_or_b64 exec, exec, s[4:5]
	v_lshrrev_b32_e32 v3, 24, v3
	s_movk_i32 s4, 0x80
	v_and_or_b32 v3, v3, s4, v4
	global_store_byte v[0:1], v3, off
.LBB7_2147:
	s_mov_b64 s[4:5], 0
.LBB7_2148:
	s_andn2_b64 vcc, exec, s[4:5]
	s_cbranch_vccnz .LBB7_2158
; %bb.2149:
	v_cvt_f32_f16_e32 v3, v2
	s_mov_b32 s4, 0x47800000
                                        ; implicit-def: $vgpr4
	v_and_b32_e32 v5, 0x7fffffff, v3
	v_cmp_gt_u32_e32 vcc, s4, v5
	s_and_saveexec_b64 s[4:5], vcc
	s_xor_b64 s[4:5], exec, s[4:5]
	s_cbranch_execz .LBB7_2155
; %bb.2150:
	s_mov_b32 s6, 0x387fffff
	v_cmp_lt_u32_e32 vcc, s6, v5
                                        ; implicit-def: $vgpr4
	s_and_saveexec_b64 s[6:7], vcc
	s_xor_b64 s[6:7], exec, s[6:7]
; %bb.2151:
	v_bfe_u32 v4, v3, 21, 1
	s_mov_b32 s8, 0x80fffff
	v_add3_u32 v4, v3, v4, s8
	v_lshrrev_b32_e32 v4, 21, v4
; %bb.2152:
	s_andn2_saveexec_b64 s[6:7], s[6:7]
; %bb.2153:
	s_mov_b32 s8, 0x43000000
	v_add_f32_e64 v4, |v3|, s8
; %bb.2154:
	s_or_b64 exec, exec, s[6:7]
                                        ; implicit-def: $vgpr5
.LBB7_2155:
	s_andn2_saveexec_b64 s[4:5], s[4:5]
; %bb.2156:
	s_mov_b32 s6, 0x7f800000
	v_mov_b32_e32 v4, 0x7c
	v_mov_b32_e32 v6, 0x7f
	v_cmp_lt_u32_e32 vcc, s6, v5
	v_cndmask_b32_e32 v4, v4, v6, vcc
; %bb.2157:
	s_or_b64 exec, exec, s[4:5]
	v_lshrrev_b32_e32 v3, 24, v3
	s_movk_i32 s4, 0x80
	v_and_or_b32 v3, v3, s4, v4
	global_store_byte v[0:1], v3, off
.LBB7_2158:
	s_mov_b64 s[4:5], 0
.LBB7_2159:
	s_andn2_b64 vcc, exec, s[4:5]
	s_mov_b64 s[4:5], 0
	s_cbranch_vccnz .LBB7_2166
; %bb.2160:
	v_cmp_gt_i16_e64 s[4:5], s16, 14
	s_mov_b64 s[6:7], -1
	s_and_b64 vcc, exec, s[4:5]
	s_cbranch_vccz .LBB7_2164
; %bb.2161:
	v_cmp_eq_u16_e64 s[4:5], s16, 15
	s_mov_b64 s[0:1], -1
	s_and_b64 vcc, exec, s[4:5]
	s_cbranch_vccz .LBB7_2163
; %bb.2162:
	v_cvt_f32_f16_e32 v3, v2
	s_movk_i32 s0, 0x7fff
	v_mov_b32_e32 v4, 0x7fc0
	v_cmp_o_f16_e32 vcc, v2, v2
	v_bfe_u32 v5, v3, 16, 1
	v_add3_u32 v3, v3, v5, s0
	v_lshrrev_b32_e32 v3, 16, v3
	v_cndmask_b32_e32 v3, v4, v3, vcc
	global_store_short v[0:1], v3, off
	s_mov_b64 s[0:1], 0
.LBB7_2163:
	s_mov_b64 s[6:7], 0
.LBB7_2164:
	s_mov_b64 s[4:5], 0
	s_and_b64 vcc, exec, s[6:7]
	s_cbranch_vccz .LBB7_2166
; %bb.2165:
	v_cmp_ne_u16_e64 s[0:1], s16, 11
	s_mov_b64 s[4:5], -1
.LBB7_2166:
	s_and_b64 vcc, exec, s[0:1]
	s_cbranch_vccnz .LBB7_2170
.LBB7_2167:
	s_mov_b64 s[0:1], 0
	s_branch .LBB7_1668
.LBB7_2168:
	s_or_saveexec_b64 s[10:11], s[10:11]
                                        ; implicit-def: $sgpr12
	s_xor_b64 exec, exec, s[10:11]
	s_cbranch_execz .LBB7_2121
.LBB7_2169:
	s_mov_b32 s12, 0x46000000
	v_add_f32_e64 v4, |v3|, s12
	v_and_b32_e32 v4, 0xff, v4
	v_cmp_ne_u32_e32 vcc, 0, v4
	s_andn2_b64 s[8:9], s[8:9], exec
	s_and_b64 s[14:15], vcc, exec
	s_mov_b32 s12, 0
	s_or_b64 s[8:9], s[8:9], s[14:15]
	s_or_b64 exec, exec, s[10:11]
	v_mov_b32_e32 v5, s12
	s_and_saveexec_b64 s[10:11], s[8:9]
	s_cbranch_execnz .LBB7_2122
	s_branch .LBB7_2123
.LBB7_2170:
	s_mov_b64 s[4:5], 0
	s_or_b64 s[2:3], s[2:3], exec
	s_trap 2
	s_branch .LBB7_2167
.LBB7_2171:
	s_or_saveexec_b64 s[8:9], s[8:9]
                                        ; implicit-def: $sgpr10
	s_xor_b64 exec, exec, s[8:9]
	s_cbranch_execz .LBB7_2133
.LBB7_2172:
	s_mov_b32 s10, 0x42800000
	v_add_f32_e64 v4, |v3|, s10
	v_and_b32_e32 v4, 0xff, v4
	v_cmp_ne_u32_e32 vcc, 0, v4
	s_andn2_b64 s[6:7], s[6:7], exec
	s_and_b64 s[12:13], vcc, exec
	s_mov_b32 s10, 0
	s_or_b64 s[6:7], s[6:7], s[12:13]
	s_or_b64 exec, exec, s[8:9]
	v_mov_b32_e32 v5, s10
	s_and_saveexec_b64 s[8:9], s[6:7]
	s_cbranch_execnz .LBB7_2134
	s_branch .LBB7_2135
	.section	.rodata,"a",@progbits
	.p2align	6, 0x0
	.amdhsa_kernel _ZN2at6native32elementwise_kernel_manual_unrollILi128ELi4EZNS0_15gpu_kernel_implINS0_13AUnaryFunctorIN3c104HalfES5_S5_ZNS0_20copysign_kernel_cudaERNS_18TensorIteratorBaseEEUlS5_S5_E_EEEEvS7_RKT_EUlibE0_EEviT1_
		.amdhsa_group_segment_fixed_size 0
		.amdhsa_private_segment_fixed_size 0
		.amdhsa_kernarg_size 360
		.amdhsa_user_sgpr_count 6
		.amdhsa_user_sgpr_private_segment_buffer 1
		.amdhsa_user_sgpr_dispatch_ptr 0
		.amdhsa_user_sgpr_queue_ptr 0
		.amdhsa_user_sgpr_kernarg_segment_ptr 1
		.amdhsa_user_sgpr_dispatch_id 0
		.amdhsa_user_sgpr_flat_scratch_init 0
		.amdhsa_user_sgpr_kernarg_preload_length 0
		.amdhsa_user_sgpr_kernarg_preload_offset 0
		.amdhsa_user_sgpr_private_segment_size 0
		.amdhsa_uses_dynamic_stack 0
		.amdhsa_system_sgpr_private_segment_wavefront_offset 0
		.amdhsa_system_sgpr_workgroup_id_x 1
		.amdhsa_system_sgpr_workgroup_id_y 0
		.amdhsa_system_sgpr_workgroup_id_z 0
		.amdhsa_system_sgpr_workgroup_info 0
		.amdhsa_system_vgpr_workitem_id 0
		.amdhsa_next_free_vgpr 18
		.amdhsa_next_free_sgpr 77
		.amdhsa_accum_offset 20
		.amdhsa_reserve_vcc 1
		.amdhsa_reserve_flat_scratch 0
		.amdhsa_float_round_mode_32 0
		.amdhsa_float_round_mode_16_64 0
		.amdhsa_float_denorm_mode_32 3
		.amdhsa_float_denorm_mode_16_64 3
		.amdhsa_dx10_clamp 1
		.amdhsa_ieee_mode 1
		.amdhsa_fp16_overflow 0
		.amdhsa_tg_split 0
		.amdhsa_exception_fp_ieee_invalid_op 0
		.amdhsa_exception_fp_denorm_src 0
		.amdhsa_exception_fp_ieee_div_zero 0
		.amdhsa_exception_fp_ieee_overflow 0
		.amdhsa_exception_fp_ieee_underflow 0
		.amdhsa_exception_fp_ieee_inexact 0
		.amdhsa_exception_int_div_zero 0
	.end_amdhsa_kernel
	.section	.text._ZN2at6native32elementwise_kernel_manual_unrollILi128ELi4EZNS0_15gpu_kernel_implINS0_13AUnaryFunctorIN3c104HalfES5_S5_ZNS0_20copysign_kernel_cudaERNS_18TensorIteratorBaseEEUlS5_S5_E_EEEEvS7_RKT_EUlibE0_EEviT1_,"axG",@progbits,_ZN2at6native32elementwise_kernel_manual_unrollILi128ELi4EZNS0_15gpu_kernel_implINS0_13AUnaryFunctorIN3c104HalfES5_S5_ZNS0_20copysign_kernel_cudaERNS_18TensorIteratorBaseEEUlS5_S5_E_EEEEvS7_RKT_EUlibE0_EEviT1_,comdat
.Lfunc_end7:
	.size	_ZN2at6native32elementwise_kernel_manual_unrollILi128ELi4EZNS0_15gpu_kernel_implINS0_13AUnaryFunctorIN3c104HalfES5_S5_ZNS0_20copysign_kernel_cudaERNS_18TensorIteratorBaseEEUlS5_S5_E_EEEEvS7_RKT_EUlibE0_EEviT1_, .Lfunc_end7-_ZN2at6native32elementwise_kernel_manual_unrollILi128ELi4EZNS0_15gpu_kernel_implINS0_13AUnaryFunctorIN3c104HalfES5_S5_ZNS0_20copysign_kernel_cudaERNS_18TensorIteratorBaseEEUlS5_S5_E_EEEEvS7_RKT_EUlibE0_EEviT1_
                                        ; -- End function
	.section	.AMDGPU.csdata,"",@progbits
; Kernel info:
; codeLenInByte = 40396
; NumSgprs: 81
; NumVgprs: 18
; NumAgprs: 0
; TotalNumVgprs: 18
; ScratchSize: 0
; MemoryBound: 0
; FloatMode: 240
; IeeeMode: 1
; LDSByteSize: 0 bytes/workgroup (compile time only)
; SGPRBlocks: 10
; VGPRBlocks: 2
; NumSGPRsForWavesPerEU: 81
; NumVGPRsForWavesPerEU: 18
; AccumOffset: 20
; Occupancy: 8
; WaveLimiterHint : 1
; COMPUTE_PGM_RSRC2:SCRATCH_EN: 0
; COMPUTE_PGM_RSRC2:USER_SGPR: 6
; COMPUTE_PGM_RSRC2:TRAP_HANDLER: 0
; COMPUTE_PGM_RSRC2:TGID_X_EN: 1
; COMPUTE_PGM_RSRC2:TGID_Y_EN: 0
; COMPUTE_PGM_RSRC2:TGID_Z_EN: 0
; COMPUTE_PGM_RSRC2:TIDIG_COMP_CNT: 0
; COMPUTE_PGM_RSRC3_GFX90A:ACCUM_OFFSET: 4
; COMPUTE_PGM_RSRC3_GFX90A:TG_SPLIT: 0
	.section	.text._ZN2at6native29vectorized_elementwise_kernelILi16ENS0_13BUnaryFunctorIN3c104HalfES4_S4_ZNS0_20copysign_kernel_cudaERNS_18TensorIteratorBaseEEUlS4_S4_E_EESt5arrayIPcLm2EEEEviT0_T1_,"axG",@progbits,_ZN2at6native29vectorized_elementwise_kernelILi16ENS0_13BUnaryFunctorIN3c104HalfES4_S4_ZNS0_20copysign_kernel_cudaERNS_18TensorIteratorBaseEEUlS4_S4_E_EESt5arrayIPcLm2EEEEviT0_T1_,comdat
	.globl	_ZN2at6native29vectorized_elementwise_kernelILi16ENS0_13BUnaryFunctorIN3c104HalfES4_S4_ZNS0_20copysign_kernel_cudaERNS_18TensorIteratorBaseEEUlS4_S4_E_EESt5arrayIPcLm2EEEEviT0_T1_ ; -- Begin function _ZN2at6native29vectorized_elementwise_kernelILi16ENS0_13BUnaryFunctorIN3c104HalfES4_S4_ZNS0_20copysign_kernel_cudaERNS_18TensorIteratorBaseEEUlS4_S4_E_EESt5arrayIPcLm2EEEEviT0_T1_
	.p2align	8
	.type	_ZN2at6native29vectorized_elementwise_kernelILi16ENS0_13BUnaryFunctorIN3c104HalfES4_S4_ZNS0_20copysign_kernel_cudaERNS_18TensorIteratorBaseEEUlS4_S4_E_EESt5arrayIPcLm2EEEEviT0_T1_,@function
_ZN2at6native29vectorized_elementwise_kernelILi16ENS0_13BUnaryFunctorIN3c104HalfES4_S4_ZNS0_20copysign_kernel_cudaERNS_18TensorIteratorBaseEEUlS4_S4_E_EESt5arrayIPcLm2EEEEviT0_T1_: ; @_ZN2at6native29vectorized_elementwise_kernelILi16ENS0_13BUnaryFunctorIN3c104HalfES4_S4_ZNS0_20copysign_kernel_cudaERNS_18TensorIteratorBaseEEUlS4_S4_E_EESt5arrayIPcLm2EEEEviT0_T1_
; %bb.0:
	s_load_dwordx2 s[0:1], s[4:5], 0x0
	s_load_dwordx4 s[8:11], s[4:5], 0x8
	s_lshl_b32 s2, s6, 11
	s_waitcnt lgkmcnt(0)
	s_sub_i32 s6, s0, s2
	s_lshr_b32 s7, s1, 16
	s_cmpk_gt_i32 s6, 0x7ff
	s_mov_b64 s[0:1], -1
	s_cbranch_scc0 .LBB8_2
; %bb.1:
	s_ashr_i32 s3, s2, 31
	s_lshl_b64 s[0:1], s[2:3], 1
	s_add_u32 s4, s10, s0
	s_addc_u32 s5, s11, s1
	v_lshlrev_b32_e32 v1, 4, v0
	global_load_dwordx4 v[2:5], v1, s[4:5]
	v_mov_b32_e32 v6, 0xffff8000
	s_movk_i32 s3, 0x7fff
	v_and_b32_e32 v6, s7, v6
	s_mov_b32 s4, 0x5040100
	s_add_u32 s0, s8, s0
	s_addc_u32 s1, s9, s1
	s_waitcnt vmcnt(0)
	v_and_b32_sdwa v7, v3, s3 dst_sel:DWORD dst_unused:UNUSED_PAD src0_sel:WORD_1 src1_sel:DWORD
	v_and_b32_e32 v3, 0x7fff, v3
	v_and_b32_sdwa v8, v2, s3 dst_sel:DWORD dst_unused:UNUSED_PAD src0_sel:WORD_1 src1_sel:DWORD
	v_and_b32_e32 v2, 0x7fff, v2
	;; [unrolled: 2-line block ×4, first 2 shown]
	v_or_b32_e32 v2, v2, v6
	v_or_b32_e32 v8, v8, v6
	;; [unrolled: 1-line block ×8, first 2 shown]
	v_perm_b32 v5, v6, v5, s4
	v_perm_b32 v4, v10, v4, s4
	;; [unrolled: 1-line block ×4, first 2 shown]
	global_store_dwordx4 v1, v[2:5], s[0:1]
	s_mov_b64 s[0:1], 0
.LBB8_2:
	s_andn2_b64 vcc, exec, s[0:1]
	s_cbranch_vccnz .LBB8_28
; %bb.3:
	v_cmp_gt_i32_e32 vcc, s6, v0
	v_mov_b32_e32 v1, 0
	v_or_b32_e32 v2, s2, v0
	v_mov_b32_e32 v3, 0
	v_mov_b32_e32 v9, v0
	s_and_saveexec_b64 s[4:5], vcc
	s_cbranch_execz .LBB8_5
; %bb.4:
	v_mov_b32_e32 v3, 0
	v_lshlrev_b64 v[4:5], 1, v[2:3]
	v_mov_b32_e32 v3, s11
	v_add_co_u32_e64 v4, s[0:1], s10, v4
	v_addc_co_u32_e64 v5, s[0:1], v3, v5, s[0:1]
	global_load_ushort v3, v[4:5], off
	v_or_b32_e32 v9, 0x100, v0
	s_waitcnt vmcnt(0)
	v_and_b32_e32 v3, 0x7fff, v3
.LBB8_5:
	s_or_b64 exec, exec, s[4:5]
	v_cmp_gt_i32_e64 s[0:1], s6, v9
	s_and_saveexec_b64 s[4:5], s[0:1]
	s_cbranch_execz .LBB8_7
; %bb.6:
	v_add_u32_e32 v4, s2, v9
	v_mov_b32_e32 v5, 0
	v_lshlrev_b64 v[4:5], 1, v[4:5]
	v_mov_b32_e32 v1, s11
	v_add_co_u32_e64 v4, s[0:1], s10, v4
	v_addc_co_u32_e64 v5, s[0:1], v1, v5, s[0:1]
	global_load_ushort v1, v[4:5], off
	v_add_u32_e32 v9, 0x100, v9
	s_waitcnt vmcnt(0)
	v_and_b32_e32 v1, 0x7fff, v1
.LBB8_7:
	s_or_b64 exec, exec, s[4:5]
	v_cmp_gt_i32_e64 s[0:1], s6, v9
	v_mov_b32_e32 v4, 0
	v_mov_b32_e32 v7, 0
	s_and_saveexec_b64 s[4:5], s[0:1]
	s_cbranch_execz .LBB8_9
; %bb.8:
	v_add_u32_e32 v6, s2, v9
	v_mov_b32_e32 v7, 0
	v_lshlrev_b64 v[6:7], 1, v[6:7]
	v_mov_b32_e32 v5, s11
	v_add_co_u32_e64 v6, s[0:1], s10, v6
	v_addc_co_u32_e64 v7, s[0:1], v5, v7, s[0:1]
	global_load_ushort v5, v[6:7], off
	v_add_u32_e32 v9, 0x100, v9
	s_waitcnt vmcnt(0)
	v_and_b32_e32 v7, 0x7fff, v5
.LBB8_9:
	s_or_b64 exec, exec, s[4:5]
	v_cmp_gt_i32_e64 s[0:1], s6, v9
	s_and_saveexec_b64 s[4:5], s[0:1]
	s_cbranch_execz .LBB8_11
; %bb.10:
	v_add_u32_e32 v4, s2, v9
	v_mov_b32_e32 v5, 0
	v_lshlrev_b64 v[4:5], 1, v[4:5]
	v_mov_b32_e32 v6, s11
	v_add_co_u32_e64 v4, s[0:1], s10, v4
	v_addc_co_u32_e64 v5, s[0:1], v6, v5, s[0:1]
	global_load_ushort v4, v[4:5], off
	v_add_u32_e32 v9, 0x100, v9
	s_waitcnt vmcnt(0)
	v_and_b32_e32 v4, 0x7fff, v4
.LBB8_11:
	s_or_b64 exec, exec, s[4:5]
	v_cmp_gt_i32_e64 s[0:1], s6, v9
	v_mov_b32_e32 v5, 0
	v_mov_b32_e32 v8, 0
	s_and_saveexec_b64 s[4:5], s[0:1]
	s_cbranch_execz .LBB8_13
; %bb.12:
	v_add_u32_e32 v10, s2, v9
	v_mov_b32_e32 v11, 0
	v_lshlrev_b64 v[10:11], 1, v[10:11]
	v_mov_b32_e32 v6, s11
	v_add_co_u32_e64 v10, s[0:1], s10, v10
	v_addc_co_u32_e64 v11, s[0:1], v6, v11, s[0:1]
	global_load_ushort v6, v[10:11], off
	v_add_u32_e32 v9, 0x100, v9
	s_waitcnt vmcnt(0)
	v_and_b32_e32 v8, 0x7fff, v6
.LBB8_13:
	;; [unrolled: 34-line block ×3, first 2 shown]
	s_or_b64 exec, exec, s[4:5]
	v_cmp_gt_i32_e64 s[0:1], s6, v9
	s_and_saveexec_b64 s[4:5], s[0:1]
	s_cbranch_execz .LBB8_19
; %bb.18:
	v_add_u32_e32 v12, s2, v9
	v_mov_b32_e32 v13, 0
	v_lshlrev_b64 v[12:13], 1, v[12:13]
	v_mov_b32_e32 v6, s11
	v_add_co_u32_e64 v12, s[0:1], s10, v12
	v_addc_co_u32_e64 v13, s[0:1], v6, v13, s[0:1]
	global_load_ushort v6, v[12:13], off
	s_waitcnt vmcnt(0)
	v_and_b32_e32 v6, 0x7fff, v6
.LBB8_19:
	s_or_b64 exec, exec, s[4:5]
	v_mov_b32_e32 v9, 0xffff8000
	v_and_b32_e32 v9, s7, v9
	s_and_saveexec_b64 s[0:1], vcc
	s_cbranch_execnz .LBB8_29
; %bb.20:
	s_or_b64 exec, exec, s[0:1]
	v_cmp_gt_i32_e32 vcc, s6, v0
	s_and_saveexec_b64 s[0:1], vcc
	s_cbranch_execnz .LBB8_30
.LBB8_21:
	s_or_b64 exec, exec, s[0:1]
	v_cmp_gt_i32_e32 vcc, s6, v0
	s_and_saveexec_b64 s[0:1], vcc
	s_cbranch_execnz .LBB8_31
.LBB8_22:
	s_or_b64 exec, exec, s[0:1]
	v_cmp_gt_i32_e32 vcc, s6, v0
	s_and_saveexec_b64 s[0:1], vcc
	s_cbranch_execnz .LBB8_32
.LBB8_23:
	s_or_b64 exec, exec, s[0:1]
	v_cmp_gt_i32_e32 vcc, s6, v0
	s_and_saveexec_b64 s[0:1], vcc
	s_cbranch_execnz .LBB8_33
.LBB8_24:
	s_or_b64 exec, exec, s[0:1]
	v_cmp_gt_i32_e32 vcc, s6, v0
	s_and_saveexec_b64 s[0:1], vcc
	s_cbranch_execnz .LBB8_34
.LBB8_25:
	s_or_b64 exec, exec, s[0:1]
	v_cmp_gt_i32_e32 vcc, s6, v0
	s_and_saveexec_b64 s[0:1], vcc
	s_cbranch_execnz .LBB8_35
.LBB8_26:
	s_or_b64 exec, exec, s[0:1]
	v_cmp_gt_i32_e32 vcc, s6, v0
	s_and_saveexec_b64 s[0:1], vcc
	s_cbranch_execz .LBB8_28
.LBB8_27:
	v_add_u32_e32 v0, s2, v0
	v_mov_b32_e32 v1, 0
	v_lshlrev_b64 v[0:1], 1, v[0:1]
	v_mov_b32_e32 v3, s9
	v_add_co_u32_e32 v0, vcc, s8, v0
	v_or_b32_e32 v2, v6, v9
	v_addc_co_u32_e32 v1, vcc, v3, v1, vcc
	global_store_short v[0:1], v2, off
.LBB8_28:
	s_endpgm
.LBB8_29:
	v_or_b32_e32 v11, v3, v9
	v_mov_b32_e32 v3, 0
	v_lshlrev_b64 v[2:3], 1, v[2:3]
	v_mov_b32_e32 v12, s9
	v_add_co_u32_e32 v2, vcc, s8, v2
	v_or_b32_e32 v0, 0x100, v0
	v_addc_co_u32_e32 v3, vcc, v12, v3, vcc
	global_store_short v[2:3], v11, off
	s_or_b64 exec, exec, s[0:1]
	v_cmp_gt_i32_e32 vcc, s6, v0
	s_and_saveexec_b64 s[0:1], vcc
	s_cbranch_execz .LBB8_21
.LBB8_30:
	v_add_u32_e32 v2, s2, v0
	v_mov_b32_e32 v3, 0
	v_lshlrev_b64 v[2:3], 1, v[2:3]
	v_mov_b32_e32 v11, s9
	v_add_co_u32_e32 v2, vcc, s8, v2
	v_or_b32_e32 v1, v1, v9
	v_addc_co_u32_e32 v3, vcc, v11, v3, vcc
	v_add_u32_e32 v0, 0x100, v0
	global_store_short v[2:3], v1, off
	s_or_b64 exec, exec, s[0:1]
	v_cmp_gt_i32_e32 vcc, s6, v0
	s_and_saveexec_b64 s[0:1], vcc
	s_cbranch_execz .LBB8_22
.LBB8_31:
	v_add_u32_e32 v2, s2, v0
	v_mov_b32_e32 v3, 0
	v_lshlrev_b64 v[2:3], 1, v[2:3]
	v_or_b32_e32 v1, v7, v9
	v_mov_b32_e32 v7, s9
	v_add_co_u32_e32 v2, vcc, s8, v2
	v_addc_co_u32_e32 v3, vcc, v7, v3, vcc
	v_add_u32_e32 v0, 0x100, v0
	global_store_short v[2:3], v1, off
	s_or_b64 exec, exec, s[0:1]
	v_cmp_gt_i32_e32 vcc, s6, v0
	s_and_saveexec_b64 s[0:1], vcc
	s_cbranch_execz .LBB8_23
.LBB8_32:
	v_add_u32_e32 v2, s2, v0
	v_mov_b32_e32 v3, 0
	v_lshlrev_b64 v[2:3], 1, v[2:3]
	v_or_b32_e32 v1, v4, v9
	v_mov_b32_e32 v4, s9
	v_add_co_u32_e32 v2, vcc, s8, v2
	v_addc_co_u32_e32 v3, vcc, v4, v3, vcc
	v_add_u32_e32 v0, 0x100, v0
	global_store_short v[2:3], v1, off
	s_or_b64 exec, exec, s[0:1]
	v_cmp_gt_i32_e32 vcc, s6, v0
	s_and_saveexec_b64 s[0:1], vcc
	s_cbranch_execz .LBB8_24
.LBB8_33:
	v_add_u32_e32 v2, s2, v0
	v_mov_b32_e32 v3, 0
	v_lshlrev_b64 v[2:3], 1, v[2:3]
	v_mov_b32_e32 v4, s9
	v_add_co_u32_e32 v2, vcc, s8, v2
	v_or_b32_e32 v1, v8, v9
	v_addc_co_u32_e32 v3, vcc, v4, v3, vcc
	v_add_u32_e32 v0, 0x100, v0
	global_store_short v[2:3], v1, off
	s_or_b64 exec, exec, s[0:1]
	v_cmp_gt_i32_e32 vcc, s6, v0
	s_and_saveexec_b64 s[0:1], vcc
	s_cbranch_execz .LBB8_25
.LBB8_34:
	v_add_u32_e32 v2, s2, v0
	v_mov_b32_e32 v3, 0
	v_lshlrev_b64 v[2:3], 1, v[2:3]
	v_mov_b32_e32 v4, s9
	v_add_co_u32_e32 v2, vcc, s8, v2
	v_or_b32_e32 v1, v5, v9
	v_addc_co_u32_e32 v3, vcc, v4, v3, vcc
	v_add_u32_e32 v0, 0x100, v0
	global_store_short v[2:3], v1, off
	s_or_b64 exec, exec, s[0:1]
	v_cmp_gt_i32_e32 vcc, s6, v0
	s_and_saveexec_b64 s[0:1], vcc
	s_cbranch_execz .LBB8_26
.LBB8_35:
	v_add_u32_e32 v2, s2, v0
	v_mov_b32_e32 v3, 0
	v_lshlrev_b64 v[2:3], 1, v[2:3]
	v_mov_b32_e32 v4, s9
	v_add_co_u32_e32 v2, vcc, s8, v2
	v_or_b32_e32 v1, v10, v9
	v_addc_co_u32_e32 v3, vcc, v4, v3, vcc
	v_add_u32_e32 v0, 0x100, v0
	global_store_short v[2:3], v1, off
	s_or_b64 exec, exec, s[0:1]
	v_cmp_gt_i32_e32 vcc, s6, v0
	s_and_saveexec_b64 s[0:1], vcc
	s_cbranch_execnz .LBB8_27
	s_branch .LBB8_28
	.section	.rodata,"a",@progbits
	.p2align	6, 0x0
	.amdhsa_kernel _ZN2at6native29vectorized_elementwise_kernelILi16ENS0_13BUnaryFunctorIN3c104HalfES4_S4_ZNS0_20copysign_kernel_cudaERNS_18TensorIteratorBaseEEUlS4_S4_E_EESt5arrayIPcLm2EEEEviT0_T1_
		.amdhsa_group_segment_fixed_size 0
		.amdhsa_private_segment_fixed_size 0
		.amdhsa_kernarg_size 24
		.amdhsa_user_sgpr_count 6
		.amdhsa_user_sgpr_private_segment_buffer 1
		.amdhsa_user_sgpr_dispatch_ptr 0
		.amdhsa_user_sgpr_queue_ptr 0
		.amdhsa_user_sgpr_kernarg_segment_ptr 1
		.amdhsa_user_sgpr_dispatch_id 0
		.amdhsa_user_sgpr_flat_scratch_init 0
		.amdhsa_user_sgpr_kernarg_preload_length 0
		.amdhsa_user_sgpr_kernarg_preload_offset 0
		.amdhsa_user_sgpr_private_segment_size 0
		.amdhsa_uses_dynamic_stack 0
		.amdhsa_system_sgpr_private_segment_wavefront_offset 0
		.amdhsa_system_sgpr_workgroup_id_x 1
		.amdhsa_system_sgpr_workgroup_id_y 0
		.amdhsa_system_sgpr_workgroup_id_z 0
		.amdhsa_system_sgpr_workgroup_info 0
		.amdhsa_system_vgpr_workitem_id 0
		.amdhsa_next_free_vgpr 14
		.amdhsa_next_free_sgpr 12
		.amdhsa_accum_offset 16
		.amdhsa_reserve_vcc 1
		.amdhsa_reserve_flat_scratch 0
		.amdhsa_float_round_mode_32 0
		.amdhsa_float_round_mode_16_64 0
		.amdhsa_float_denorm_mode_32 3
		.amdhsa_float_denorm_mode_16_64 3
		.amdhsa_dx10_clamp 1
		.amdhsa_ieee_mode 1
		.amdhsa_fp16_overflow 0
		.amdhsa_tg_split 0
		.amdhsa_exception_fp_ieee_invalid_op 0
		.amdhsa_exception_fp_denorm_src 0
		.amdhsa_exception_fp_ieee_div_zero 0
		.amdhsa_exception_fp_ieee_overflow 0
		.amdhsa_exception_fp_ieee_underflow 0
		.amdhsa_exception_fp_ieee_inexact 0
		.amdhsa_exception_int_div_zero 0
	.end_amdhsa_kernel
	.section	.text._ZN2at6native29vectorized_elementwise_kernelILi16ENS0_13BUnaryFunctorIN3c104HalfES4_S4_ZNS0_20copysign_kernel_cudaERNS_18TensorIteratorBaseEEUlS4_S4_E_EESt5arrayIPcLm2EEEEviT0_T1_,"axG",@progbits,_ZN2at6native29vectorized_elementwise_kernelILi16ENS0_13BUnaryFunctorIN3c104HalfES4_S4_ZNS0_20copysign_kernel_cudaERNS_18TensorIteratorBaseEEUlS4_S4_E_EESt5arrayIPcLm2EEEEviT0_T1_,comdat
.Lfunc_end8:
	.size	_ZN2at6native29vectorized_elementwise_kernelILi16ENS0_13BUnaryFunctorIN3c104HalfES4_S4_ZNS0_20copysign_kernel_cudaERNS_18TensorIteratorBaseEEUlS4_S4_E_EESt5arrayIPcLm2EEEEviT0_T1_, .Lfunc_end8-_ZN2at6native29vectorized_elementwise_kernelILi16ENS0_13BUnaryFunctorIN3c104HalfES4_S4_ZNS0_20copysign_kernel_cudaERNS_18TensorIteratorBaseEEUlS4_S4_E_EESt5arrayIPcLm2EEEEviT0_T1_
                                        ; -- End function
	.section	.AMDGPU.csdata,"",@progbits
; Kernel info:
; codeLenInByte = 1576
; NumSgprs: 16
; NumVgprs: 14
; NumAgprs: 0
; TotalNumVgprs: 14
; ScratchSize: 0
; MemoryBound: 0
; FloatMode: 240
; IeeeMode: 1
; LDSByteSize: 0 bytes/workgroup (compile time only)
; SGPRBlocks: 1
; VGPRBlocks: 1
; NumSGPRsForWavesPerEU: 16
; NumVGPRsForWavesPerEU: 14
; AccumOffset: 16
; Occupancy: 8
; WaveLimiterHint : 0
; COMPUTE_PGM_RSRC2:SCRATCH_EN: 0
; COMPUTE_PGM_RSRC2:USER_SGPR: 6
; COMPUTE_PGM_RSRC2:TRAP_HANDLER: 0
; COMPUTE_PGM_RSRC2:TGID_X_EN: 1
; COMPUTE_PGM_RSRC2:TGID_Y_EN: 0
; COMPUTE_PGM_RSRC2:TGID_Z_EN: 0
; COMPUTE_PGM_RSRC2:TIDIG_COMP_CNT: 0
; COMPUTE_PGM_RSRC3_GFX90A:ACCUM_OFFSET: 3
; COMPUTE_PGM_RSRC3_GFX90A:TG_SPLIT: 0
	.section	.text._ZN2at6native29vectorized_elementwise_kernelILi8ENS0_13BUnaryFunctorIN3c104HalfES4_S4_ZNS0_20copysign_kernel_cudaERNS_18TensorIteratorBaseEEUlS4_S4_E_EESt5arrayIPcLm2EEEEviT0_T1_,"axG",@progbits,_ZN2at6native29vectorized_elementwise_kernelILi8ENS0_13BUnaryFunctorIN3c104HalfES4_S4_ZNS0_20copysign_kernel_cudaERNS_18TensorIteratorBaseEEUlS4_S4_E_EESt5arrayIPcLm2EEEEviT0_T1_,comdat
	.globl	_ZN2at6native29vectorized_elementwise_kernelILi8ENS0_13BUnaryFunctorIN3c104HalfES4_S4_ZNS0_20copysign_kernel_cudaERNS_18TensorIteratorBaseEEUlS4_S4_E_EESt5arrayIPcLm2EEEEviT0_T1_ ; -- Begin function _ZN2at6native29vectorized_elementwise_kernelILi8ENS0_13BUnaryFunctorIN3c104HalfES4_S4_ZNS0_20copysign_kernel_cudaERNS_18TensorIteratorBaseEEUlS4_S4_E_EESt5arrayIPcLm2EEEEviT0_T1_
	.p2align	8
	.type	_ZN2at6native29vectorized_elementwise_kernelILi8ENS0_13BUnaryFunctorIN3c104HalfES4_S4_ZNS0_20copysign_kernel_cudaERNS_18TensorIteratorBaseEEUlS4_S4_E_EESt5arrayIPcLm2EEEEviT0_T1_,@function
_ZN2at6native29vectorized_elementwise_kernelILi8ENS0_13BUnaryFunctorIN3c104HalfES4_S4_ZNS0_20copysign_kernel_cudaERNS_18TensorIteratorBaseEEUlS4_S4_E_EESt5arrayIPcLm2EEEEviT0_T1_: ; @_ZN2at6native29vectorized_elementwise_kernelILi8ENS0_13BUnaryFunctorIN3c104HalfES4_S4_ZNS0_20copysign_kernel_cudaERNS_18TensorIteratorBaseEEUlS4_S4_E_EESt5arrayIPcLm2EEEEviT0_T1_
; %bb.0:
	s_load_dwordx2 s[0:1], s[4:5], 0x0
	s_load_dwordx4 s[8:11], s[4:5], 0x8
	s_lshl_b32 s2, s6, 11
	s_waitcnt lgkmcnt(0)
	s_sub_i32 s6, s0, s2
	s_lshr_b32 s7, s1, 16
	s_cmpk_gt_i32 s6, 0x7ff
	s_mov_b64 s[0:1], -1
	s_cbranch_scc0 .LBB9_2
; %bb.1:
	s_ashr_i32 s3, s2, 31
	s_lshl_b64 s[0:1], s[2:3], 1
	s_add_u32 s4, s10, s0
	s_addc_u32 s5, s11, s1
	v_lshlrev_b32_e32 v1, 4, v0
	global_load_dwordx4 v[2:5], v1, s[4:5]
	v_mov_b32_e32 v6, 0xffff8000
	s_movk_i32 s3, 0x7fff
	v_and_b32_e32 v6, s7, v6
	s_mov_b32 s4, 0x5040100
	s_add_u32 s0, s8, s0
	s_addc_u32 s1, s9, s1
	s_waitcnt vmcnt(0)
	v_and_b32_sdwa v7, v3, s3 dst_sel:DWORD dst_unused:UNUSED_PAD src0_sel:WORD_1 src1_sel:DWORD
	v_and_b32_e32 v3, 0x7fff, v3
	v_and_b32_sdwa v8, v2, s3 dst_sel:DWORD dst_unused:UNUSED_PAD src0_sel:WORD_1 src1_sel:DWORD
	v_and_b32_e32 v2, 0x7fff, v2
	;; [unrolled: 2-line block ×4, first 2 shown]
	v_or_b32_e32 v2, v2, v6
	v_or_b32_e32 v8, v8, v6
	;; [unrolled: 1-line block ×8, first 2 shown]
	v_perm_b32 v5, v6, v5, s4
	v_perm_b32 v4, v10, v4, s4
	;; [unrolled: 1-line block ×4, first 2 shown]
	global_store_dwordx4 v1, v[2:5], s[0:1]
	s_mov_b64 s[0:1], 0
.LBB9_2:
	s_andn2_b64 vcc, exec, s[0:1]
	s_cbranch_vccnz .LBB9_28
; %bb.3:
	v_cmp_gt_i32_e32 vcc, s6, v0
	v_mov_b32_e32 v1, 0
	v_or_b32_e32 v2, s2, v0
	v_mov_b32_e32 v3, 0
	v_mov_b32_e32 v9, v0
	s_and_saveexec_b64 s[4:5], vcc
	s_cbranch_execz .LBB9_5
; %bb.4:
	v_mov_b32_e32 v3, 0
	v_lshlrev_b64 v[4:5], 1, v[2:3]
	v_mov_b32_e32 v3, s11
	v_add_co_u32_e64 v4, s[0:1], s10, v4
	v_addc_co_u32_e64 v5, s[0:1], v3, v5, s[0:1]
	global_load_ushort v3, v[4:5], off
	v_or_b32_e32 v9, 0x100, v0
	s_waitcnt vmcnt(0)
	v_and_b32_e32 v3, 0x7fff, v3
.LBB9_5:
	s_or_b64 exec, exec, s[4:5]
	v_cmp_gt_i32_e64 s[0:1], s6, v9
	s_and_saveexec_b64 s[4:5], s[0:1]
	s_cbranch_execz .LBB9_7
; %bb.6:
	v_add_u32_e32 v4, s2, v9
	v_mov_b32_e32 v5, 0
	v_lshlrev_b64 v[4:5], 1, v[4:5]
	v_mov_b32_e32 v1, s11
	v_add_co_u32_e64 v4, s[0:1], s10, v4
	v_addc_co_u32_e64 v5, s[0:1], v1, v5, s[0:1]
	global_load_ushort v1, v[4:5], off
	v_add_u32_e32 v9, 0x100, v9
	s_waitcnt vmcnt(0)
	v_and_b32_e32 v1, 0x7fff, v1
.LBB9_7:
	s_or_b64 exec, exec, s[4:5]
	v_cmp_gt_i32_e64 s[0:1], s6, v9
	v_mov_b32_e32 v4, 0
	v_mov_b32_e32 v7, 0
	s_and_saveexec_b64 s[4:5], s[0:1]
	s_cbranch_execz .LBB9_9
; %bb.8:
	v_add_u32_e32 v6, s2, v9
	v_mov_b32_e32 v7, 0
	v_lshlrev_b64 v[6:7], 1, v[6:7]
	v_mov_b32_e32 v5, s11
	v_add_co_u32_e64 v6, s[0:1], s10, v6
	v_addc_co_u32_e64 v7, s[0:1], v5, v7, s[0:1]
	global_load_ushort v5, v[6:7], off
	v_add_u32_e32 v9, 0x100, v9
	s_waitcnt vmcnt(0)
	v_and_b32_e32 v7, 0x7fff, v5
.LBB9_9:
	s_or_b64 exec, exec, s[4:5]
	v_cmp_gt_i32_e64 s[0:1], s6, v9
	s_and_saveexec_b64 s[4:5], s[0:1]
	s_cbranch_execz .LBB9_11
; %bb.10:
	v_add_u32_e32 v4, s2, v9
	v_mov_b32_e32 v5, 0
	v_lshlrev_b64 v[4:5], 1, v[4:5]
	v_mov_b32_e32 v6, s11
	v_add_co_u32_e64 v4, s[0:1], s10, v4
	v_addc_co_u32_e64 v5, s[0:1], v6, v5, s[0:1]
	global_load_ushort v4, v[4:5], off
	v_add_u32_e32 v9, 0x100, v9
	s_waitcnt vmcnt(0)
	v_and_b32_e32 v4, 0x7fff, v4
.LBB9_11:
	s_or_b64 exec, exec, s[4:5]
	v_cmp_gt_i32_e64 s[0:1], s6, v9
	v_mov_b32_e32 v5, 0
	v_mov_b32_e32 v8, 0
	s_and_saveexec_b64 s[4:5], s[0:1]
	s_cbranch_execz .LBB9_13
; %bb.12:
	v_add_u32_e32 v10, s2, v9
	v_mov_b32_e32 v11, 0
	v_lshlrev_b64 v[10:11], 1, v[10:11]
	v_mov_b32_e32 v6, s11
	v_add_co_u32_e64 v10, s[0:1], s10, v10
	v_addc_co_u32_e64 v11, s[0:1], v6, v11, s[0:1]
	global_load_ushort v6, v[10:11], off
	v_add_u32_e32 v9, 0x100, v9
	s_waitcnt vmcnt(0)
	v_and_b32_e32 v8, 0x7fff, v6
.LBB9_13:
	s_or_b64 exec, exec, s[4:5]
	v_cmp_gt_i32_e64 s[0:1], s6, v9
	s_and_saveexec_b64 s[4:5], s[0:1]
	s_cbranch_execz .LBB9_15
; %bb.14:
	v_add_u32_e32 v10, s2, v9
	v_mov_b32_e32 v11, 0
	v_lshlrev_b64 v[10:11], 1, v[10:11]
	v_mov_b32_e32 v5, s11
	v_add_co_u32_e64 v10, s[0:1], s10, v10
	v_addc_co_u32_e64 v11, s[0:1], v5, v11, s[0:1]
	global_load_ushort v5, v[10:11], off
	v_add_u32_e32 v9, 0x100, v9
	s_waitcnt vmcnt(0)
	v_and_b32_e32 v5, 0x7fff, v5
.LBB9_15:
	s_or_b64 exec, exec, s[4:5]
	v_cmp_gt_i32_e64 s[0:1], s6, v9
	v_mov_b32_e32 v6, 0
	v_mov_b32_e32 v10, 0
	s_and_saveexec_b64 s[4:5], s[0:1]
	s_cbranch_execz .LBB9_17
; %bb.16:
	v_add_u32_e32 v10, s2, v9
	v_mov_b32_e32 v11, 0
	v_lshlrev_b64 v[10:11], 1, v[10:11]
	v_mov_b32_e32 v12, s11
	v_add_co_u32_e64 v10, s[0:1], s10, v10
	v_addc_co_u32_e64 v11, s[0:1], v12, v11, s[0:1]
	global_load_ushort v10, v[10:11], off
	v_add_u32_e32 v9, 0x100, v9
	s_waitcnt vmcnt(0)
	v_and_b32_e32 v10, 0x7fff, v10
.LBB9_17:
	s_or_b64 exec, exec, s[4:5]
	v_cmp_gt_i32_e64 s[0:1], s6, v9
	s_and_saveexec_b64 s[4:5], s[0:1]
	s_cbranch_execz .LBB9_19
; %bb.18:
	v_add_u32_e32 v12, s2, v9
	v_mov_b32_e32 v13, 0
	v_lshlrev_b64 v[12:13], 1, v[12:13]
	v_mov_b32_e32 v6, s11
	v_add_co_u32_e64 v12, s[0:1], s10, v12
	v_addc_co_u32_e64 v13, s[0:1], v6, v13, s[0:1]
	global_load_ushort v6, v[12:13], off
	s_waitcnt vmcnt(0)
	v_and_b32_e32 v6, 0x7fff, v6
.LBB9_19:
	s_or_b64 exec, exec, s[4:5]
	v_mov_b32_e32 v9, 0xffff8000
	v_and_b32_e32 v9, s7, v9
	s_and_saveexec_b64 s[0:1], vcc
	s_cbranch_execnz .LBB9_29
; %bb.20:
	s_or_b64 exec, exec, s[0:1]
	v_cmp_gt_i32_e32 vcc, s6, v0
	s_and_saveexec_b64 s[0:1], vcc
	s_cbranch_execnz .LBB9_30
.LBB9_21:
	s_or_b64 exec, exec, s[0:1]
	v_cmp_gt_i32_e32 vcc, s6, v0
	s_and_saveexec_b64 s[0:1], vcc
	s_cbranch_execnz .LBB9_31
.LBB9_22:
	s_or_b64 exec, exec, s[0:1]
	v_cmp_gt_i32_e32 vcc, s6, v0
	s_and_saveexec_b64 s[0:1], vcc
	s_cbranch_execnz .LBB9_32
.LBB9_23:
	s_or_b64 exec, exec, s[0:1]
	v_cmp_gt_i32_e32 vcc, s6, v0
	s_and_saveexec_b64 s[0:1], vcc
	s_cbranch_execnz .LBB9_33
.LBB9_24:
	s_or_b64 exec, exec, s[0:1]
	v_cmp_gt_i32_e32 vcc, s6, v0
	s_and_saveexec_b64 s[0:1], vcc
	s_cbranch_execnz .LBB9_34
.LBB9_25:
	s_or_b64 exec, exec, s[0:1]
	v_cmp_gt_i32_e32 vcc, s6, v0
	s_and_saveexec_b64 s[0:1], vcc
	s_cbranch_execnz .LBB9_35
.LBB9_26:
	s_or_b64 exec, exec, s[0:1]
	v_cmp_gt_i32_e32 vcc, s6, v0
	s_and_saveexec_b64 s[0:1], vcc
	s_cbranch_execz .LBB9_28
.LBB9_27:
	v_add_u32_e32 v0, s2, v0
	v_mov_b32_e32 v1, 0
	v_lshlrev_b64 v[0:1], 1, v[0:1]
	v_mov_b32_e32 v3, s9
	v_add_co_u32_e32 v0, vcc, s8, v0
	v_or_b32_e32 v2, v6, v9
	v_addc_co_u32_e32 v1, vcc, v3, v1, vcc
	global_store_short v[0:1], v2, off
.LBB9_28:
	s_endpgm
.LBB9_29:
	v_or_b32_e32 v11, v3, v9
	v_mov_b32_e32 v3, 0
	v_lshlrev_b64 v[2:3], 1, v[2:3]
	v_mov_b32_e32 v12, s9
	v_add_co_u32_e32 v2, vcc, s8, v2
	v_or_b32_e32 v0, 0x100, v0
	v_addc_co_u32_e32 v3, vcc, v12, v3, vcc
	global_store_short v[2:3], v11, off
	s_or_b64 exec, exec, s[0:1]
	v_cmp_gt_i32_e32 vcc, s6, v0
	s_and_saveexec_b64 s[0:1], vcc
	s_cbranch_execz .LBB9_21
.LBB9_30:
	v_add_u32_e32 v2, s2, v0
	v_mov_b32_e32 v3, 0
	v_lshlrev_b64 v[2:3], 1, v[2:3]
	v_mov_b32_e32 v11, s9
	v_add_co_u32_e32 v2, vcc, s8, v2
	v_or_b32_e32 v1, v1, v9
	v_addc_co_u32_e32 v3, vcc, v11, v3, vcc
	v_add_u32_e32 v0, 0x100, v0
	global_store_short v[2:3], v1, off
	s_or_b64 exec, exec, s[0:1]
	v_cmp_gt_i32_e32 vcc, s6, v0
	s_and_saveexec_b64 s[0:1], vcc
	s_cbranch_execz .LBB9_22
.LBB9_31:
	v_add_u32_e32 v2, s2, v0
	v_mov_b32_e32 v3, 0
	v_lshlrev_b64 v[2:3], 1, v[2:3]
	v_or_b32_e32 v1, v7, v9
	v_mov_b32_e32 v7, s9
	v_add_co_u32_e32 v2, vcc, s8, v2
	v_addc_co_u32_e32 v3, vcc, v7, v3, vcc
	v_add_u32_e32 v0, 0x100, v0
	global_store_short v[2:3], v1, off
	s_or_b64 exec, exec, s[0:1]
	v_cmp_gt_i32_e32 vcc, s6, v0
	s_and_saveexec_b64 s[0:1], vcc
	s_cbranch_execz .LBB9_23
.LBB9_32:
	v_add_u32_e32 v2, s2, v0
	v_mov_b32_e32 v3, 0
	v_lshlrev_b64 v[2:3], 1, v[2:3]
	v_or_b32_e32 v1, v4, v9
	v_mov_b32_e32 v4, s9
	v_add_co_u32_e32 v2, vcc, s8, v2
	v_addc_co_u32_e32 v3, vcc, v4, v3, vcc
	v_add_u32_e32 v0, 0x100, v0
	global_store_short v[2:3], v1, off
	s_or_b64 exec, exec, s[0:1]
	v_cmp_gt_i32_e32 vcc, s6, v0
	s_and_saveexec_b64 s[0:1], vcc
	s_cbranch_execz .LBB9_24
.LBB9_33:
	v_add_u32_e32 v2, s2, v0
	v_mov_b32_e32 v3, 0
	v_lshlrev_b64 v[2:3], 1, v[2:3]
	v_mov_b32_e32 v4, s9
	v_add_co_u32_e32 v2, vcc, s8, v2
	v_or_b32_e32 v1, v8, v9
	v_addc_co_u32_e32 v3, vcc, v4, v3, vcc
	v_add_u32_e32 v0, 0x100, v0
	global_store_short v[2:3], v1, off
	s_or_b64 exec, exec, s[0:1]
	v_cmp_gt_i32_e32 vcc, s6, v0
	s_and_saveexec_b64 s[0:1], vcc
	s_cbranch_execz .LBB9_25
.LBB9_34:
	v_add_u32_e32 v2, s2, v0
	v_mov_b32_e32 v3, 0
	v_lshlrev_b64 v[2:3], 1, v[2:3]
	v_mov_b32_e32 v4, s9
	v_add_co_u32_e32 v2, vcc, s8, v2
	v_or_b32_e32 v1, v5, v9
	v_addc_co_u32_e32 v3, vcc, v4, v3, vcc
	v_add_u32_e32 v0, 0x100, v0
	global_store_short v[2:3], v1, off
	s_or_b64 exec, exec, s[0:1]
	v_cmp_gt_i32_e32 vcc, s6, v0
	s_and_saveexec_b64 s[0:1], vcc
	s_cbranch_execz .LBB9_26
.LBB9_35:
	v_add_u32_e32 v2, s2, v0
	v_mov_b32_e32 v3, 0
	v_lshlrev_b64 v[2:3], 1, v[2:3]
	v_mov_b32_e32 v4, s9
	v_add_co_u32_e32 v2, vcc, s8, v2
	v_or_b32_e32 v1, v10, v9
	v_addc_co_u32_e32 v3, vcc, v4, v3, vcc
	v_add_u32_e32 v0, 0x100, v0
	global_store_short v[2:3], v1, off
	s_or_b64 exec, exec, s[0:1]
	v_cmp_gt_i32_e32 vcc, s6, v0
	s_and_saveexec_b64 s[0:1], vcc
	s_cbranch_execnz .LBB9_27
	s_branch .LBB9_28
	.section	.rodata,"a",@progbits
	.p2align	6, 0x0
	.amdhsa_kernel _ZN2at6native29vectorized_elementwise_kernelILi8ENS0_13BUnaryFunctorIN3c104HalfES4_S4_ZNS0_20copysign_kernel_cudaERNS_18TensorIteratorBaseEEUlS4_S4_E_EESt5arrayIPcLm2EEEEviT0_T1_
		.amdhsa_group_segment_fixed_size 0
		.amdhsa_private_segment_fixed_size 0
		.amdhsa_kernarg_size 24
		.amdhsa_user_sgpr_count 6
		.amdhsa_user_sgpr_private_segment_buffer 1
		.amdhsa_user_sgpr_dispatch_ptr 0
		.amdhsa_user_sgpr_queue_ptr 0
		.amdhsa_user_sgpr_kernarg_segment_ptr 1
		.amdhsa_user_sgpr_dispatch_id 0
		.amdhsa_user_sgpr_flat_scratch_init 0
		.amdhsa_user_sgpr_kernarg_preload_length 0
		.amdhsa_user_sgpr_kernarg_preload_offset 0
		.amdhsa_user_sgpr_private_segment_size 0
		.amdhsa_uses_dynamic_stack 0
		.amdhsa_system_sgpr_private_segment_wavefront_offset 0
		.amdhsa_system_sgpr_workgroup_id_x 1
		.amdhsa_system_sgpr_workgroup_id_y 0
		.amdhsa_system_sgpr_workgroup_id_z 0
		.amdhsa_system_sgpr_workgroup_info 0
		.amdhsa_system_vgpr_workitem_id 0
		.amdhsa_next_free_vgpr 14
		.amdhsa_next_free_sgpr 12
		.amdhsa_accum_offset 16
		.amdhsa_reserve_vcc 1
		.amdhsa_reserve_flat_scratch 0
		.amdhsa_float_round_mode_32 0
		.amdhsa_float_round_mode_16_64 0
		.amdhsa_float_denorm_mode_32 3
		.amdhsa_float_denorm_mode_16_64 3
		.amdhsa_dx10_clamp 1
		.amdhsa_ieee_mode 1
		.amdhsa_fp16_overflow 0
		.amdhsa_tg_split 0
		.amdhsa_exception_fp_ieee_invalid_op 0
		.amdhsa_exception_fp_denorm_src 0
		.amdhsa_exception_fp_ieee_div_zero 0
		.amdhsa_exception_fp_ieee_overflow 0
		.amdhsa_exception_fp_ieee_underflow 0
		.amdhsa_exception_fp_ieee_inexact 0
		.amdhsa_exception_int_div_zero 0
	.end_amdhsa_kernel
	.section	.text._ZN2at6native29vectorized_elementwise_kernelILi8ENS0_13BUnaryFunctorIN3c104HalfES4_S4_ZNS0_20copysign_kernel_cudaERNS_18TensorIteratorBaseEEUlS4_S4_E_EESt5arrayIPcLm2EEEEviT0_T1_,"axG",@progbits,_ZN2at6native29vectorized_elementwise_kernelILi8ENS0_13BUnaryFunctorIN3c104HalfES4_S4_ZNS0_20copysign_kernel_cudaERNS_18TensorIteratorBaseEEUlS4_S4_E_EESt5arrayIPcLm2EEEEviT0_T1_,comdat
.Lfunc_end9:
	.size	_ZN2at6native29vectorized_elementwise_kernelILi8ENS0_13BUnaryFunctorIN3c104HalfES4_S4_ZNS0_20copysign_kernel_cudaERNS_18TensorIteratorBaseEEUlS4_S4_E_EESt5arrayIPcLm2EEEEviT0_T1_, .Lfunc_end9-_ZN2at6native29vectorized_elementwise_kernelILi8ENS0_13BUnaryFunctorIN3c104HalfES4_S4_ZNS0_20copysign_kernel_cudaERNS_18TensorIteratorBaseEEUlS4_S4_E_EESt5arrayIPcLm2EEEEviT0_T1_
                                        ; -- End function
	.section	.AMDGPU.csdata,"",@progbits
; Kernel info:
; codeLenInByte = 1576
; NumSgprs: 16
; NumVgprs: 14
; NumAgprs: 0
; TotalNumVgprs: 14
; ScratchSize: 0
; MemoryBound: 0
; FloatMode: 240
; IeeeMode: 1
; LDSByteSize: 0 bytes/workgroup (compile time only)
; SGPRBlocks: 1
; VGPRBlocks: 1
; NumSGPRsForWavesPerEU: 16
; NumVGPRsForWavesPerEU: 14
; AccumOffset: 16
; Occupancy: 8
; WaveLimiterHint : 0
; COMPUTE_PGM_RSRC2:SCRATCH_EN: 0
; COMPUTE_PGM_RSRC2:USER_SGPR: 6
; COMPUTE_PGM_RSRC2:TRAP_HANDLER: 0
; COMPUTE_PGM_RSRC2:TGID_X_EN: 1
; COMPUTE_PGM_RSRC2:TGID_Y_EN: 0
; COMPUTE_PGM_RSRC2:TGID_Z_EN: 0
; COMPUTE_PGM_RSRC2:TIDIG_COMP_CNT: 0
; COMPUTE_PGM_RSRC3_GFX90A:ACCUM_OFFSET: 3
; COMPUTE_PGM_RSRC3_GFX90A:TG_SPLIT: 0
	.section	.text._ZN2at6native29vectorized_elementwise_kernelILi4ENS0_13BUnaryFunctorIN3c104HalfES4_S4_ZNS0_20copysign_kernel_cudaERNS_18TensorIteratorBaseEEUlS4_S4_E_EESt5arrayIPcLm2EEEEviT0_T1_,"axG",@progbits,_ZN2at6native29vectorized_elementwise_kernelILi4ENS0_13BUnaryFunctorIN3c104HalfES4_S4_ZNS0_20copysign_kernel_cudaERNS_18TensorIteratorBaseEEUlS4_S4_E_EESt5arrayIPcLm2EEEEviT0_T1_,comdat
	.globl	_ZN2at6native29vectorized_elementwise_kernelILi4ENS0_13BUnaryFunctorIN3c104HalfES4_S4_ZNS0_20copysign_kernel_cudaERNS_18TensorIteratorBaseEEUlS4_S4_E_EESt5arrayIPcLm2EEEEviT0_T1_ ; -- Begin function _ZN2at6native29vectorized_elementwise_kernelILi4ENS0_13BUnaryFunctorIN3c104HalfES4_S4_ZNS0_20copysign_kernel_cudaERNS_18TensorIteratorBaseEEUlS4_S4_E_EESt5arrayIPcLm2EEEEviT0_T1_
	.p2align	8
	.type	_ZN2at6native29vectorized_elementwise_kernelILi4ENS0_13BUnaryFunctorIN3c104HalfES4_S4_ZNS0_20copysign_kernel_cudaERNS_18TensorIteratorBaseEEUlS4_S4_E_EESt5arrayIPcLm2EEEEviT0_T1_,@function
_ZN2at6native29vectorized_elementwise_kernelILi4ENS0_13BUnaryFunctorIN3c104HalfES4_S4_ZNS0_20copysign_kernel_cudaERNS_18TensorIteratorBaseEEUlS4_S4_E_EESt5arrayIPcLm2EEEEviT0_T1_: ; @_ZN2at6native29vectorized_elementwise_kernelILi4ENS0_13BUnaryFunctorIN3c104HalfES4_S4_ZNS0_20copysign_kernel_cudaERNS_18TensorIteratorBaseEEUlS4_S4_E_EESt5arrayIPcLm2EEEEviT0_T1_
; %bb.0:
	s_load_dwordx2 s[0:1], s[4:5], 0x0
	s_load_dwordx4 s[8:11], s[4:5], 0x8
	s_lshl_b32 s2, s6, 11
	s_waitcnt lgkmcnt(0)
	s_sub_i32 s6, s0, s2
	s_lshr_b32 s7, s1, 16
	s_cmpk_gt_i32 s6, 0x7ff
	s_mov_b64 s[0:1], -1
	s_cbranch_scc0 .LBB10_2
; %bb.1:
	s_ashr_i32 s3, s2, 31
	s_lshl_b64 s[0:1], s[2:3], 1
	s_add_u32 s4, s10, s0
	s_addc_u32 s5, s11, s1
	v_lshlrev_b32_e32 v1, 3, v0
	global_load_dwordx2 v[2:3], v1, s[4:5]
	global_load_dwordx2 v[4:5], v1, s[4:5] offset:2048
	v_mov_b32_e32 v6, 0xffff8000
	s_movk_i32 s3, 0x7fff
	v_and_b32_e32 v6, s7, v6
	s_add_u32 s0, s8, s0
	s_addc_u32 s1, s9, s1
	s_waitcnt vmcnt(1)
	v_and_b32_e32 v7, 0x7fff, v2
	v_and_b32_sdwa v2, v2, s3 dst_sel:DWORD dst_unused:UNUSED_PAD src0_sel:WORD_1 src1_sel:DWORD
	v_and_b32_e32 v8, 0x7fff, v3
	s_waitcnt vmcnt(0)
	v_and_b32_e32 v9, 0x7fff, v4
	v_or_b32_e32 v7, v7, v6
	v_and_b32_sdwa v3, v3, s3 dst_sel:DWORD dst_unused:UNUSED_PAD src0_sel:WORD_1 src1_sel:DWORD
	v_and_b32_sdwa v4, v4, s3 dst_sel:DWORD dst_unused:UNUSED_PAD src0_sel:WORD_1 src1_sel:DWORD
	v_and_b32_e32 v10, 0x7fff, v5
	v_and_b32_sdwa v5, v5, s3 dst_sel:DWORD dst_unused:UNUSED_PAD src0_sel:WORD_1 src1_sel:DWORD
	v_or_b32_sdwa v2, v2, v6 dst_sel:WORD_1 dst_unused:UNUSED_PAD src0_sel:DWORD src1_sel:DWORD
	v_or_b32_e32 v8, v8, v6
	v_or_b32_e32 v9, v9, v6
	v_and_b32_e32 v7, 0xffff, v7
	v_or_b32_sdwa v3, v3, v6 dst_sel:WORD_1 dst_unused:UNUSED_PAD src0_sel:DWORD src1_sel:DWORD
	v_or_b32_sdwa v4, v4, v6 dst_sel:WORD_1 dst_unused:UNUSED_PAD src0_sel:DWORD src1_sel:DWORD
	v_or_b32_e32 v10, v10, v6
	v_or_b32_sdwa v5, v5, v6 dst_sel:WORD_1 dst_unused:UNUSED_PAD src0_sel:DWORD src1_sel:DWORD
	v_and_b32_e32 v6, 0xffff, v8
	v_and_b32_e32 v9, 0xffff, v9
	v_or_b32_e32 v2, v2, v7
	v_and_b32_e32 v8, 0xffff, v10
	v_or3_b32 v3, 0, v6, v3
	v_or_b32_e32 v4, v4, v9
	v_or3_b32 v2, v2, 0, 0
	v_or3_b32 v5, 0, v8, v5
	;; [unrolled: 1-line block ×3, first 2 shown]
	global_store_dwordx2 v1, v[2:3], s[0:1]
	global_store_dwordx2 v1, v[4:5], s[0:1] offset:2048
	s_mov_b64 s[0:1], 0
.LBB10_2:
	s_andn2_b64 vcc, exec, s[0:1]
	s_cbranch_vccnz .LBB10_28
; %bb.3:
	v_cmp_gt_i32_e32 vcc, s6, v0
	v_mov_b32_e32 v1, 0
	v_or_b32_e32 v2, s2, v0
	v_mov_b32_e32 v3, 0
	v_mov_b32_e32 v9, v0
	s_and_saveexec_b64 s[4:5], vcc
	s_cbranch_execz .LBB10_5
; %bb.4:
	v_mov_b32_e32 v3, 0
	v_lshlrev_b64 v[4:5], 1, v[2:3]
	v_mov_b32_e32 v3, s11
	v_add_co_u32_e64 v4, s[0:1], s10, v4
	v_addc_co_u32_e64 v5, s[0:1], v3, v5, s[0:1]
	global_load_ushort v3, v[4:5], off
	v_or_b32_e32 v9, 0x100, v0
	s_waitcnt vmcnt(0)
	v_and_b32_e32 v3, 0x7fff, v3
.LBB10_5:
	s_or_b64 exec, exec, s[4:5]
	v_cmp_gt_i32_e64 s[0:1], s6, v9
	s_and_saveexec_b64 s[4:5], s[0:1]
	s_cbranch_execz .LBB10_7
; %bb.6:
	v_add_u32_e32 v4, s2, v9
	v_mov_b32_e32 v5, 0
	v_lshlrev_b64 v[4:5], 1, v[4:5]
	v_mov_b32_e32 v1, s11
	v_add_co_u32_e64 v4, s[0:1], s10, v4
	v_addc_co_u32_e64 v5, s[0:1], v1, v5, s[0:1]
	global_load_ushort v1, v[4:5], off
	v_add_u32_e32 v9, 0x100, v9
	s_waitcnt vmcnt(0)
	v_and_b32_e32 v1, 0x7fff, v1
.LBB10_7:
	s_or_b64 exec, exec, s[4:5]
	v_cmp_gt_i32_e64 s[0:1], s6, v9
	v_mov_b32_e32 v4, 0
	v_mov_b32_e32 v7, 0
	s_and_saveexec_b64 s[4:5], s[0:1]
	s_cbranch_execz .LBB10_9
; %bb.8:
	v_add_u32_e32 v6, s2, v9
	v_mov_b32_e32 v7, 0
	v_lshlrev_b64 v[6:7], 1, v[6:7]
	v_mov_b32_e32 v5, s11
	v_add_co_u32_e64 v6, s[0:1], s10, v6
	v_addc_co_u32_e64 v7, s[0:1], v5, v7, s[0:1]
	global_load_ushort v5, v[6:7], off
	v_add_u32_e32 v9, 0x100, v9
	s_waitcnt vmcnt(0)
	v_and_b32_e32 v7, 0x7fff, v5
.LBB10_9:
	s_or_b64 exec, exec, s[4:5]
	v_cmp_gt_i32_e64 s[0:1], s6, v9
	s_and_saveexec_b64 s[4:5], s[0:1]
	s_cbranch_execz .LBB10_11
; %bb.10:
	v_add_u32_e32 v4, s2, v9
	v_mov_b32_e32 v5, 0
	v_lshlrev_b64 v[4:5], 1, v[4:5]
	v_mov_b32_e32 v6, s11
	v_add_co_u32_e64 v4, s[0:1], s10, v4
	v_addc_co_u32_e64 v5, s[0:1], v6, v5, s[0:1]
	global_load_ushort v4, v[4:5], off
	v_add_u32_e32 v9, 0x100, v9
	s_waitcnt vmcnt(0)
	v_and_b32_e32 v4, 0x7fff, v4
.LBB10_11:
	s_or_b64 exec, exec, s[4:5]
	v_cmp_gt_i32_e64 s[0:1], s6, v9
	v_mov_b32_e32 v5, 0
	v_mov_b32_e32 v8, 0
	s_and_saveexec_b64 s[4:5], s[0:1]
	s_cbranch_execz .LBB10_13
; %bb.12:
	v_add_u32_e32 v10, s2, v9
	v_mov_b32_e32 v11, 0
	v_lshlrev_b64 v[10:11], 1, v[10:11]
	v_mov_b32_e32 v6, s11
	v_add_co_u32_e64 v10, s[0:1], s10, v10
	v_addc_co_u32_e64 v11, s[0:1], v6, v11, s[0:1]
	global_load_ushort v6, v[10:11], off
	v_add_u32_e32 v9, 0x100, v9
	s_waitcnt vmcnt(0)
	v_and_b32_e32 v8, 0x7fff, v6
.LBB10_13:
	;; [unrolled: 34-line block ×3, first 2 shown]
	s_or_b64 exec, exec, s[4:5]
	v_cmp_gt_i32_e64 s[0:1], s6, v9
	s_and_saveexec_b64 s[4:5], s[0:1]
	s_cbranch_execz .LBB10_19
; %bb.18:
	v_add_u32_e32 v12, s2, v9
	v_mov_b32_e32 v13, 0
	v_lshlrev_b64 v[12:13], 1, v[12:13]
	v_mov_b32_e32 v6, s11
	v_add_co_u32_e64 v12, s[0:1], s10, v12
	v_addc_co_u32_e64 v13, s[0:1], v6, v13, s[0:1]
	global_load_ushort v6, v[12:13], off
	s_waitcnt vmcnt(0)
	v_and_b32_e32 v6, 0x7fff, v6
.LBB10_19:
	s_or_b64 exec, exec, s[4:5]
	v_mov_b32_e32 v9, 0xffff8000
	v_and_b32_e32 v9, s7, v9
	s_and_saveexec_b64 s[0:1], vcc
	s_cbranch_execnz .LBB10_29
; %bb.20:
	s_or_b64 exec, exec, s[0:1]
	v_cmp_gt_i32_e32 vcc, s6, v0
	s_and_saveexec_b64 s[0:1], vcc
	s_cbranch_execnz .LBB10_30
.LBB10_21:
	s_or_b64 exec, exec, s[0:1]
	v_cmp_gt_i32_e32 vcc, s6, v0
	s_and_saveexec_b64 s[0:1], vcc
	s_cbranch_execnz .LBB10_31
.LBB10_22:
	s_or_b64 exec, exec, s[0:1]
	v_cmp_gt_i32_e32 vcc, s6, v0
	s_and_saveexec_b64 s[0:1], vcc
	s_cbranch_execnz .LBB10_32
.LBB10_23:
	s_or_b64 exec, exec, s[0:1]
	v_cmp_gt_i32_e32 vcc, s6, v0
	s_and_saveexec_b64 s[0:1], vcc
	s_cbranch_execnz .LBB10_33
.LBB10_24:
	s_or_b64 exec, exec, s[0:1]
	v_cmp_gt_i32_e32 vcc, s6, v0
	s_and_saveexec_b64 s[0:1], vcc
	s_cbranch_execnz .LBB10_34
.LBB10_25:
	s_or_b64 exec, exec, s[0:1]
	v_cmp_gt_i32_e32 vcc, s6, v0
	s_and_saveexec_b64 s[0:1], vcc
	s_cbranch_execnz .LBB10_35
.LBB10_26:
	s_or_b64 exec, exec, s[0:1]
	v_cmp_gt_i32_e32 vcc, s6, v0
	s_and_saveexec_b64 s[0:1], vcc
	s_cbranch_execz .LBB10_28
.LBB10_27:
	v_add_u32_e32 v0, s2, v0
	v_mov_b32_e32 v1, 0
	v_lshlrev_b64 v[0:1], 1, v[0:1]
	v_mov_b32_e32 v3, s9
	v_add_co_u32_e32 v0, vcc, s8, v0
	v_or_b32_e32 v2, v6, v9
	v_addc_co_u32_e32 v1, vcc, v3, v1, vcc
	global_store_short v[0:1], v2, off
.LBB10_28:
	s_endpgm
.LBB10_29:
	v_or_b32_e32 v11, v3, v9
	v_mov_b32_e32 v3, 0
	v_lshlrev_b64 v[2:3], 1, v[2:3]
	v_mov_b32_e32 v12, s9
	v_add_co_u32_e32 v2, vcc, s8, v2
	v_or_b32_e32 v0, 0x100, v0
	v_addc_co_u32_e32 v3, vcc, v12, v3, vcc
	global_store_short v[2:3], v11, off
	s_or_b64 exec, exec, s[0:1]
	v_cmp_gt_i32_e32 vcc, s6, v0
	s_and_saveexec_b64 s[0:1], vcc
	s_cbranch_execz .LBB10_21
.LBB10_30:
	v_add_u32_e32 v2, s2, v0
	v_mov_b32_e32 v3, 0
	v_lshlrev_b64 v[2:3], 1, v[2:3]
	v_mov_b32_e32 v11, s9
	v_add_co_u32_e32 v2, vcc, s8, v2
	v_or_b32_e32 v1, v1, v9
	v_addc_co_u32_e32 v3, vcc, v11, v3, vcc
	v_add_u32_e32 v0, 0x100, v0
	global_store_short v[2:3], v1, off
	s_or_b64 exec, exec, s[0:1]
	v_cmp_gt_i32_e32 vcc, s6, v0
	s_and_saveexec_b64 s[0:1], vcc
	s_cbranch_execz .LBB10_22
.LBB10_31:
	v_add_u32_e32 v2, s2, v0
	v_mov_b32_e32 v3, 0
	v_lshlrev_b64 v[2:3], 1, v[2:3]
	v_or_b32_e32 v1, v7, v9
	v_mov_b32_e32 v7, s9
	v_add_co_u32_e32 v2, vcc, s8, v2
	v_addc_co_u32_e32 v3, vcc, v7, v3, vcc
	v_add_u32_e32 v0, 0x100, v0
	global_store_short v[2:3], v1, off
	s_or_b64 exec, exec, s[0:1]
	v_cmp_gt_i32_e32 vcc, s6, v0
	s_and_saveexec_b64 s[0:1], vcc
	s_cbranch_execz .LBB10_23
.LBB10_32:
	v_add_u32_e32 v2, s2, v0
	v_mov_b32_e32 v3, 0
	v_lshlrev_b64 v[2:3], 1, v[2:3]
	v_or_b32_e32 v1, v4, v9
	v_mov_b32_e32 v4, s9
	v_add_co_u32_e32 v2, vcc, s8, v2
	v_addc_co_u32_e32 v3, vcc, v4, v3, vcc
	v_add_u32_e32 v0, 0x100, v0
	global_store_short v[2:3], v1, off
	s_or_b64 exec, exec, s[0:1]
	v_cmp_gt_i32_e32 vcc, s6, v0
	s_and_saveexec_b64 s[0:1], vcc
	s_cbranch_execz .LBB10_24
.LBB10_33:
	v_add_u32_e32 v2, s2, v0
	v_mov_b32_e32 v3, 0
	v_lshlrev_b64 v[2:3], 1, v[2:3]
	v_mov_b32_e32 v4, s9
	v_add_co_u32_e32 v2, vcc, s8, v2
	v_or_b32_e32 v1, v8, v9
	v_addc_co_u32_e32 v3, vcc, v4, v3, vcc
	v_add_u32_e32 v0, 0x100, v0
	global_store_short v[2:3], v1, off
	s_or_b64 exec, exec, s[0:1]
	v_cmp_gt_i32_e32 vcc, s6, v0
	s_and_saveexec_b64 s[0:1], vcc
	s_cbranch_execz .LBB10_25
.LBB10_34:
	v_add_u32_e32 v2, s2, v0
	v_mov_b32_e32 v3, 0
	v_lshlrev_b64 v[2:3], 1, v[2:3]
	v_mov_b32_e32 v4, s9
	v_add_co_u32_e32 v2, vcc, s8, v2
	v_or_b32_e32 v1, v5, v9
	v_addc_co_u32_e32 v3, vcc, v4, v3, vcc
	v_add_u32_e32 v0, 0x100, v0
	global_store_short v[2:3], v1, off
	s_or_b64 exec, exec, s[0:1]
	v_cmp_gt_i32_e32 vcc, s6, v0
	s_and_saveexec_b64 s[0:1], vcc
	s_cbranch_execz .LBB10_26
.LBB10_35:
	v_add_u32_e32 v2, s2, v0
	v_mov_b32_e32 v3, 0
	v_lshlrev_b64 v[2:3], 1, v[2:3]
	v_mov_b32_e32 v4, s9
	v_add_co_u32_e32 v2, vcc, s8, v2
	v_or_b32_e32 v1, v10, v9
	v_addc_co_u32_e32 v3, vcc, v4, v3, vcc
	v_add_u32_e32 v0, 0x100, v0
	global_store_short v[2:3], v1, off
	s_or_b64 exec, exec, s[0:1]
	v_cmp_gt_i32_e32 vcc, s6, v0
	s_and_saveexec_b64 s[0:1], vcc
	s_cbranch_execnz .LBB10_27
	s_branch .LBB10_28
	.section	.rodata,"a",@progbits
	.p2align	6, 0x0
	.amdhsa_kernel _ZN2at6native29vectorized_elementwise_kernelILi4ENS0_13BUnaryFunctorIN3c104HalfES4_S4_ZNS0_20copysign_kernel_cudaERNS_18TensorIteratorBaseEEUlS4_S4_E_EESt5arrayIPcLm2EEEEviT0_T1_
		.amdhsa_group_segment_fixed_size 0
		.amdhsa_private_segment_fixed_size 0
		.amdhsa_kernarg_size 24
		.amdhsa_user_sgpr_count 6
		.amdhsa_user_sgpr_private_segment_buffer 1
		.amdhsa_user_sgpr_dispatch_ptr 0
		.amdhsa_user_sgpr_queue_ptr 0
		.amdhsa_user_sgpr_kernarg_segment_ptr 1
		.amdhsa_user_sgpr_dispatch_id 0
		.amdhsa_user_sgpr_flat_scratch_init 0
		.amdhsa_user_sgpr_kernarg_preload_length 0
		.amdhsa_user_sgpr_kernarg_preload_offset 0
		.amdhsa_user_sgpr_private_segment_size 0
		.amdhsa_uses_dynamic_stack 0
		.amdhsa_system_sgpr_private_segment_wavefront_offset 0
		.amdhsa_system_sgpr_workgroup_id_x 1
		.amdhsa_system_sgpr_workgroup_id_y 0
		.amdhsa_system_sgpr_workgroup_id_z 0
		.amdhsa_system_sgpr_workgroup_info 0
		.amdhsa_system_vgpr_workitem_id 0
		.amdhsa_next_free_vgpr 14
		.amdhsa_next_free_sgpr 12
		.amdhsa_accum_offset 16
		.amdhsa_reserve_vcc 1
		.amdhsa_reserve_flat_scratch 0
		.amdhsa_float_round_mode_32 0
		.amdhsa_float_round_mode_16_64 0
		.amdhsa_float_denorm_mode_32 3
		.amdhsa_float_denorm_mode_16_64 3
		.amdhsa_dx10_clamp 1
		.amdhsa_ieee_mode 1
		.amdhsa_fp16_overflow 0
		.amdhsa_tg_split 0
		.amdhsa_exception_fp_ieee_invalid_op 0
		.amdhsa_exception_fp_denorm_src 0
		.amdhsa_exception_fp_ieee_div_zero 0
		.amdhsa_exception_fp_ieee_overflow 0
		.amdhsa_exception_fp_ieee_underflow 0
		.amdhsa_exception_fp_ieee_inexact 0
		.amdhsa_exception_int_div_zero 0
	.end_amdhsa_kernel
	.section	.text._ZN2at6native29vectorized_elementwise_kernelILi4ENS0_13BUnaryFunctorIN3c104HalfES4_S4_ZNS0_20copysign_kernel_cudaERNS_18TensorIteratorBaseEEUlS4_S4_E_EESt5arrayIPcLm2EEEEviT0_T1_,"axG",@progbits,_ZN2at6native29vectorized_elementwise_kernelILi4ENS0_13BUnaryFunctorIN3c104HalfES4_S4_ZNS0_20copysign_kernel_cudaERNS_18TensorIteratorBaseEEUlS4_S4_E_EESt5arrayIPcLm2EEEEviT0_T1_,comdat
.Lfunc_end10:
	.size	_ZN2at6native29vectorized_elementwise_kernelILi4ENS0_13BUnaryFunctorIN3c104HalfES4_S4_ZNS0_20copysign_kernel_cudaERNS_18TensorIteratorBaseEEUlS4_S4_E_EESt5arrayIPcLm2EEEEviT0_T1_, .Lfunc_end10-_ZN2at6native29vectorized_elementwise_kernelILi4ENS0_13BUnaryFunctorIN3c104HalfES4_S4_ZNS0_20copysign_kernel_cudaERNS_18TensorIteratorBaseEEUlS4_S4_E_EESt5arrayIPcLm2EEEEviT0_T1_
                                        ; -- End function
	.section	.AMDGPU.csdata,"",@progbits
; Kernel info:
; codeLenInByte = 1644
; NumSgprs: 16
; NumVgprs: 14
; NumAgprs: 0
; TotalNumVgprs: 14
; ScratchSize: 0
; MemoryBound: 0
; FloatMode: 240
; IeeeMode: 1
; LDSByteSize: 0 bytes/workgroup (compile time only)
; SGPRBlocks: 1
; VGPRBlocks: 1
; NumSGPRsForWavesPerEU: 16
; NumVGPRsForWavesPerEU: 14
; AccumOffset: 16
; Occupancy: 8
; WaveLimiterHint : 1
; COMPUTE_PGM_RSRC2:SCRATCH_EN: 0
; COMPUTE_PGM_RSRC2:USER_SGPR: 6
; COMPUTE_PGM_RSRC2:TRAP_HANDLER: 0
; COMPUTE_PGM_RSRC2:TGID_X_EN: 1
; COMPUTE_PGM_RSRC2:TGID_Y_EN: 0
; COMPUTE_PGM_RSRC2:TGID_Z_EN: 0
; COMPUTE_PGM_RSRC2:TIDIG_COMP_CNT: 0
; COMPUTE_PGM_RSRC3_GFX90A:ACCUM_OFFSET: 3
; COMPUTE_PGM_RSRC3_GFX90A:TG_SPLIT: 0
	.section	.text._ZN2at6native29vectorized_elementwise_kernelILi2ENS0_13BUnaryFunctorIN3c104HalfES4_S4_ZNS0_20copysign_kernel_cudaERNS_18TensorIteratorBaseEEUlS4_S4_E_EESt5arrayIPcLm2EEEEviT0_T1_,"axG",@progbits,_ZN2at6native29vectorized_elementwise_kernelILi2ENS0_13BUnaryFunctorIN3c104HalfES4_S4_ZNS0_20copysign_kernel_cudaERNS_18TensorIteratorBaseEEUlS4_S4_E_EESt5arrayIPcLm2EEEEviT0_T1_,comdat
	.globl	_ZN2at6native29vectorized_elementwise_kernelILi2ENS0_13BUnaryFunctorIN3c104HalfES4_S4_ZNS0_20copysign_kernel_cudaERNS_18TensorIteratorBaseEEUlS4_S4_E_EESt5arrayIPcLm2EEEEviT0_T1_ ; -- Begin function _ZN2at6native29vectorized_elementwise_kernelILi2ENS0_13BUnaryFunctorIN3c104HalfES4_S4_ZNS0_20copysign_kernel_cudaERNS_18TensorIteratorBaseEEUlS4_S4_E_EESt5arrayIPcLm2EEEEviT0_T1_
	.p2align	8
	.type	_ZN2at6native29vectorized_elementwise_kernelILi2ENS0_13BUnaryFunctorIN3c104HalfES4_S4_ZNS0_20copysign_kernel_cudaERNS_18TensorIteratorBaseEEUlS4_S4_E_EESt5arrayIPcLm2EEEEviT0_T1_,@function
_ZN2at6native29vectorized_elementwise_kernelILi2ENS0_13BUnaryFunctorIN3c104HalfES4_S4_ZNS0_20copysign_kernel_cudaERNS_18TensorIteratorBaseEEUlS4_S4_E_EESt5arrayIPcLm2EEEEviT0_T1_: ; @_ZN2at6native29vectorized_elementwise_kernelILi2ENS0_13BUnaryFunctorIN3c104HalfES4_S4_ZNS0_20copysign_kernel_cudaERNS_18TensorIteratorBaseEEUlS4_S4_E_EESt5arrayIPcLm2EEEEviT0_T1_
; %bb.0:
	s_load_dwordx2 s[0:1], s[4:5], 0x0
	s_load_dwordx4 s[8:11], s[4:5], 0x8
	s_lshl_b32 s2, s6, 11
	s_waitcnt lgkmcnt(0)
	s_sub_i32 s6, s0, s2
	s_lshr_b32 s7, s1, 16
	s_cmpk_gt_i32 s6, 0x7ff
	s_mov_b64 s[0:1], -1
	s_cbranch_scc0 .LBB11_2
; %bb.1:
	s_ashr_i32 s3, s2, 31
	s_lshl_b64 s[0:1], s[2:3], 1
	s_add_u32 s4, s10, s0
	s_addc_u32 s5, s11, s1
	v_lshlrev_b32_e32 v1, 2, v0
	global_load_dword v2, v1, s[4:5]
	global_load_dword v3, v1, s[4:5] offset:1024
	global_load_dword v4, v1, s[4:5] offset:2048
	;; [unrolled: 1-line block ×3, first 2 shown]
	v_mov_b32_e32 v6, 0xffff8000
	s_movk_i32 s3, 0x7fff
	v_and_b32_e32 v6, s7, v6
	s_add_u32 s0, s8, s0
	s_addc_u32 s1, s9, s1
	s_waitcnt vmcnt(3)
	v_and_b32_e32 v7, 0x7fff, v2
	v_and_b32_sdwa v2, v2, s3 dst_sel:DWORD dst_unused:UNUSED_PAD src0_sel:WORD_1 src1_sel:DWORD
	s_waitcnt vmcnt(2)
	v_and_b32_e32 v8, 0x7fff, v3
	v_and_b32_sdwa v3, v3, s3 dst_sel:DWORD dst_unused:UNUSED_PAD src0_sel:WORD_1 src1_sel:DWORD
	;; [unrolled: 3-line block ×4, first 2 shown]
	v_or_b32_e32 v7, v7, v6
	v_or_b32_sdwa v2, v2, v6 dst_sel:WORD_1 dst_unused:UNUSED_PAD src0_sel:DWORD src1_sel:DWORD
	v_or_b32_e32 v8, v8, v6
	v_or_b32_sdwa v3, v3, v6 dst_sel:WORD_1 dst_unused:UNUSED_PAD src0_sel:DWORD src1_sel:DWORD
	;; [unrolled: 2-line block ×4, first 2 shown]
	v_or_b32_sdwa v2, v2, v7 dst_sel:DWORD dst_unused:UNUSED_PAD src0_sel:DWORD src1_sel:WORD_0
	v_or_b32_sdwa v3, v3, v8 dst_sel:DWORD dst_unused:UNUSED_PAD src0_sel:DWORD src1_sel:WORD_0
	;; [unrolled: 1-line block ×4, first 2 shown]
	global_store_dword v1, v2, s[0:1]
	global_store_dword v1, v3, s[0:1] offset:1024
	global_store_dword v1, v4, s[0:1] offset:2048
	;; [unrolled: 1-line block ×3, first 2 shown]
	s_mov_b64 s[0:1], 0
.LBB11_2:
	s_andn2_b64 vcc, exec, s[0:1]
	s_cbranch_vccnz .LBB11_28
; %bb.3:
	v_cmp_gt_i32_e32 vcc, s6, v0
	v_mov_b32_e32 v1, 0
	v_or_b32_e32 v2, s2, v0
	v_mov_b32_e32 v3, 0
	v_mov_b32_e32 v9, v0
	s_and_saveexec_b64 s[4:5], vcc
	s_cbranch_execz .LBB11_5
; %bb.4:
	v_mov_b32_e32 v3, 0
	v_lshlrev_b64 v[4:5], 1, v[2:3]
	v_mov_b32_e32 v3, s11
	v_add_co_u32_e64 v4, s[0:1], s10, v4
	v_addc_co_u32_e64 v5, s[0:1], v3, v5, s[0:1]
	global_load_ushort v3, v[4:5], off
	v_or_b32_e32 v9, 0x100, v0
	s_waitcnt vmcnt(0)
	v_and_b32_e32 v3, 0x7fff, v3
.LBB11_5:
	s_or_b64 exec, exec, s[4:5]
	v_cmp_gt_i32_e64 s[0:1], s6, v9
	s_and_saveexec_b64 s[4:5], s[0:1]
	s_cbranch_execz .LBB11_7
; %bb.6:
	v_add_u32_e32 v4, s2, v9
	v_mov_b32_e32 v5, 0
	v_lshlrev_b64 v[4:5], 1, v[4:5]
	v_mov_b32_e32 v1, s11
	v_add_co_u32_e64 v4, s[0:1], s10, v4
	v_addc_co_u32_e64 v5, s[0:1], v1, v5, s[0:1]
	global_load_ushort v1, v[4:5], off
	v_add_u32_e32 v9, 0x100, v9
	s_waitcnt vmcnt(0)
	v_and_b32_e32 v1, 0x7fff, v1
.LBB11_7:
	s_or_b64 exec, exec, s[4:5]
	v_cmp_gt_i32_e64 s[0:1], s6, v9
	v_mov_b32_e32 v4, 0
	v_mov_b32_e32 v7, 0
	s_and_saveexec_b64 s[4:5], s[0:1]
	s_cbranch_execz .LBB11_9
; %bb.8:
	v_add_u32_e32 v6, s2, v9
	v_mov_b32_e32 v7, 0
	v_lshlrev_b64 v[6:7], 1, v[6:7]
	v_mov_b32_e32 v5, s11
	v_add_co_u32_e64 v6, s[0:1], s10, v6
	v_addc_co_u32_e64 v7, s[0:1], v5, v7, s[0:1]
	global_load_ushort v5, v[6:7], off
	v_add_u32_e32 v9, 0x100, v9
	s_waitcnt vmcnt(0)
	v_and_b32_e32 v7, 0x7fff, v5
.LBB11_9:
	s_or_b64 exec, exec, s[4:5]
	v_cmp_gt_i32_e64 s[0:1], s6, v9
	s_and_saveexec_b64 s[4:5], s[0:1]
	s_cbranch_execz .LBB11_11
; %bb.10:
	v_add_u32_e32 v4, s2, v9
	v_mov_b32_e32 v5, 0
	v_lshlrev_b64 v[4:5], 1, v[4:5]
	v_mov_b32_e32 v6, s11
	v_add_co_u32_e64 v4, s[0:1], s10, v4
	v_addc_co_u32_e64 v5, s[0:1], v6, v5, s[0:1]
	global_load_ushort v4, v[4:5], off
	v_add_u32_e32 v9, 0x100, v9
	s_waitcnt vmcnt(0)
	v_and_b32_e32 v4, 0x7fff, v4
.LBB11_11:
	s_or_b64 exec, exec, s[4:5]
	v_cmp_gt_i32_e64 s[0:1], s6, v9
	v_mov_b32_e32 v5, 0
	v_mov_b32_e32 v8, 0
	s_and_saveexec_b64 s[4:5], s[0:1]
	s_cbranch_execz .LBB11_13
; %bb.12:
	v_add_u32_e32 v10, s2, v9
	v_mov_b32_e32 v11, 0
	v_lshlrev_b64 v[10:11], 1, v[10:11]
	v_mov_b32_e32 v6, s11
	v_add_co_u32_e64 v10, s[0:1], s10, v10
	v_addc_co_u32_e64 v11, s[0:1], v6, v11, s[0:1]
	global_load_ushort v6, v[10:11], off
	v_add_u32_e32 v9, 0x100, v9
	s_waitcnt vmcnt(0)
	v_and_b32_e32 v8, 0x7fff, v6
.LBB11_13:
	;; [unrolled: 34-line block ×3, first 2 shown]
	s_or_b64 exec, exec, s[4:5]
	v_cmp_gt_i32_e64 s[0:1], s6, v9
	s_and_saveexec_b64 s[4:5], s[0:1]
	s_cbranch_execz .LBB11_19
; %bb.18:
	v_add_u32_e32 v12, s2, v9
	v_mov_b32_e32 v13, 0
	v_lshlrev_b64 v[12:13], 1, v[12:13]
	v_mov_b32_e32 v6, s11
	v_add_co_u32_e64 v12, s[0:1], s10, v12
	v_addc_co_u32_e64 v13, s[0:1], v6, v13, s[0:1]
	global_load_ushort v6, v[12:13], off
	s_waitcnt vmcnt(0)
	v_and_b32_e32 v6, 0x7fff, v6
.LBB11_19:
	s_or_b64 exec, exec, s[4:5]
	v_mov_b32_e32 v9, 0xffff8000
	v_and_b32_e32 v9, s7, v9
	s_and_saveexec_b64 s[0:1], vcc
	s_cbranch_execnz .LBB11_29
; %bb.20:
	s_or_b64 exec, exec, s[0:1]
	v_cmp_gt_i32_e32 vcc, s6, v0
	s_and_saveexec_b64 s[0:1], vcc
	s_cbranch_execnz .LBB11_30
.LBB11_21:
	s_or_b64 exec, exec, s[0:1]
	v_cmp_gt_i32_e32 vcc, s6, v0
	s_and_saveexec_b64 s[0:1], vcc
	s_cbranch_execnz .LBB11_31
.LBB11_22:
	s_or_b64 exec, exec, s[0:1]
	v_cmp_gt_i32_e32 vcc, s6, v0
	s_and_saveexec_b64 s[0:1], vcc
	s_cbranch_execnz .LBB11_32
.LBB11_23:
	s_or_b64 exec, exec, s[0:1]
	v_cmp_gt_i32_e32 vcc, s6, v0
	s_and_saveexec_b64 s[0:1], vcc
	s_cbranch_execnz .LBB11_33
.LBB11_24:
	s_or_b64 exec, exec, s[0:1]
	v_cmp_gt_i32_e32 vcc, s6, v0
	s_and_saveexec_b64 s[0:1], vcc
	s_cbranch_execnz .LBB11_34
.LBB11_25:
	s_or_b64 exec, exec, s[0:1]
	v_cmp_gt_i32_e32 vcc, s6, v0
	s_and_saveexec_b64 s[0:1], vcc
	s_cbranch_execnz .LBB11_35
.LBB11_26:
	s_or_b64 exec, exec, s[0:1]
	v_cmp_gt_i32_e32 vcc, s6, v0
	s_and_saveexec_b64 s[0:1], vcc
	s_cbranch_execz .LBB11_28
.LBB11_27:
	v_add_u32_e32 v0, s2, v0
	v_mov_b32_e32 v1, 0
	v_lshlrev_b64 v[0:1], 1, v[0:1]
	v_mov_b32_e32 v3, s9
	v_add_co_u32_e32 v0, vcc, s8, v0
	v_or_b32_e32 v2, v6, v9
	v_addc_co_u32_e32 v1, vcc, v3, v1, vcc
	global_store_short v[0:1], v2, off
.LBB11_28:
	s_endpgm
.LBB11_29:
	v_or_b32_e32 v11, v3, v9
	v_mov_b32_e32 v3, 0
	v_lshlrev_b64 v[2:3], 1, v[2:3]
	v_mov_b32_e32 v12, s9
	v_add_co_u32_e32 v2, vcc, s8, v2
	v_or_b32_e32 v0, 0x100, v0
	v_addc_co_u32_e32 v3, vcc, v12, v3, vcc
	global_store_short v[2:3], v11, off
	s_or_b64 exec, exec, s[0:1]
	v_cmp_gt_i32_e32 vcc, s6, v0
	s_and_saveexec_b64 s[0:1], vcc
	s_cbranch_execz .LBB11_21
.LBB11_30:
	v_add_u32_e32 v2, s2, v0
	v_mov_b32_e32 v3, 0
	v_lshlrev_b64 v[2:3], 1, v[2:3]
	v_mov_b32_e32 v11, s9
	v_add_co_u32_e32 v2, vcc, s8, v2
	v_or_b32_e32 v1, v1, v9
	v_addc_co_u32_e32 v3, vcc, v11, v3, vcc
	v_add_u32_e32 v0, 0x100, v0
	global_store_short v[2:3], v1, off
	s_or_b64 exec, exec, s[0:1]
	v_cmp_gt_i32_e32 vcc, s6, v0
	s_and_saveexec_b64 s[0:1], vcc
	s_cbranch_execz .LBB11_22
.LBB11_31:
	v_add_u32_e32 v2, s2, v0
	v_mov_b32_e32 v3, 0
	v_lshlrev_b64 v[2:3], 1, v[2:3]
	v_or_b32_e32 v1, v7, v9
	v_mov_b32_e32 v7, s9
	v_add_co_u32_e32 v2, vcc, s8, v2
	v_addc_co_u32_e32 v3, vcc, v7, v3, vcc
	v_add_u32_e32 v0, 0x100, v0
	global_store_short v[2:3], v1, off
	s_or_b64 exec, exec, s[0:1]
	v_cmp_gt_i32_e32 vcc, s6, v0
	s_and_saveexec_b64 s[0:1], vcc
	s_cbranch_execz .LBB11_23
.LBB11_32:
	v_add_u32_e32 v2, s2, v0
	v_mov_b32_e32 v3, 0
	v_lshlrev_b64 v[2:3], 1, v[2:3]
	v_or_b32_e32 v1, v4, v9
	v_mov_b32_e32 v4, s9
	v_add_co_u32_e32 v2, vcc, s8, v2
	v_addc_co_u32_e32 v3, vcc, v4, v3, vcc
	v_add_u32_e32 v0, 0x100, v0
	global_store_short v[2:3], v1, off
	s_or_b64 exec, exec, s[0:1]
	v_cmp_gt_i32_e32 vcc, s6, v0
	s_and_saveexec_b64 s[0:1], vcc
	s_cbranch_execz .LBB11_24
.LBB11_33:
	v_add_u32_e32 v2, s2, v0
	v_mov_b32_e32 v3, 0
	v_lshlrev_b64 v[2:3], 1, v[2:3]
	v_mov_b32_e32 v4, s9
	v_add_co_u32_e32 v2, vcc, s8, v2
	v_or_b32_e32 v1, v8, v9
	v_addc_co_u32_e32 v3, vcc, v4, v3, vcc
	v_add_u32_e32 v0, 0x100, v0
	global_store_short v[2:3], v1, off
	s_or_b64 exec, exec, s[0:1]
	v_cmp_gt_i32_e32 vcc, s6, v0
	s_and_saveexec_b64 s[0:1], vcc
	s_cbranch_execz .LBB11_25
.LBB11_34:
	v_add_u32_e32 v2, s2, v0
	v_mov_b32_e32 v3, 0
	v_lshlrev_b64 v[2:3], 1, v[2:3]
	v_mov_b32_e32 v4, s9
	v_add_co_u32_e32 v2, vcc, s8, v2
	v_or_b32_e32 v1, v5, v9
	v_addc_co_u32_e32 v3, vcc, v4, v3, vcc
	v_add_u32_e32 v0, 0x100, v0
	global_store_short v[2:3], v1, off
	s_or_b64 exec, exec, s[0:1]
	v_cmp_gt_i32_e32 vcc, s6, v0
	s_and_saveexec_b64 s[0:1], vcc
	s_cbranch_execz .LBB11_26
.LBB11_35:
	v_add_u32_e32 v2, s2, v0
	v_mov_b32_e32 v3, 0
	v_lshlrev_b64 v[2:3], 1, v[2:3]
	v_mov_b32_e32 v4, s9
	v_add_co_u32_e32 v2, vcc, s8, v2
	v_or_b32_e32 v1, v10, v9
	v_addc_co_u32_e32 v3, vcc, v4, v3, vcc
	v_add_u32_e32 v0, 0x100, v0
	global_store_short v[2:3], v1, off
	s_or_b64 exec, exec, s[0:1]
	v_cmp_gt_i32_e32 vcc, s6, v0
	s_and_saveexec_b64 s[0:1], vcc
	s_cbranch_execnz .LBB11_27
	s_branch .LBB11_28
	.section	.rodata,"a",@progbits
	.p2align	6, 0x0
	.amdhsa_kernel _ZN2at6native29vectorized_elementwise_kernelILi2ENS0_13BUnaryFunctorIN3c104HalfES4_S4_ZNS0_20copysign_kernel_cudaERNS_18TensorIteratorBaseEEUlS4_S4_E_EESt5arrayIPcLm2EEEEviT0_T1_
		.amdhsa_group_segment_fixed_size 0
		.amdhsa_private_segment_fixed_size 0
		.amdhsa_kernarg_size 24
		.amdhsa_user_sgpr_count 6
		.amdhsa_user_sgpr_private_segment_buffer 1
		.amdhsa_user_sgpr_dispatch_ptr 0
		.amdhsa_user_sgpr_queue_ptr 0
		.amdhsa_user_sgpr_kernarg_segment_ptr 1
		.amdhsa_user_sgpr_dispatch_id 0
		.amdhsa_user_sgpr_flat_scratch_init 0
		.amdhsa_user_sgpr_kernarg_preload_length 0
		.amdhsa_user_sgpr_kernarg_preload_offset 0
		.amdhsa_user_sgpr_private_segment_size 0
		.amdhsa_uses_dynamic_stack 0
		.amdhsa_system_sgpr_private_segment_wavefront_offset 0
		.amdhsa_system_sgpr_workgroup_id_x 1
		.amdhsa_system_sgpr_workgroup_id_y 0
		.amdhsa_system_sgpr_workgroup_id_z 0
		.amdhsa_system_sgpr_workgroup_info 0
		.amdhsa_system_vgpr_workitem_id 0
		.amdhsa_next_free_vgpr 14
		.amdhsa_next_free_sgpr 12
		.amdhsa_accum_offset 16
		.amdhsa_reserve_vcc 1
		.amdhsa_reserve_flat_scratch 0
		.amdhsa_float_round_mode_32 0
		.amdhsa_float_round_mode_16_64 0
		.amdhsa_float_denorm_mode_32 3
		.amdhsa_float_denorm_mode_16_64 3
		.amdhsa_dx10_clamp 1
		.amdhsa_ieee_mode 1
		.amdhsa_fp16_overflow 0
		.amdhsa_tg_split 0
		.amdhsa_exception_fp_ieee_invalid_op 0
		.amdhsa_exception_fp_denorm_src 0
		.amdhsa_exception_fp_ieee_div_zero 0
		.amdhsa_exception_fp_ieee_overflow 0
		.amdhsa_exception_fp_ieee_underflow 0
		.amdhsa_exception_fp_ieee_inexact 0
		.amdhsa_exception_int_div_zero 0
	.end_amdhsa_kernel
	.section	.text._ZN2at6native29vectorized_elementwise_kernelILi2ENS0_13BUnaryFunctorIN3c104HalfES4_S4_ZNS0_20copysign_kernel_cudaERNS_18TensorIteratorBaseEEUlS4_S4_E_EESt5arrayIPcLm2EEEEviT0_T1_,"axG",@progbits,_ZN2at6native29vectorized_elementwise_kernelILi2ENS0_13BUnaryFunctorIN3c104HalfES4_S4_ZNS0_20copysign_kernel_cudaERNS_18TensorIteratorBaseEEUlS4_S4_E_EESt5arrayIPcLm2EEEEviT0_T1_,comdat
.Lfunc_end11:
	.size	_ZN2at6native29vectorized_elementwise_kernelILi2ENS0_13BUnaryFunctorIN3c104HalfES4_S4_ZNS0_20copysign_kernel_cudaERNS_18TensorIteratorBaseEEUlS4_S4_E_EESt5arrayIPcLm2EEEEviT0_T1_, .Lfunc_end11-_ZN2at6native29vectorized_elementwise_kernelILi2ENS0_13BUnaryFunctorIN3c104HalfES4_S4_ZNS0_20copysign_kernel_cudaERNS_18TensorIteratorBaseEEUlS4_S4_E_EESt5arrayIPcLm2EEEEviT0_T1_
                                        ; -- End function
	.section	.AMDGPU.csdata,"",@progbits
; Kernel info:
; codeLenInByte = 1644
; NumSgprs: 16
; NumVgprs: 14
; NumAgprs: 0
; TotalNumVgprs: 14
; ScratchSize: 0
; MemoryBound: 0
; FloatMode: 240
; IeeeMode: 1
; LDSByteSize: 0 bytes/workgroup (compile time only)
; SGPRBlocks: 1
; VGPRBlocks: 1
; NumSGPRsForWavesPerEU: 16
; NumVGPRsForWavesPerEU: 14
; AccumOffset: 16
; Occupancy: 8
; WaveLimiterHint : 1
; COMPUTE_PGM_RSRC2:SCRATCH_EN: 0
; COMPUTE_PGM_RSRC2:USER_SGPR: 6
; COMPUTE_PGM_RSRC2:TRAP_HANDLER: 0
; COMPUTE_PGM_RSRC2:TGID_X_EN: 1
; COMPUTE_PGM_RSRC2:TGID_Y_EN: 0
; COMPUTE_PGM_RSRC2:TGID_Z_EN: 0
; COMPUTE_PGM_RSRC2:TIDIG_COMP_CNT: 0
; COMPUTE_PGM_RSRC3_GFX90A:ACCUM_OFFSET: 3
; COMPUTE_PGM_RSRC3_GFX90A:TG_SPLIT: 0
	.section	.text._ZN2at6native27unrolled_elementwise_kernelINS0_13BUnaryFunctorIN3c104HalfES4_S4_ZNS0_20copysign_kernel_cudaERNS_18TensorIteratorBaseEEUlS4_S4_E_EESt5arrayIPcLm2EELi4E23TrivialOffsetCalculatorILi1EjESD_NS0_6memory15LoadWithoutCastENSE_16StoreWithoutCastEEEviT_T0_T2_T3_T4_T5_,"axG",@progbits,_ZN2at6native27unrolled_elementwise_kernelINS0_13BUnaryFunctorIN3c104HalfES4_S4_ZNS0_20copysign_kernel_cudaERNS_18TensorIteratorBaseEEUlS4_S4_E_EESt5arrayIPcLm2EELi4E23TrivialOffsetCalculatorILi1EjESD_NS0_6memory15LoadWithoutCastENSE_16StoreWithoutCastEEEviT_T0_T2_T3_T4_T5_,comdat
	.globl	_ZN2at6native27unrolled_elementwise_kernelINS0_13BUnaryFunctorIN3c104HalfES4_S4_ZNS0_20copysign_kernel_cudaERNS_18TensorIteratorBaseEEUlS4_S4_E_EESt5arrayIPcLm2EELi4E23TrivialOffsetCalculatorILi1EjESD_NS0_6memory15LoadWithoutCastENSE_16StoreWithoutCastEEEviT_T0_T2_T3_T4_T5_ ; -- Begin function _ZN2at6native27unrolled_elementwise_kernelINS0_13BUnaryFunctorIN3c104HalfES4_S4_ZNS0_20copysign_kernel_cudaERNS_18TensorIteratorBaseEEUlS4_S4_E_EESt5arrayIPcLm2EELi4E23TrivialOffsetCalculatorILi1EjESD_NS0_6memory15LoadWithoutCastENSE_16StoreWithoutCastEEEviT_T0_T2_T3_T4_T5_
	.p2align	8
	.type	_ZN2at6native27unrolled_elementwise_kernelINS0_13BUnaryFunctorIN3c104HalfES4_S4_ZNS0_20copysign_kernel_cudaERNS_18TensorIteratorBaseEEUlS4_S4_E_EESt5arrayIPcLm2EELi4E23TrivialOffsetCalculatorILi1EjESD_NS0_6memory15LoadWithoutCastENSE_16StoreWithoutCastEEEviT_T0_T2_T3_T4_T5_,@function
_ZN2at6native27unrolled_elementwise_kernelINS0_13BUnaryFunctorIN3c104HalfES4_S4_ZNS0_20copysign_kernel_cudaERNS_18TensorIteratorBaseEEUlS4_S4_E_EESt5arrayIPcLm2EELi4E23TrivialOffsetCalculatorILi1EjESD_NS0_6memory15LoadWithoutCastENSE_16StoreWithoutCastEEEviT_T0_T2_T3_T4_T5_: ; @_ZN2at6native27unrolled_elementwise_kernelINS0_13BUnaryFunctorIN3c104HalfES4_S4_ZNS0_20copysign_kernel_cudaERNS_18TensorIteratorBaseEEUlS4_S4_E_EESt5arrayIPcLm2EELi4E23TrivialOffsetCalculatorILi1EjESD_NS0_6memory15LoadWithoutCastENSE_16StoreWithoutCastEEEviT_T0_T2_T3_T4_T5_
; %bb.0:
	s_load_dwordx2 s[2:3], s[4:5], 0x0
	s_load_dwordx4 s[8:11], s[4:5], 0x8
	s_lshl_b32 s6, s6, 10
	v_mov_b32_e32 v1, 0
	v_or_b32_e32 v2, s6, v0
	s_waitcnt lgkmcnt(0)
	s_sub_i32 s2, s2, s6
	v_cmp_gt_i32_e32 vcc, s2, v0
	v_mov_b32_e32 v5, 0
	v_mov_b32_e32 v3, v0
	s_and_saveexec_b64 s[4:5], vcc
	s_cbranch_execz .LBB12_2
; %bb.1:
	v_mov_b32_e32 v3, 0
	v_lshlrev_b64 v[4:5], 1, v[2:3]
	v_mov_b32_e32 v3, s11
	v_add_co_u32_e64 v4, s[0:1], s10, v4
	v_addc_co_u32_e64 v5, s[0:1], v3, v5, s[0:1]
	global_load_ushort v4, v[4:5], off
	v_or_b32_e32 v3, 0x100, v0
	s_waitcnt vmcnt(0)
	v_and_b32_e32 v5, 0x7fff, v4
.LBB12_2:
	s_or_b64 exec, exec, s[4:5]
	v_cmp_gt_i32_e64 s[0:1], s2, v3
	s_and_saveexec_b64 s[4:5], s[0:1]
	s_cbranch_execz .LBB12_4
; %bb.3:
	v_add_u32_e32 v6, s6, v3
	v_mov_b32_e32 v7, 0
	v_lshlrev_b64 v[6:7], 1, v[6:7]
	v_mov_b32_e32 v1, s11
	v_add_co_u32_e64 v6, s[0:1], s10, v6
	v_addc_co_u32_e64 v7, s[0:1], v1, v7, s[0:1]
	global_load_ushort v1, v[6:7], off
	v_add_u32_e32 v3, 0x100, v3
	s_waitcnt vmcnt(0)
	v_and_b32_e32 v1, 0x7fff, v1
.LBB12_4:
	s_or_b64 exec, exec, s[4:5]
	v_cmp_gt_i32_e64 s[0:1], s2, v3
	v_mov_b32_e32 v4, 0
	v_mov_b32_e32 v6, 0
	s_and_saveexec_b64 s[4:5], s[0:1]
	s_cbranch_execz .LBB12_6
; %bb.5:
	v_add_u32_e32 v6, s6, v3
	v_mov_b32_e32 v7, 0
	v_lshlrev_b64 v[6:7], 1, v[6:7]
	v_mov_b32_e32 v8, s11
	v_add_co_u32_e64 v6, s[0:1], s10, v6
	v_addc_co_u32_e64 v7, s[0:1], v8, v7, s[0:1]
	global_load_ushort v6, v[6:7], off
	v_add_u32_e32 v3, 0x100, v3
	s_waitcnt vmcnt(0)
	v_and_b32_e32 v6, 0x7fff, v6
.LBB12_6:
	s_or_b64 exec, exec, s[4:5]
	v_cmp_gt_i32_e64 s[0:1], s2, v3
	s_and_saveexec_b64 s[4:5], s[0:1]
	s_cbranch_execz .LBB12_8
; %bb.7:
	v_add_u32_e32 v8, s6, v3
	v_mov_b32_e32 v9, 0
	v_lshlrev_b64 v[8:9], 1, v[8:9]
	v_mov_b32_e32 v3, s11
	v_add_co_u32_e64 v8, s[0:1], s10, v8
	v_addc_co_u32_e64 v9, s[0:1], v3, v9, s[0:1]
	global_load_ushort v3, v[8:9], off
	s_waitcnt vmcnt(0)
	v_and_b32_e32 v4, 0x7fff, v3
.LBB12_8:
	s_or_b64 exec, exec, s[4:5]
	s_lshr_b32 s0, s3, 16
	v_mov_b32_e32 v3, 0xffff8000
	v_and_b32_e32 v7, s0, v3
	s_and_saveexec_b64 s[0:1], vcc
	s_cbranch_execnz .LBB12_13
; %bb.9:
	s_or_b64 exec, exec, s[0:1]
	v_cmp_gt_i32_e32 vcc, s2, v0
	s_and_saveexec_b64 s[0:1], vcc
	s_cbranch_execnz .LBB12_14
.LBB12_10:
	s_or_b64 exec, exec, s[0:1]
	v_cmp_gt_i32_e32 vcc, s2, v0
	s_and_saveexec_b64 s[0:1], vcc
	s_cbranch_execnz .LBB12_15
.LBB12_11:
	s_or_b64 exec, exec, s[0:1]
	v_cmp_gt_i32_e32 vcc, s2, v0
	s_and_saveexec_b64 s[0:1], vcc
	s_cbranch_execnz .LBB12_16
.LBB12_12:
	s_endpgm
.LBB12_13:
	v_mov_b32_e32 v3, 0
	v_lshlrev_b64 v[2:3], 1, v[2:3]
	v_mov_b32_e32 v8, s9
	v_add_co_u32_e32 v2, vcc, s8, v2
	v_or_b32_e32 v0, 0x100, v0
	v_addc_co_u32_e32 v3, vcc, v8, v3, vcc
	v_or_b32_e32 v5, v5, v7
	global_store_short v[2:3], v5, off
	s_or_b64 exec, exec, s[0:1]
	v_cmp_gt_i32_e32 vcc, s2, v0
	s_and_saveexec_b64 s[0:1], vcc
	s_cbranch_execz .LBB12_10
.LBB12_14:
	v_or_b32_e32 v2, v1, v7
	v_add_u32_e32 v3, 0x100, v0
	v_add_u32_e32 v0, s6, v0
	v_mov_b32_e32 v1, 0
	v_lshlrev_b64 v[0:1], 1, v[0:1]
	v_mov_b32_e32 v5, s9
	v_add_co_u32_e32 v0, vcc, s8, v0
	v_addc_co_u32_e32 v1, vcc, v5, v1, vcc
	global_store_short v[0:1], v2, off
	v_mov_b32_e32 v0, v3
	s_or_b64 exec, exec, s[0:1]
	v_cmp_gt_i32_e32 vcc, s2, v0
	s_and_saveexec_b64 s[0:1], vcc
	s_cbranch_execz .LBB12_11
.LBB12_15:
	v_add_u32_e32 v3, 0x100, v0
	v_add_u32_e32 v0, s6, v0
	v_mov_b32_e32 v1, 0
	v_lshlrev_b64 v[0:1], 1, v[0:1]
	v_mov_b32_e32 v5, s9
	v_add_co_u32_e32 v0, vcc, s8, v0
	v_or_b32_e32 v2, v6, v7
	v_addc_co_u32_e32 v1, vcc, v5, v1, vcc
	global_store_short v[0:1], v2, off
	v_mov_b32_e32 v0, v3
	s_or_b64 exec, exec, s[0:1]
	v_cmp_gt_i32_e32 vcc, s2, v0
	s_and_saveexec_b64 s[0:1], vcc
	s_cbranch_execz .LBB12_12
.LBB12_16:
	v_add_u32_e32 v0, s6, v0
	v_mov_b32_e32 v1, 0
	v_lshlrev_b64 v[0:1], 1, v[0:1]
	v_mov_b32_e32 v3, s9
	v_add_co_u32_e32 v0, vcc, s8, v0
	v_or_b32_e32 v2, v4, v7
	v_addc_co_u32_e32 v1, vcc, v3, v1, vcc
	global_store_short v[0:1], v2, off
	s_endpgm
	.section	.rodata,"a",@progbits
	.p2align	6, 0x0
	.amdhsa_kernel _ZN2at6native27unrolled_elementwise_kernelINS0_13BUnaryFunctorIN3c104HalfES4_S4_ZNS0_20copysign_kernel_cudaERNS_18TensorIteratorBaseEEUlS4_S4_E_EESt5arrayIPcLm2EELi4E23TrivialOffsetCalculatorILi1EjESD_NS0_6memory15LoadWithoutCastENSE_16StoreWithoutCastEEEviT_T0_T2_T3_T4_T5_
		.amdhsa_group_segment_fixed_size 0
		.amdhsa_private_segment_fixed_size 0
		.amdhsa_kernarg_size 28
		.amdhsa_user_sgpr_count 6
		.amdhsa_user_sgpr_private_segment_buffer 1
		.amdhsa_user_sgpr_dispatch_ptr 0
		.amdhsa_user_sgpr_queue_ptr 0
		.amdhsa_user_sgpr_kernarg_segment_ptr 1
		.amdhsa_user_sgpr_dispatch_id 0
		.amdhsa_user_sgpr_flat_scratch_init 0
		.amdhsa_user_sgpr_kernarg_preload_length 0
		.amdhsa_user_sgpr_kernarg_preload_offset 0
		.amdhsa_user_sgpr_private_segment_size 0
		.amdhsa_uses_dynamic_stack 0
		.amdhsa_system_sgpr_private_segment_wavefront_offset 0
		.amdhsa_system_sgpr_workgroup_id_x 1
		.amdhsa_system_sgpr_workgroup_id_y 0
		.amdhsa_system_sgpr_workgroup_id_z 0
		.amdhsa_system_sgpr_workgroup_info 0
		.amdhsa_system_vgpr_workitem_id 0
		.amdhsa_next_free_vgpr 10
		.amdhsa_next_free_sgpr 12
		.amdhsa_accum_offset 12
		.amdhsa_reserve_vcc 1
		.amdhsa_reserve_flat_scratch 0
		.amdhsa_float_round_mode_32 0
		.amdhsa_float_round_mode_16_64 0
		.amdhsa_float_denorm_mode_32 3
		.amdhsa_float_denorm_mode_16_64 3
		.amdhsa_dx10_clamp 1
		.amdhsa_ieee_mode 1
		.amdhsa_fp16_overflow 0
		.amdhsa_tg_split 0
		.amdhsa_exception_fp_ieee_invalid_op 0
		.amdhsa_exception_fp_denorm_src 0
		.amdhsa_exception_fp_ieee_div_zero 0
		.amdhsa_exception_fp_ieee_overflow 0
		.amdhsa_exception_fp_ieee_underflow 0
		.amdhsa_exception_fp_ieee_inexact 0
		.amdhsa_exception_int_div_zero 0
	.end_amdhsa_kernel
	.section	.text._ZN2at6native27unrolled_elementwise_kernelINS0_13BUnaryFunctorIN3c104HalfES4_S4_ZNS0_20copysign_kernel_cudaERNS_18TensorIteratorBaseEEUlS4_S4_E_EESt5arrayIPcLm2EELi4E23TrivialOffsetCalculatorILi1EjESD_NS0_6memory15LoadWithoutCastENSE_16StoreWithoutCastEEEviT_T0_T2_T3_T4_T5_,"axG",@progbits,_ZN2at6native27unrolled_elementwise_kernelINS0_13BUnaryFunctorIN3c104HalfES4_S4_ZNS0_20copysign_kernel_cudaERNS_18TensorIteratorBaseEEUlS4_S4_E_EESt5arrayIPcLm2EELi4E23TrivialOffsetCalculatorILi1EjESD_NS0_6memory15LoadWithoutCastENSE_16StoreWithoutCastEEEviT_T0_T2_T3_T4_T5_,comdat
.Lfunc_end12:
	.size	_ZN2at6native27unrolled_elementwise_kernelINS0_13BUnaryFunctorIN3c104HalfES4_S4_ZNS0_20copysign_kernel_cudaERNS_18TensorIteratorBaseEEUlS4_S4_E_EESt5arrayIPcLm2EELi4E23TrivialOffsetCalculatorILi1EjESD_NS0_6memory15LoadWithoutCastENSE_16StoreWithoutCastEEEviT_T0_T2_T3_T4_T5_, .Lfunc_end12-_ZN2at6native27unrolled_elementwise_kernelINS0_13BUnaryFunctorIN3c104HalfES4_S4_ZNS0_20copysign_kernel_cudaERNS_18TensorIteratorBaseEEUlS4_S4_E_EESt5arrayIPcLm2EELi4E23TrivialOffsetCalculatorILi1EjESD_NS0_6memory15LoadWithoutCastENSE_16StoreWithoutCastEEEviT_T0_T2_T3_T4_T5_
                                        ; -- End function
	.section	.AMDGPU.csdata,"",@progbits
; Kernel info:
; codeLenInByte = 688
; NumSgprs: 16
; NumVgprs: 10
; NumAgprs: 0
; TotalNumVgprs: 10
; ScratchSize: 0
; MemoryBound: 0
; FloatMode: 240
; IeeeMode: 1
; LDSByteSize: 0 bytes/workgroup (compile time only)
; SGPRBlocks: 1
; VGPRBlocks: 1
; NumSGPRsForWavesPerEU: 16
; NumVGPRsForWavesPerEU: 10
; AccumOffset: 12
; Occupancy: 8
; WaveLimiterHint : 0
; COMPUTE_PGM_RSRC2:SCRATCH_EN: 0
; COMPUTE_PGM_RSRC2:USER_SGPR: 6
; COMPUTE_PGM_RSRC2:TRAP_HANDLER: 0
; COMPUTE_PGM_RSRC2:TGID_X_EN: 1
; COMPUTE_PGM_RSRC2:TGID_Y_EN: 0
; COMPUTE_PGM_RSRC2:TGID_Z_EN: 0
; COMPUTE_PGM_RSRC2:TIDIG_COMP_CNT: 0
; COMPUTE_PGM_RSRC3_GFX90A:ACCUM_OFFSET: 2
; COMPUTE_PGM_RSRC3_GFX90A:TG_SPLIT: 0
	.section	.text._ZN2at6native32elementwise_kernel_manual_unrollILi128ELi8EZNS0_22gpu_kernel_impl_nocastINS0_13BUnaryFunctorIN3c104HalfES5_S5_ZNS0_20copysign_kernel_cudaERNS_18TensorIteratorBaseEEUlS5_S5_E_EEEEvS7_RKT_EUlibE_EEviT1_,"axG",@progbits,_ZN2at6native32elementwise_kernel_manual_unrollILi128ELi8EZNS0_22gpu_kernel_impl_nocastINS0_13BUnaryFunctorIN3c104HalfES5_S5_ZNS0_20copysign_kernel_cudaERNS_18TensorIteratorBaseEEUlS5_S5_E_EEEEvS7_RKT_EUlibE_EEviT1_,comdat
	.globl	_ZN2at6native32elementwise_kernel_manual_unrollILi128ELi8EZNS0_22gpu_kernel_impl_nocastINS0_13BUnaryFunctorIN3c104HalfES5_S5_ZNS0_20copysign_kernel_cudaERNS_18TensorIteratorBaseEEUlS5_S5_E_EEEEvS7_RKT_EUlibE_EEviT1_ ; -- Begin function _ZN2at6native32elementwise_kernel_manual_unrollILi128ELi8EZNS0_22gpu_kernel_impl_nocastINS0_13BUnaryFunctorIN3c104HalfES5_S5_ZNS0_20copysign_kernel_cudaERNS_18TensorIteratorBaseEEUlS5_S5_E_EEEEvS7_RKT_EUlibE_EEviT1_
	.p2align	8
	.type	_ZN2at6native32elementwise_kernel_manual_unrollILi128ELi8EZNS0_22gpu_kernel_impl_nocastINS0_13BUnaryFunctorIN3c104HalfES5_S5_ZNS0_20copysign_kernel_cudaERNS_18TensorIteratorBaseEEUlS5_S5_E_EEEEvS7_RKT_EUlibE_EEviT1_,@function
_ZN2at6native32elementwise_kernel_manual_unrollILi128ELi8EZNS0_22gpu_kernel_impl_nocastINS0_13BUnaryFunctorIN3c104HalfES5_S5_ZNS0_20copysign_kernel_cudaERNS_18TensorIteratorBaseEEUlS5_S5_E_EEEEvS7_RKT_EUlibE_EEviT1_: ; @_ZN2at6native32elementwise_kernel_manual_unrollILi128ELi8EZNS0_22gpu_kernel_impl_nocastINS0_13BUnaryFunctorIN3c104HalfES5_S5_ZNS0_20copysign_kernel_cudaERNS_18TensorIteratorBaseEEUlS5_S5_E_EEEEvS7_RKT_EUlibE_EEviT1_
; %bb.0:
	s_load_dword s59, s[4:5], 0x0
	s_load_dword s33, s[4:5], 0x8
	s_or_b32 s34, s4, 8
	v_lshl_or_b32 v24, s6, 10, v0
	v_or_b32_e32 v31, 0x380, v24
	s_mov_b32 s35, s5
	s_waitcnt lgkmcnt(0)
	s_add_i32 s58, s33, -1
	s_cmp_gt_u32 s58, 1
	v_cmp_le_i32_e32 vcc, s59, v31
	s_cselect_b64 s[6:7], -1, 0
	s_and_saveexec_b64 s[0:1], vcc
	s_xor_b64 s[40:41], exec, s[0:1]
	s_cbranch_execz .LBB13_8
; %bb.1:
	s_load_dwordx4 s[24:27], s[34:35], 0x4
	s_load_dwordx2 s[42:43], s[34:35], 0x14
	s_load_dword s8, s[4:5], 0x160
	s_cmp_lg_u32 s33, 0
	s_cselect_b64 s[48:49], -1, 0
	s_add_u32 s46, s34, 0xc4
	s_load_dwordx4 s[28:31], s[34:35], 0xc4
	s_load_dwordx4 s[0:3], s[34:35], 0x148
	s_addc_u32 s47, s35, 0
	s_min_u32 s60, s58, 15
	s_cmp_gt_u32 s33, 1
	s_cselect_b64 s[44:45], -1, 0
	s_waitcnt lgkmcnt(0)
	s_lshr_b32 s8, s8, 16
	v_mov_b32_e32 v0, 0xffff8000
	v_and_b32_e32 v4, s8, v0
	v_cmp_gt_i32_e32 vcc, s59, v24
	s_and_saveexec_b64 s[50:51], vcc
	s_cbranch_execz .LBB13_16
; %bb.2:
	s_andn2_b64 vcc, exec, s[6:7]
	s_cbranch_vccnz .LBB13_24
; %bb.3:
	s_mov_b32 s52, 0
	s_andn2_b64 vcc, exec, s[48:49]
	v_mov_b32_e32 v2, 0
	v_mov_b32_e32 v0, 0
	s_cbranch_vccnz .LBB13_136
; %bb.4:
	s_add_i32 s61, s60, 1
	s_cmp_eq_u32 s58, 2
	s_cbranch_scc1 .LBB13_131
; %bb.5:
	s_and_b32 s52, s61, 28
	s_mov_b32 s53, 0
	v_mov_b32_e32 v0, 0
	s_mov_b64 s[54:55], s[34:35]
	s_mov_b64 s[56:57], s[46:47]
	v_mov_b32_e32 v3, v24
	v_mov_b32_e32 v2, 0
.LBB13_6:                               ; =>This Inner Loop Header: Depth=1
	s_load_dwordx8 s[16:23], s[54:55], 0x4
	s_load_dwordx4 s[36:39], s[54:55], 0x24
	s_load_dwordx8 s[8:15], s[56:57], 0x0
	s_add_u32 s54, s54, 48
	s_addc_u32 s55, s55, 0
	s_waitcnt lgkmcnt(0)
	v_mul_hi_u32 v1, s17, v3
	v_add_u32_e32 v1, v3, v1
	v_lshrrev_b32_e32 v1, s18, v1
	v_mul_lo_u32 v5, v1, s16
	v_mul_hi_u32 v6, s20, v1
	v_sub_u32_e32 v3, v3, v5
	v_add_u32_e32 v5, v1, v6
	v_lshrrev_b32_e32 v5, s21, v5
	v_mul_lo_u32 v7, v5, s19
	v_mul_hi_u32 v8, s23, v5
	v_sub_u32_e32 v1, v1, v7
	v_add_u32_e32 v7, v5, v8
	v_mul_lo_u32 v6, v3, s9
	v_mul_lo_u32 v3, v3, s8
	;; [unrolled: 1-line block ×4, first 2 shown]
	v_lshrrev_b32_e32 v7, s36, v7
	v_add3_u32 v0, v3, v0, v1
	v_mul_hi_u32 v3, s38, v7
	v_add_u32_e32 v3, v7, v3
	v_lshrrev_b32_e32 v3, s39, v3
	s_add_i32 s53, s53, 4
	v_add3_u32 v1, v6, v2, v8
	v_mul_lo_u32 v2, v7, s22
	v_mul_lo_u32 v6, v3, s37
	s_add_u32 s56, s56, 32
	v_sub_u32_e32 v2, v5, v2
	v_sub_u32_e32 v6, v7, v6
	s_addc_u32 s57, s57, 0
	v_mul_lo_u32 v5, v2, s12
	v_mul_lo_u32 v2, v2, s13
	;; [unrolled: 1-line block ×4, first 2 shown]
	s_cmp_lg_u32 s52, s53
	v_add3_u32 v2, v2, v1, v6
	v_add3_u32 v0, v5, v0, v7
	s_cbranch_scc1 .LBB13_6
; %bb.7:
	v_mov_b32_e32 v1, v2
	s_branch .LBB13_132
.LBB13_8:
	s_andn2_saveexec_b64 s[0:1], s[40:41]
	s_cbranch_execz .LBB13_227
.LBB13_9:
	v_cndmask_b32_e64 v0, 0, 1, s[6:7]
	v_cmp_ne_u32_e64 s[0:1], 1, v0
	s_andn2_b64 vcc, exec, s[6:7]
	s_cbranch_vccnz .LBB13_23
; %bb.10:
	s_mov_b32 s2, 0
	s_cmp_lg_u32 s33, 0
	v_mov_b32_e32 v2, 0
	v_mov_b32_e32 v0, 0
	s_cbranch_scc0 .LBB13_15
; %bb.11:
	s_min_u32 s30, s58, 15
	s_add_i32 s30, s30, 1
	s_cmp_eq_u32 s58, 2
	s_cbranch_scc1 .LBB13_26
; %bb.12:
	s_add_u32 s6, s34, 0xc4
	s_addc_u32 s7, s35, 0
	s_and_b32 s2, s30, 28
	s_mov_b32 s3, 0
	v_mov_b32_e32 v0, 0
	s_mov_b64 s[28:29], s[34:35]
	v_mov_b32_e32 v3, v24
	v_mov_b32_e32 v2, 0
.LBB13_13:                              ; =>This Inner Loop Header: Depth=1
	s_load_dwordx8 s[16:23], s[28:29], 0x4
	s_load_dwordx4 s[24:27], s[28:29], 0x24
	s_load_dwordx8 s[8:15], s[6:7], 0x0
	s_add_u32 s28, s28, 48
	s_addc_u32 s29, s29, 0
	s_waitcnt lgkmcnt(0)
	v_mul_hi_u32 v1, s17, v3
	v_add_u32_e32 v1, v3, v1
	v_lshrrev_b32_e32 v1, s18, v1
	v_mul_lo_u32 v4, v1, s16
	v_mul_hi_u32 v5, s20, v1
	v_sub_u32_e32 v3, v3, v4
	v_add_u32_e32 v4, v1, v5
	v_lshrrev_b32_e32 v4, s21, v4
	v_mul_lo_u32 v6, v4, s19
	v_mul_hi_u32 v7, s23, v4
	v_sub_u32_e32 v1, v1, v6
	v_add_u32_e32 v6, v4, v7
	v_mul_lo_u32 v5, v3, s9
	v_mul_lo_u32 v3, v3, s8
	;; [unrolled: 1-line block ×4, first 2 shown]
	v_lshrrev_b32_e32 v6, s24, v6
	v_add3_u32 v0, v3, v0, v1
	v_mul_hi_u32 v3, s26, v6
	v_add_u32_e32 v3, v6, v3
	v_lshrrev_b32_e32 v3, s27, v3
	s_add_i32 s3, s3, 4
	v_add3_u32 v1, v5, v2, v7
	v_mul_lo_u32 v2, v6, s22
	v_mul_lo_u32 v5, v3, s25
	s_add_u32 s6, s6, 32
	v_sub_u32_e32 v2, v4, v2
	v_sub_u32_e32 v5, v6, v5
	s_addc_u32 s7, s7, 0
	v_mul_lo_u32 v4, v2, s12
	v_mul_lo_u32 v2, v2, s13
	;; [unrolled: 1-line block ×4, first 2 shown]
	s_cmp_lg_u32 s2, s3
	v_add3_u32 v2, v2, v1, v5
	v_add3_u32 v0, v4, v0, v6
	s_cbranch_scc1 .LBB13_13
; %bb.14:
	v_mov_b32_e32 v1, v2
	s_and_b32 s8, s30, 3
	s_cmp_eq_u32 s8, 0
	s_cbranch_scc0 .LBB13_27
.LBB13_15:
	s_cbranch_execz .LBB13_30
	s_branch .LBB13_32
.LBB13_16:
	s_or_b64 exec, exec, s[50:51]
	v_cmp_gt_i32_e32 vcc, s59, v24
	s_and_saveexec_b64 s[50:51], vcc
	s_cbranch_execz .LBB13_140
.LBB13_17:
	s_andn2_b64 vcc, exec, s[6:7]
	s_cbranch_vccnz .LBB13_25
; %bb.18:
	s_mov_b32 s52, 0
	s_andn2_b64 vcc, exec, s[48:49]
	v_mov_b32_e32 v2, 0
	v_mov_b32_e32 v0, 0
	s_cbranch_vccnz .LBB13_153
; %bb.19:
	s_add_i32 s61, s60, 1
	s_cmp_eq_u32 s58, 2
	s_cbranch_scc1 .LBB13_148
; %bb.20:
	s_and_b32 s52, s61, 28
	s_mov_b32 s53, 0
	v_mov_b32_e32 v0, 0
	s_mov_b64 s[54:55], s[34:35]
	s_mov_b64 s[56:57], s[46:47]
	v_mov_b32_e32 v3, v24
	v_mov_b32_e32 v2, 0
.LBB13_21:                              ; =>This Inner Loop Header: Depth=1
	s_load_dwordx8 s[16:23], s[54:55], 0x4
	s_load_dwordx4 s[36:39], s[54:55], 0x24
	s_load_dwordx8 s[8:15], s[56:57], 0x0
	s_add_u32 s54, s54, 48
	s_addc_u32 s55, s55, 0
	s_waitcnt lgkmcnt(0)
	v_mul_hi_u32 v1, s17, v3
	v_add_u32_e32 v1, v3, v1
	v_lshrrev_b32_e32 v1, s18, v1
	v_mul_lo_u32 v5, v1, s16
	v_mul_hi_u32 v6, s20, v1
	v_sub_u32_e32 v3, v3, v5
	v_add_u32_e32 v5, v1, v6
	v_lshrrev_b32_e32 v5, s21, v5
	v_mul_lo_u32 v7, v5, s19
	v_mul_hi_u32 v8, s23, v5
	v_sub_u32_e32 v1, v1, v7
	v_add_u32_e32 v7, v5, v8
	v_mul_lo_u32 v6, v3, s9
	v_mul_lo_u32 v3, v3, s8
	;; [unrolled: 1-line block ×4, first 2 shown]
	v_lshrrev_b32_e32 v7, s36, v7
	v_add3_u32 v0, v3, v0, v1
	v_mul_hi_u32 v3, s38, v7
	v_add_u32_e32 v3, v7, v3
	v_lshrrev_b32_e32 v3, s39, v3
	s_add_i32 s53, s53, 4
	v_add3_u32 v1, v6, v2, v8
	v_mul_lo_u32 v2, v7, s22
	v_mul_lo_u32 v6, v3, s37
	s_add_u32 s56, s56, 32
	v_sub_u32_e32 v2, v5, v2
	v_sub_u32_e32 v6, v7, v6
	s_addc_u32 s57, s57, 0
	v_mul_lo_u32 v5, v2, s12
	v_mul_lo_u32 v2, v2, s13
	v_mul_lo_u32 v7, v6, s14
	v_mul_lo_u32 v6, v6, s15
	s_cmp_eq_u32 s52, s53
	v_add3_u32 v2, v2, v1, v6
	v_add3_u32 v0, v5, v0, v7
	s_cbranch_scc0 .LBB13_21
; %bb.22:
	v_mov_b32_e32 v1, v2
	s_branch .LBB13_149
.LBB13_23:
                                        ; implicit-def: $vgpr2
                                        ; implicit-def: $vgpr0
	s_branch .LBB13_30
.LBB13_24:
                                        ; implicit-def: $vgpr2
                                        ; implicit-def: $vgpr0
	s_branch .LBB13_137
.LBB13_25:
                                        ; implicit-def: $vgpr2
                                        ; implicit-def: $vgpr0
	s_branch .LBB13_154
.LBB13_26:
	s_mov_b32 s3, s2
	v_pk_mov_b32 v[0:1], s[2:3], s[2:3] op_sel:[0,1]
                                        ; implicit-def: $vgpr2
	v_mov_b32_e32 v3, v24
	s_and_b32 s8, s30, 3
	s_cmp_eq_u32 s8, 0
	s_cbranch_scc1 .LBB13_15
.LBB13_27:
	s_lshl_b32 s3, s2, 3
	s_add_u32 s3, s3, s34
	s_addc_u32 s7, 0, s35
	s_add_u32 s6, s3, 0xc4
	s_addc_u32 s7, s7, 0
	s_mul_i32 s2, s2, 12
	s_add_u32 s2, s34, s2
	s_addc_u32 s3, 0, s35
.LBB13_28:                              ; =>This Inner Loop Header: Depth=1
	s_load_dwordx2 s[10:11], s[2:3], 0x4
	s_load_dword s9, s[2:3], 0xc
	s_load_dwordx2 s[12:13], s[6:7], 0x0
	v_mov_b32_e32 v2, v1
	s_add_u32 s2, s2, 12
	s_waitcnt lgkmcnt(0)
	v_mul_hi_u32 v1, s11, v3
	v_add_u32_e32 v1, v3, v1
	v_lshrrev_b32_e32 v1, s9, v1
	s_addc_u32 s3, s3, 0
	v_mul_lo_u32 v4, v1, s10
	s_add_u32 s6, s6, 8
	v_sub_u32_e32 v6, v3, v4
	v_mov_b32_e32 v3, v1
	s_addc_u32 s7, s7, 0
	s_add_i32 s8, s8, -1
	v_mad_u64_u32 v[4:5], s[10:11], v6, s13, v[2:3]
	v_mad_u64_u32 v[0:1], s[10:11], v6, s12, v[0:1]
	s_cmp_lg_u32 s8, 0
	v_mov_b32_e32 v1, v4
	s_cbranch_scc1 .LBB13_28
; %bb.29:
	v_mov_b32_e32 v2, v1
	s_cbranch_execnz .LBB13_32
.LBB13_30:
	s_load_dwordx4 s[8:11], s[34:35], 0x4
	s_load_dwordx2 s[2:3], s[34:35], 0xc4
	s_cmp_lt_u32 s33, 2
	s_waitcnt lgkmcnt(0)
	v_mul_hi_u32 v0, s9, v24
	v_add_u32_e32 v0, v24, v0
	v_lshrrev_b32_e32 v1, s10, v0
	v_mul_lo_u32 v0, v1, s8
	v_sub_u32_e32 v0, v24, v0
	v_mul_lo_u32 v2, v0, s3
	v_mul_lo_u32 v0, v0, s2
	s_cbranch_scc1 .LBB13_32
; %bb.31:
	s_load_dwordx4 s[8:11], s[34:35], 0x10
	s_load_dwordx2 s[2:3], s[34:35], 0xcc
	s_waitcnt lgkmcnt(0)
	v_mul_hi_u32 v3, s9, v1
	v_add_u32_e32 v3, v1, v3
	v_lshrrev_b32_e32 v3, s10, v3
	v_mul_lo_u32 v3, v3, s8
	v_sub_u32_e32 v3, v1, v3
	v_mad_u64_u32 v[0:1], s[6:7], v3, s2, v[0:1]
	v_mad_u64_u32 v[2:3], s[2:3], v3, s3, v[2:3]
.LBB13_32:
	s_and_b64 vcc, exec, s[0:1]
	v_add_u32_e32 v1, 0x80, v24
	s_cbranch_vccnz .LBB13_39
; %bb.33:
	s_mov_b32 s2, 0
	s_cmp_lg_u32 s33, 0
	v_mov_b32_e32 v6, 0
	v_mov_b32_e32 v4, 0
	s_cbranch_scc0 .LBB13_38
; %bb.34:
	s_min_u32 s30, s58, 15
	s_add_i32 s30, s30, 1
	s_cmp_eq_u32 s58, 2
	s_cbranch_scc1 .LBB13_40
; %bb.35:
	s_add_u32 s6, s34, 0xc4
	s_addc_u32 s7, s35, 0
	s_and_b32 s2, s30, 28
	s_mov_b32 s3, 0
	v_mov_b32_e32 v4, 0
	s_mov_b64 s[28:29], s[34:35]
	v_mov_b32_e32 v3, v1
	v_mov_b32_e32 v6, 0
.LBB13_36:                              ; =>This Inner Loop Header: Depth=1
	s_load_dwordx8 s[16:23], s[28:29], 0x4
	s_load_dwordx4 s[24:27], s[28:29], 0x24
	s_load_dwordx8 s[8:15], s[6:7], 0x0
	s_add_u32 s28, s28, 48
	s_addc_u32 s29, s29, 0
	s_waitcnt lgkmcnt(0)
	v_mul_hi_u32 v5, s17, v3
	v_add_u32_e32 v5, v3, v5
	v_lshrrev_b32_e32 v5, s18, v5
	v_mul_lo_u32 v7, v5, s16
	v_mul_hi_u32 v8, s20, v5
	v_sub_u32_e32 v3, v3, v7
	v_add_u32_e32 v7, v5, v8
	v_lshrrev_b32_e32 v7, s21, v7
	v_mul_lo_u32 v9, v7, s19
	v_mul_hi_u32 v10, s23, v7
	v_sub_u32_e32 v5, v5, v9
	v_add_u32_e32 v9, v7, v10
	v_mul_lo_u32 v8, v3, s9
	v_mul_lo_u32 v3, v3, s8
	v_mul_lo_u32 v10, v5, s11
	v_mul_lo_u32 v5, v5, s10
	v_lshrrev_b32_e32 v9, s24, v9
	v_add3_u32 v4, v3, v4, v5
	v_add3_u32 v5, v8, v6, v10
	v_mul_lo_u32 v3, v9, s22
	v_mul_hi_u32 v6, s26, v9
	v_sub_u32_e32 v3, v7, v3
	v_add_u32_e32 v6, v9, v6
	v_mul_lo_u32 v7, v3, s12
	v_mul_lo_u32 v8, v3, s13
	v_lshrrev_b32_e32 v3, s27, v6
	s_add_i32 s3, s3, 4
	v_mul_lo_u32 v6, v3, s25
	s_add_u32 s6, s6, 32
	v_sub_u32_e32 v6, v9, v6
	s_addc_u32 s7, s7, 0
	v_mul_lo_u32 v9, v6, s14
	v_mul_lo_u32 v6, v6, s15
	s_cmp_lg_u32 s2, s3
	v_add3_u32 v6, v8, v5, v6
	v_add3_u32 v4, v7, v4, v9
	s_cbranch_scc1 .LBB13_36
; %bb.37:
	v_mov_b32_e32 v5, v6
	s_and_b32 s8, s30, 3
	s_cmp_eq_u32 s8, 0
	s_cbranch_scc0 .LBB13_41
.LBB13_38:
	s_cbranch_execz .LBB13_44
	s_branch .LBB13_46
.LBB13_39:
                                        ; implicit-def: $vgpr6
                                        ; implicit-def: $vgpr4
	s_branch .LBB13_44
.LBB13_40:
	s_mov_b32 s3, s2
	v_pk_mov_b32 v[4:5], s[2:3], s[2:3] op_sel:[0,1]
                                        ; implicit-def: $vgpr6
	v_mov_b32_e32 v3, v1
	s_and_b32 s8, s30, 3
	s_cmp_eq_u32 s8, 0
	s_cbranch_scc1 .LBB13_38
.LBB13_41:
	s_lshl_b32 s3, s2, 3
	s_add_u32 s3, s3, s34
	s_addc_u32 s7, 0, s35
	s_add_u32 s6, s3, 0xc4
	s_addc_u32 s7, s7, 0
	s_mul_i32 s2, s2, 12
	s_add_u32 s2, s34, s2
	s_addc_u32 s3, 0, s35
.LBB13_42:                              ; =>This Inner Loop Header: Depth=1
	s_load_dwordx2 s[10:11], s[2:3], 0x4
	s_load_dword s9, s[2:3], 0xc
	s_load_dwordx2 s[12:13], s[6:7], 0x0
	v_mov_b32_e32 v6, v5
	s_add_u32 s2, s2, 12
	s_waitcnt lgkmcnt(0)
	v_mul_hi_u32 v5, s11, v3
	v_add_u32_e32 v5, v3, v5
	v_lshrrev_b32_e32 v5, s9, v5
	s_addc_u32 s3, s3, 0
	v_mul_lo_u32 v7, v5, s10
	s_add_u32 s6, s6, 8
	v_sub_u32_e32 v8, v3, v7
	s_addc_u32 s7, s7, 0
	s_add_i32 s8, s8, -1
	v_mov_b32_e32 v3, v5
	v_mad_u64_u32 v[6:7], s[10:11], v8, s13, v[6:7]
	v_mad_u64_u32 v[4:5], s[10:11], v8, s12, v[4:5]
	s_cmp_lg_u32 s8, 0
	v_mov_b32_e32 v5, v6
	s_cbranch_scc1 .LBB13_42
; %bb.43:
	v_mov_b32_e32 v6, v5
	s_cbranch_execnz .LBB13_46
.LBB13_44:
	s_load_dwordx4 s[8:11], s[34:35], 0x4
	s_load_dwordx2 s[2:3], s[34:35], 0xc4
	s_cmp_lt_u32 s33, 2
	s_waitcnt lgkmcnt(0)
	v_mul_hi_u32 v3, s9, v1
	v_add_u32_e32 v3, v1, v3
	v_lshrrev_b32_e32 v3, s10, v3
	v_mul_lo_u32 v4, v3, s8
	v_sub_u32_e32 v1, v1, v4
	v_mul_lo_u32 v6, v1, s3
	v_mul_lo_u32 v4, v1, s2
	s_cbranch_scc1 .LBB13_46
; %bb.45:
	s_load_dwordx4 s[8:11], s[34:35], 0x10
	s_load_dwordx2 s[2:3], s[34:35], 0xcc
	s_waitcnt lgkmcnt(0)
	v_mul_hi_u32 v1, s9, v3
	v_add_u32_e32 v1, v3, v1
	v_lshrrev_b32_e32 v1, s10, v1
	v_mul_lo_u32 v1, v1, s8
	v_sub_u32_e32 v1, v3, v1
	v_mad_u64_u32 v[4:5], s[6:7], v1, s2, v[4:5]
	v_mad_u64_u32 v[6:7], s[2:3], v1, s3, v[6:7]
.LBB13_46:
	s_and_b64 vcc, exec, s[0:1]
	v_add_u32_e32 v1, 0x100, v24
	s_cbranch_vccnz .LBB13_53
; %bb.47:
	s_mov_b32 s2, 0
	s_cmp_lg_u32 s33, 0
	v_mov_b32_e32 v10, 0
	v_mov_b32_e32 v8, 0
	s_cbranch_scc0 .LBB13_52
; %bb.48:
	s_min_u32 s30, s58, 15
	s_add_i32 s30, s30, 1
	s_cmp_eq_u32 s58, 2
	s_cbranch_scc1 .LBB13_54
; %bb.49:
	s_add_u32 s6, s34, 0xc4
	s_addc_u32 s7, s35, 0
	s_and_b32 s2, s30, 28
	s_mov_b32 s3, 0
	v_mov_b32_e32 v8, 0
	s_mov_b64 s[28:29], s[34:35]
	v_mov_b32_e32 v3, v1
	v_mov_b32_e32 v10, 0
.LBB13_50:                              ; =>This Inner Loop Header: Depth=1
	s_load_dwordx8 s[16:23], s[28:29], 0x4
	s_load_dwordx4 s[24:27], s[28:29], 0x24
	s_load_dwordx8 s[8:15], s[6:7], 0x0
	s_add_u32 s28, s28, 48
	s_addc_u32 s29, s29, 0
	s_waitcnt lgkmcnt(0)
	v_mul_hi_u32 v5, s17, v3
	v_add_u32_e32 v5, v3, v5
	v_lshrrev_b32_e32 v5, s18, v5
	v_mul_lo_u32 v7, v5, s16
	v_mul_hi_u32 v9, s20, v5
	v_sub_u32_e32 v3, v3, v7
	v_add_u32_e32 v7, v5, v9
	v_lshrrev_b32_e32 v7, s21, v7
	v_mul_lo_u32 v11, v7, s19
	v_mul_hi_u32 v12, s23, v7
	v_sub_u32_e32 v5, v5, v11
	v_add_u32_e32 v11, v7, v12
	v_mul_lo_u32 v9, v3, s9
	v_mul_lo_u32 v3, v3, s8
	;; [unrolled: 1-line block ×4, first 2 shown]
	v_lshrrev_b32_e32 v11, s24, v11
	v_add3_u32 v5, v3, v8, v5
	v_add3_u32 v8, v9, v10, v12
	v_mul_lo_u32 v3, v11, s22
	v_mul_hi_u32 v9, s26, v11
	v_sub_u32_e32 v3, v7, v3
	v_add_u32_e32 v7, v11, v9
	v_mul_lo_u32 v9, v3, s12
	v_mul_lo_u32 v10, v3, s13
	v_lshrrev_b32_e32 v3, s27, v7
	s_add_i32 s3, s3, 4
	v_mul_lo_u32 v7, v3, s25
	s_add_u32 s6, s6, 32
	v_sub_u32_e32 v7, v11, v7
	s_addc_u32 s7, s7, 0
	v_mul_lo_u32 v11, v7, s14
	v_mul_lo_u32 v7, v7, s15
	s_cmp_lg_u32 s2, s3
	v_add3_u32 v10, v10, v8, v7
	v_add3_u32 v8, v9, v5, v11
	s_cbranch_scc1 .LBB13_50
; %bb.51:
	v_mov_b32_e32 v9, v10
	s_and_b32 s8, s30, 3
	s_cmp_eq_u32 s8, 0
	s_cbranch_scc0 .LBB13_55
.LBB13_52:
	s_cbranch_execz .LBB13_58
	s_branch .LBB13_60
.LBB13_53:
                                        ; implicit-def: $vgpr10
                                        ; implicit-def: $vgpr8
	s_branch .LBB13_58
.LBB13_54:
	s_mov_b32 s3, s2
	v_pk_mov_b32 v[8:9], s[2:3], s[2:3] op_sel:[0,1]
                                        ; implicit-def: $vgpr10
	v_mov_b32_e32 v3, v1
	s_and_b32 s8, s30, 3
	s_cmp_eq_u32 s8, 0
	s_cbranch_scc1 .LBB13_52
.LBB13_55:
	s_lshl_b32 s3, s2, 3
	s_add_u32 s3, s3, s34
	s_addc_u32 s7, 0, s35
	s_add_u32 s6, s3, 0xc4
	s_addc_u32 s7, s7, 0
	s_mul_i32 s2, s2, 12
	s_add_u32 s2, s34, s2
	s_addc_u32 s3, 0, s35
.LBB13_56:                              ; =>This Inner Loop Header: Depth=1
	s_load_dwordx2 s[10:11], s[2:3], 0x4
	s_load_dword s9, s[2:3], 0xc
	s_load_dwordx2 s[12:13], s[6:7], 0x0
	s_add_u32 s2, s2, 12
	s_addc_u32 s3, s3, 0
	s_waitcnt lgkmcnt(0)
	v_mul_hi_u32 v5, s11, v3
	v_add_u32_e32 v5, v3, v5
	v_lshrrev_b32_e32 v5, s9, v5
	v_mul_lo_u32 v7, v5, s10
	v_mov_b32_e32 v10, v9
	s_add_u32 s6, s6, 8
	v_sub_u32_e32 v7, v3, v7
	s_addc_u32 s7, s7, 0
	s_add_i32 s8, s8, -1
	v_mad_u64_u32 v[10:11], s[10:11], v7, s13, v[10:11]
	v_mad_u64_u32 v[8:9], s[10:11], v7, s12, v[8:9]
	s_cmp_lg_u32 s8, 0
	v_mov_b32_e32 v3, v5
	v_mov_b32_e32 v9, v10
	s_cbranch_scc1 .LBB13_56
; %bb.57:
	v_mov_b32_e32 v10, v9
	s_cbranch_execnz .LBB13_60
.LBB13_58:
	s_load_dwordx4 s[8:11], s[34:35], 0x4
	s_load_dwordx2 s[2:3], s[34:35], 0xc4
	s_cmp_lt_u32 s33, 2
	s_waitcnt lgkmcnt(0)
	v_mul_hi_u32 v3, s9, v1
	v_add_u32_e32 v3, v1, v3
	v_lshrrev_b32_e32 v3, s10, v3
	v_mul_lo_u32 v5, v3, s8
	v_sub_u32_e32 v1, v1, v5
	v_mul_lo_u32 v10, v1, s3
	v_mul_lo_u32 v8, v1, s2
	s_cbranch_scc1 .LBB13_60
; %bb.59:
	s_load_dwordx4 s[8:11], s[34:35], 0x10
	s_load_dwordx2 s[2:3], s[34:35], 0xcc
	s_waitcnt lgkmcnt(0)
	v_mul_hi_u32 v1, s9, v3
	v_add_u32_e32 v1, v3, v1
	v_lshrrev_b32_e32 v1, s10, v1
	v_mul_lo_u32 v1, v1, s8
	v_sub_u32_e32 v1, v3, v1
	v_mad_u64_u32 v[8:9], s[6:7], v1, s2, v[8:9]
	v_mad_u64_u32 v[10:11], s[2:3], v1, s3, v[10:11]
.LBB13_60:
	s_and_b64 vcc, exec, s[0:1]
	v_add_u32_e32 v1, 0x180, v24
	s_cbranch_vccnz .LBB13_67
; %bb.61:
	s_mov_b32 s2, 0
	s_cmp_lg_u32 s33, 0
	v_mov_b32_e32 v14, 0
	v_mov_b32_e32 v12, 0
	s_cbranch_scc0 .LBB13_66
; %bb.62:
	s_min_u32 s30, s58, 15
	s_add_i32 s30, s30, 1
	s_cmp_eq_u32 s58, 2
	s_cbranch_scc1 .LBB13_68
; %bb.63:
	s_add_u32 s6, s34, 0xc4
	s_addc_u32 s7, s35, 0
	s_and_b32 s2, s30, 28
	s_mov_b32 s3, 0
	v_mov_b32_e32 v12, 0
	s_mov_b64 s[28:29], s[34:35]
	v_mov_b32_e32 v3, v1
	v_mov_b32_e32 v14, 0
.LBB13_64:                              ; =>This Inner Loop Header: Depth=1
	s_load_dwordx8 s[16:23], s[28:29], 0x4
	s_load_dwordx4 s[24:27], s[28:29], 0x24
	s_load_dwordx8 s[8:15], s[6:7], 0x0
	s_add_u32 s28, s28, 48
	s_addc_u32 s29, s29, 0
	s_waitcnt lgkmcnt(0)
	v_mul_hi_u32 v5, s17, v3
	v_add_u32_e32 v5, v3, v5
	v_lshrrev_b32_e32 v5, s18, v5
	v_mul_lo_u32 v7, v5, s16
	v_mul_hi_u32 v9, s20, v5
	v_sub_u32_e32 v3, v3, v7
	v_add_u32_e32 v7, v5, v9
	v_lshrrev_b32_e32 v7, s21, v7
	v_mul_lo_u32 v11, v7, s19
	v_mul_hi_u32 v13, s23, v7
	v_sub_u32_e32 v5, v5, v11
	v_add_u32_e32 v11, v7, v13
	v_mul_lo_u32 v9, v3, s9
	v_mul_lo_u32 v3, v3, s8
	;; [unrolled: 1-line block ×4, first 2 shown]
	v_lshrrev_b32_e32 v11, s24, v11
	v_add3_u32 v5, v3, v12, v5
	v_mul_lo_u32 v3, v11, s22
	v_mul_hi_u32 v12, s26, v11
	v_sub_u32_e32 v3, v7, v3
	v_add_u32_e32 v7, v11, v12
	v_add3_u32 v9, v9, v14, v13
	v_mul_lo_u32 v12, v3, s12
	v_mul_lo_u32 v13, v3, s13
	v_lshrrev_b32_e32 v3, s27, v7
	s_add_i32 s3, s3, 4
	v_mul_lo_u32 v7, v3, s25
	s_add_u32 s6, s6, 32
	v_sub_u32_e32 v7, v11, v7
	s_addc_u32 s7, s7, 0
	v_mul_lo_u32 v11, v7, s14
	v_mul_lo_u32 v7, v7, s15
	s_cmp_lg_u32 s2, s3
	v_add3_u32 v14, v13, v9, v7
	v_add3_u32 v12, v12, v5, v11
	s_cbranch_scc1 .LBB13_64
; %bb.65:
	v_mov_b32_e32 v13, v14
	s_and_b32 s8, s30, 3
	s_cmp_eq_u32 s8, 0
	s_cbranch_scc0 .LBB13_69
.LBB13_66:
	s_cbranch_execz .LBB13_72
	s_branch .LBB13_74
.LBB13_67:
                                        ; implicit-def: $vgpr14
                                        ; implicit-def: $vgpr12
	s_branch .LBB13_72
.LBB13_68:
	s_mov_b32 s3, s2
	v_pk_mov_b32 v[12:13], s[2:3], s[2:3] op_sel:[0,1]
                                        ; implicit-def: $vgpr14
	v_mov_b32_e32 v3, v1
	s_and_b32 s8, s30, 3
	s_cmp_eq_u32 s8, 0
	s_cbranch_scc1 .LBB13_66
.LBB13_69:
	s_lshl_b32 s3, s2, 3
	s_add_u32 s3, s3, s34
	s_addc_u32 s7, 0, s35
	s_add_u32 s6, s3, 0xc4
	s_addc_u32 s7, s7, 0
	s_mul_i32 s2, s2, 12
	s_add_u32 s2, s34, s2
	s_addc_u32 s3, 0, s35
.LBB13_70:                              ; =>This Inner Loop Header: Depth=1
	s_load_dwordx2 s[10:11], s[2:3], 0x4
	s_load_dword s9, s[2:3], 0xc
	s_load_dwordx2 s[12:13], s[6:7], 0x0
	s_add_u32 s2, s2, 12
	s_addc_u32 s3, s3, 0
	s_waitcnt lgkmcnt(0)
	v_mul_hi_u32 v5, s11, v3
	v_add_u32_e32 v5, v3, v5
	v_lshrrev_b32_e32 v5, s9, v5
	v_mul_lo_u32 v7, v5, s10
	v_mov_b32_e32 v14, v13
	s_add_u32 s6, s6, 8
	v_sub_u32_e32 v7, v3, v7
	s_addc_u32 s7, s7, 0
	s_add_i32 s8, s8, -1
	v_mad_u64_u32 v[14:15], s[10:11], v7, s13, v[14:15]
	v_mad_u64_u32 v[12:13], s[10:11], v7, s12, v[12:13]
	s_cmp_lg_u32 s8, 0
	v_mov_b32_e32 v3, v5
	v_mov_b32_e32 v13, v14
	s_cbranch_scc1 .LBB13_70
; %bb.71:
	v_mov_b32_e32 v14, v13
	s_cbranch_execnz .LBB13_74
.LBB13_72:
	s_load_dwordx4 s[8:11], s[34:35], 0x4
	s_load_dwordx2 s[2:3], s[34:35], 0xc4
	s_cmp_lt_u32 s33, 2
	s_waitcnt lgkmcnt(0)
	v_mul_hi_u32 v3, s9, v1
	v_add_u32_e32 v3, v1, v3
	v_lshrrev_b32_e32 v3, s10, v3
	v_mul_lo_u32 v5, v3, s8
	v_sub_u32_e32 v1, v1, v5
	v_mul_lo_u32 v14, v1, s3
	v_mul_lo_u32 v12, v1, s2
	s_cbranch_scc1 .LBB13_74
; %bb.73:
	s_load_dwordx4 s[8:11], s[34:35], 0x10
	s_load_dwordx2 s[2:3], s[34:35], 0xcc
	s_waitcnt lgkmcnt(0)
	v_mul_hi_u32 v1, s9, v3
	v_add_u32_e32 v1, v3, v1
	v_lshrrev_b32_e32 v1, s10, v1
	v_mul_lo_u32 v1, v1, s8
	v_sub_u32_e32 v1, v3, v1
	v_mad_u64_u32 v[12:13], s[6:7], v1, s2, v[12:13]
	v_mad_u64_u32 v[14:15], s[2:3], v1, s3, v[14:15]
.LBB13_74:
	s_and_b64 vcc, exec, s[0:1]
	v_add_u32_e32 v1, 0x200, v24
	s_cbranch_vccnz .LBB13_81
; %bb.75:
	s_mov_b32 s2, 0
	s_cmp_lg_u32 s33, 0
	v_mov_b32_e32 v18, 0
	v_mov_b32_e32 v16, 0
	s_cbranch_scc0 .LBB13_80
; %bb.76:
	s_min_u32 s30, s58, 15
	s_add_i32 s30, s30, 1
	s_cmp_eq_u32 s58, 2
	s_cbranch_scc1 .LBB13_82
; %bb.77:
	s_add_u32 s6, s34, 0xc4
	s_addc_u32 s7, s35, 0
	s_and_b32 s2, s30, 28
	s_mov_b32 s3, 0
	v_mov_b32_e32 v16, 0
	s_mov_b64 s[28:29], s[34:35]
	v_mov_b32_e32 v3, v1
	v_mov_b32_e32 v18, 0
.LBB13_78:                              ; =>This Inner Loop Header: Depth=1
	s_load_dwordx8 s[16:23], s[28:29], 0x4
	s_load_dwordx4 s[24:27], s[28:29], 0x24
	s_load_dwordx8 s[8:15], s[6:7], 0x0
	s_add_u32 s28, s28, 48
	s_addc_u32 s29, s29, 0
	s_waitcnt lgkmcnt(0)
	v_mul_hi_u32 v5, s17, v3
	v_add_u32_e32 v5, v3, v5
	v_lshrrev_b32_e32 v5, s18, v5
	v_mul_lo_u32 v7, v5, s16
	v_mul_hi_u32 v9, s20, v5
	v_sub_u32_e32 v3, v3, v7
	v_add_u32_e32 v7, v5, v9
	v_lshrrev_b32_e32 v7, s21, v7
	v_mul_lo_u32 v11, v7, s19
	v_mul_hi_u32 v13, s23, v7
	v_sub_u32_e32 v5, v5, v11
	v_add_u32_e32 v11, v7, v13
	v_mul_lo_u32 v9, v3, s9
	v_mul_lo_u32 v3, v3, s8
	;; [unrolled: 1-line block ×4, first 2 shown]
	v_lshrrev_b32_e32 v11, s24, v11
	v_add3_u32 v5, v3, v16, v5
	v_add3_u32 v9, v9, v18, v13
	v_mul_lo_u32 v3, v11, s22
	v_mul_hi_u32 v13, s26, v11
	v_sub_u32_e32 v3, v7, v3
	v_add_u32_e32 v7, v11, v13
	v_mul_lo_u32 v13, v3, s12
	v_mul_lo_u32 v15, v3, s13
	v_lshrrev_b32_e32 v3, s27, v7
	s_add_i32 s3, s3, 4
	v_mul_lo_u32 v7, v3, s25
	s_add_u32 s6, s6, 32
	v_sub_u32_e32 v7, v11, v7
	s_addc_u32 s7, s7, 0
	v_mul_lo_u32 v11, v7, s14
	v_mul_lo_u32 v7, v7, s15
	s_cmp_lg_u32 s2, s3
	v_add3_u32 v18, v15, v9, v7
	v_add3_u32 v16, v13, v5, v11
	s_cbranch_scc1 .LBB13_78
; %bb.79:
	v_mov_b32_e32 v17, v18
	s_and_b32 s8, s30, 3
	s_cmp_eq_u32 s8, 0
	s_cbranch_scc0 .LBB13_83
.LBB13_80:
	s_cbranch_execz .LBB13_86
	s_branch .LBB13_88
.LBB13_81:
                                        ; implicit-def: $vgpr18
                                        ; implicit-def: $vgpr16
	s_branch .LBB13_86
.LBB13_82:
	s_mov_b32 s3, s2
	v_pk_mov_b32 v[16:17], s[2:3], s[2:3] op_sel:[0,1]
                                        ; implicit-def: $vgpr18
	v_mov_b32_e32 v3, v1
	s_and_b32 s8, s30, 3
	s_cmp_eq_u32 s8, 0
	s_cbranch_scc1 .LBB13_80
.LBB13_83:
	s_lshl_b32 s3, s2, 3
	s_add_u32 s3, s3, s34
	s_addc_u32 s7, 0, s35
	s_add_u32 s6, s3, 0xc4
	s_addc_u32 s7, s7, 0
	s_mul_i32 s2, s2, 12
	s_add_u32 s2, s34, s2
	s_addc_u32 s3, 0, s35
.LBB13_84:                              ; =>This Inner Loop Header: Depth=1
	s_load_dwordx2 s[10:11], s[2:3], 0x4
	s_load_dword s9, s[2:3], 0xc
	s_load_dwordx2 s[12:13], s[6:7], 0x0
	s_add_u32 s2, s2, 12
	s_addc_u32 s3, s3, 0
	s_waitcnt lgkmcnt(0)
	v_mul_hi_u32 v5, s11, v3
	v_add_u32_e32 v5, v3, v5
	v_lshrrev_b32_e32 v5, s9, v5
	v_mul_lo_u32 v7, v5, s10
	v_mov_b32_e32 v18, v17
	s_add_u32 s6, s6, 8
	v_sub_u32_e32 v7, v3, v7
	s_addc_u32 s7, s7, 0
	s_add_i32 s8, s8, -1
	v_mad_u64_u32 v[18:19], s[10:11], v7, s13, v[18:19]
	v_mad_u64_u32 v[16:17], s[10:11], v7, s12, v[16:17]
	s_cmp_lg_u32 s8, 0
	v_mov_b32_e32 v3, v5
	v_mov_b32_e32 v17, v18
	s_cbranch_scc1 .LBB13_84
; %bb.85:
	v_mov_b32_e32 v18, v17
	s_cbranch_execnz .LBB13_88
.LBB13_86:
	s_load_dwordx4 s[8:11], s[34:35], 0x4
	s_load_dwordx2 s[2:3], s[34:35], 0xc4
	s_cmp_lt_u32 s33, 2
	s_waitcnt lgkmcnt(0)
	v_mul_hi_u32 v3, s9, v1
	v_add_u32_e32 v3, v1, v3
	v_lshrrev_b32_e32 v3, s10, v3
	v_mul_lo_u32 v5, v3, s8
	v_sub_u32_e32 v1, v1, v5
	v_mul_lo_u32 v18, v1, s3
	v_mul_lo_u32 v16, v1, s2
	s_cbranch_scc1 .LBB13_88
; %bb.87:
	s_load_dwordx4 s[8:11], s[34:35], 0x10
	s_load_dwordx2 s[2:3], s[34:35], 0xcc
	s_waitcnt lgkmcnt(0)
	v_mul_hi_u32 v1, s9, v3
	v_add_u32_e32 v1, v3, v1
	v_lshrrev_b32_e32 v1, s10, v1
	v_mul_lo_u32 v1, v1, s8
	v_sub_u32_e32 v1, v3, v1
	v_mad_u64_u32 v[16:17], s[6:7], v1, s2, v[16:17]
	v_mad_u64_u32 v[18:19], s[2:3], v1, s3, v[18:19]
.LBB13_88:
	s_and_b64 vcc, exec, s[0:1]
	v_add_u32_e32 v1, 0x280, v24
	s_cbranch_vccnz .LBB13_95
; %bb.89:
	s_mov_b32 s2, 0
	s_cmp_lg_u32 s33, 0
	v_mov_b32_e32 v22, 0
	v_mov_b32_e32 v20, 0
	s_cbranch_scc0 .LBB13_94
; %bb.90:
	s_min_u32 s30, s58, 15
	s_add_i32 s30, s30, 1
	s_cmp_eq_u32 s58, 2
	s_cbranch_scc1 .LBB13_96
; %bb.91:
	s_add_u32 s6, s34, 0xc4
	s_addc_u32 s7, s35, 0
	s_and_b32 s2, s30, 28
	s_mov_b32 s3, 0
	v_mov_b32_e32 v20, 0
	s_mov_b64 s[28:29], s[34:35]
	v_mov_b32_e32 v3, v1
	v_mov_b32_e32 v22, 0
.LBB13_92:                              ; =>This Inner Loop Header: Depth=1
	s_load_dwordx8 s[16:23], s[28:29], 0x4
	s_load_dwordx4 s[24:27], s[28:29], 0x24
	s_load_dwordx8 s[8:15], s[6:7], 0x0
	s_add_u32 s28, s28, 48
	s_addc_u32 s29, s29, 0
	s_waitcnt lgkmcnt(0)
	v_mul_hi_u32 v5, s17, v3
	v_add_u32_e32 v5, v3, v5
	v_lshrrev_b32_e32 v5, s18, v5
	v_mul_lo_u32 v7, v5, s16
	v_mul_hi_u32 v9, s20, v5
	v_sub_u32_e32 v3, v3, v7
	v_add_u32_e32 v7, v5, v9
	v_lshrrev_b32_e32 v7, s21, v7
	v_mul_lo_u32 v11, v7, s19
	v_mul_hi_u32 v13, s23, v7
	v_sub_u32_e32 v5, v5, v11
	v_add_u32_e32 v11, v7, v13
	v_mul_lo_u32 v9, v3, s9
	v_mul_lo_u32 v3, v3, s8
	;; [unrolled: 1-line block ×4, first 2 shown]
	v_lshrrev_b32_e32 v11, s24, v11
	v_add3_u32 v5, v3, v20, v5
	v_add3_u32 v9, v9, v22, v13
	v_mul_lo_u32 v3, v11, s22
	v_mul_hi_u32 v13, s26, v11
	v_sub_u32_e32 v3, v7, v3
	v_add_u32_e32 v7, v11, v13
	v_mul_lo_u32 v13, v3, s12
	v_mul_lo_u32 v15, v3, s13
	v_lshrrev_b32_e32 v3, s27, v7
	s_add_i32 s3, s3, 4
	v_mul_lo_u32 v7, v3, s25
	s_add_u32 s6, s6, 32
	v_sub_u32_e32 v7, v11, v7
	s_addc_u32 s7, s7, 0
	v_mul_lo_u32 v11, v7, s14
	v_mul_lo_u32 v7, v7, s15
	s_cmp_lg_u32 s2, s3
	v_add3_u32 v22, v15, v9, v7
	v_add3_u32 v20, v13, v5, v11
	s_cbranch_scc1 .LBB13_92
; %bb.93:
	v_mov_b32_e32 v21, v22
	s_and_b32 s8, s30, 3
	s_cmp_eq_u32 s8, 0
	s_cbranch_scc0 .LBB13_97
.LBB13_94:
	s_cbranch_execz .LBB13_100
	s_branch .LBB13_102
.LBB13_95:
                                        ; implicit-def: $vgpr22
                                        ; implicit-def: $vgpr20
	s_branch .LBB13_100
.LBB13_96:
	s_mov_b32 s3, s2
	v_pk_mov_b32 v[20:21], s[2:3], s[2:3] op_sel:[0,1]
                                        ; implicit-def: $vgpr22
	v_mov_b32_e32 v3, v1
	s_and_b32 s8, s30, 3
	s_cmp_eq_u32 s8, 0
	s_cbranch_scc1 .LBB13_94
.LBB13_97:
	s_lshl_b32 s3, s2, 3
	s_add_u32 s3, s3, s34
	s_addc_u32 s7, 0, s35
	s_add_u32 s6, s3, 0xc4
	s_addc_u32 s7, s7, 0
	s_mul_i32 s2, s2, 12
	s_add_u32 s2, s34, s2
	s_addc_u32 s3, 0, s35
.LBB13_98:                              ; =>This Inner Loop Header: Depth=1
	s_load_dwordx2 s[10:11], s[2:3], 0x4
	s_load_dword s9, s[2:3], 0xc
	s_load_dwordx2 s[12:13], s[6:7], 0x0
	s_add_u32 s2, s2, 12
	s_addc_u32 s3, s3, 0
	s_waitcnt lgkmcnt(0)
	v_mul_hi_u32 v5, s11, v3
	v_add_u32_e32 v5, v3, v5
	v_lshrrev_b32_e32 v5, s9, v5
	v_mul_lo_u32 v7, v5, s10
	v_mov_b32_e32 v22, v21
	s_add_u32 s6, s6, 8
	v_sub_u32_e32 v7, v3, v7
	s_addc_u32 s7, s7, 0
	s_add_i32 s8, s8, -1
	v_mad_u64_u32 v[22:23], s[10:11], v7, s13, v[22:23]
	v_mad_u64_u32 v[20:21], s[10:11], v7, s12, v[20:21]
	s_cmp_lg_u32 s8, 0
	v_mov_b32_e32 v3, v5
	v_mov_b32_e32 v21, v22
	s_cbranch_scc1 .LBB13_98
; %bb.99:
	v_mov_b32_e32 v22, v21
	s_cbranch_execnz .LBB13_102
.LBB13_100:
	s_load_dwordx4 s[8:11], s[34:35], 0x4
	s_load_dwordx2 s[2:3], s[34:35], 0xc4
	s_cmp_lt_u32 s33, 2
	s_waitcnt lgkmcnt(0)
	v_mul_hi_u32 v3, s9, v1
	v_add_u32_e32 v3, v1, v3
	v_lshrrev_b32_e32 v3, s10, v3
	v_mul_lo_u32 v5, v3, s8
	v_sub_u32_e32 v1, v1, v5
	v_mul_lo_u32 v22, v1, s3
	v_mul_lo_u32 v20, v1, s2
	s_cbranch_scc1 .LBB13_102
; %bb.101:
	s_load_dwordx4 s[8:11], s[34:35], 0x10
	s_load_dwordx2 s[2:3], s[34:35], 0xcc
	s_waitcnt lgkmcnt(0)
	v_mul_hi_u32 v1, s9, v3
	v_add_u32_e32 v1, v3, v1
	v_lshrrev_b32_e32 v1, s10, v1
	v_mul_lo_u32 v1, v1, s8
	v_sub_u32_e32 v1, v3, v1
	v_mad_u64_u32 v[20:21], s[6:7], v1, s2, v[20:21]
	v_mad_u64_u32 v[22:23], s[2:3], v1, s3, v[22:23]
.LBB13_102:
	s_and_b64 vcc, exec, s[0:1]
	v_add_u32_e32 v1, 0x300, v24
	s_cbranch_vccnz .LBB13_109
; %bb.103:
	s_mov_b32 s2, 0
	s_cmp_lg_u32 s33, 0
	v_mov_b32_e32 v26, 0
	v_mov_b32_e32 v24, 0
	s_cbranch_scc0 .LBB13_108
; %bb.104:
	s_min_u32 s30, s58, 15
	s_add_i32 s30, s30, 1
	s_cmp_eq_u32 s58, 2
	s_cbranch_scc1 .LBB13_110
; %bb.105:
	s_add_u32 s6, s34, 0xc4
	s_addc_u32 s7, s35, 0
	s_and_b32 s2, s30, 28
	s_mov_b32 s3, 0
	v_mov_b32_e32 v24, 0
	s_mov_b64 s[28:29], s[34:35]
	v_mov_b32_e32 v3, v1
	v_mov_b32_e32 v26, 0
.LBB13_106:                             ; =>This Inner Loop Header: Depth=1
	s_load_dwordx8 s[16:23], s[28:29], 0x4
	s_load_dwordx4 s[24:27], s[28:29], 0x24
	s_load_dwordx8 s[8:15], s[6:7], 0x0
	s_add_u32 s28, s28, 48
	s_addc_u32 s29, s29, 0
	s_waitcnt lgkmcnt(0)
	v_mul_hi_u32 v5, s17, v3
	v_add_u32_e32 v5, v3, v5
	v_lshrrev_b32_e32 v5, s18, v5
	v_mul_lo_u32 v7, v5, s16
	v_mul_hi_u32 v9, s20, v5
	v_sub_u32_e32 v3, v3, v7
	v_add_u32_e32 v7, v5, v9
	v_lshrrev_b32_e32 v7, s21, v7
	v_mul_lo_u32 v11, v7, s19
	v_mul_hi_u32 v13, s23, v7
	v_sub_u32_e32 v5, v5, v11
	v_add_u32_e32 v11, v7, v13
	v_mul_lo_u32 v9, v3, s9
	v_mul_lo_u32 v3, v3, s8
	;; [unrolled: 1-line block ×4, first 2 shown]
	v_lshrrev_b32_e32 v11, s24, v11
	v_add3_u32 v5, v3, v24, v5
	v_add3_u32 v9, v9, v26, v13
	v_mul_lo_u32 v3, v11, s22
	v_mul_hi_u32 v13, s26, v11
	v_sub_u32_e32 v3, v7, v3
	v_add_u32_e32 v7, v11, v13
	v_mul_lo_u32 v13, v3, s12
	v_mul_lo_u32 v15, v3, s13
	v_lshrrev_b32_e32 v3, s27, v7
	s_add_i32 s3, s3, 4
	v_mul_lo_u32 v7, v3, s25
	s_add_u32 s6, s6, 32
	v_sub_u32_e32 v7, v11, v7
	s_addc_u32 s7, s7, 0
	v_mul_lo_u32 v11, v7, s14
	v_mul_lo_u32 v7, v7, s15
	s_cmp_lg_u32 s2, s3
	v_add3_u32 v26, v15, v9, v7
	v_add3_u32 v24, v13, v5, v11
	s_cbranch_scc1 .LBB13_106
; %bb.107:
	v_mov_b32_e32 v25, v26
	s_and_b32 s8, s30, 3
	s_cmp_eq_u32 s8, 0
	s_cbranch_scc0 .LBB13_111
.LBB13_108:
	s_cbranch_execz .LBB13_114
	s_branch .LBB13_116
.LBB13_109:
                                        ; implicit-def: $vgpr26
                                        ; implicit-def: $vgpr24
	s_branch .LBB13_114
.LBB13_110:
	s_mov_b32 s3, s2
	v_pk_mov_b32 v[24:25], s[2:3], s[2:3] op_sel:[0,1]
                                        ; implicit-def: $vgpr26
	v_mov_b32_e32 v3, v1
	s_and_b32 s8, s30, 3
	s_cmp_eq_u32 s8, 0
	s_cbranch_scc1 .LBB13_108
.LBB13_111:
	s_lshl_b32 s3, s2, 3
	s_add_u32 s3, s3, s34
	s_addc_u32 s7, 0, s35
	s_add_u32 s6, s3, 0xc4
	s_addc_u32 s7, s7, 0
	s_mul_i32 s2, s2, 12
	s_add_u32 s2, s34, s2
	s_addc_u32 s3, 0, s35
.LBB13_112:                             ; =>This Inner Loop Header: Depth=1
	s_load_dwordx2 s[10:11], s[2:3], 0x4
	s_load_dword s9, s[2:3], 0xc
	s_load_dwordx2 s[12:13], s[6:7], 0x0
	s_add_u32 s2, s2, 12
	s_addc_u32 s3, s3, 0
	s_waitcnt lgkmcnt(0)
	v_mul_hi_u32 v5, s11, v3
	v_add_u32_e32 v5, v3, v5
	v_lshrrev_b32_e32 v5, s9, v5
	v_mul_lo_u32 v7, v5, s10
	v_mov_b32_e32 v26, v25
	s_add_u32 s6, s6, 8
	v_sub_u32_e32 v7, v3, v7
	s_addc_u32 s7, s7, 0
	s_add_i32 s8, s8, -1
	v_mad_u64_u32 v[26:27], s[10:11], v7, s13, v[26:27]
	v_mad_u64_u32 v[24:25], s[10:11], v7, s12, v[24:25]
	s_cmp_lg_u32 s8, 0
	v_mov_b32_e32 v3, v5
	v_mov_b32_e32 v25, v26
	s_cbranch_scc1 .LBB13_112
; %bb.113:
	v_mov_b32_e32 v26, v25
	s_cbranch_execnz .LBB13_116
.LBB13_114:
	s_load_dwordx4 s[8:11], s[34:35], 0x4
	s_load_dwordx2 s[2:3], s[34:35], 0xc4
	s_cmp_lt_u32 s33, 2
	s_waitcnt lgkmcnt(0)
	v_mul_hi_u32 v3, s9, v1
	v_add_u32_e32 v3, v1, v3
	v_lshrrev_b32_e32 v3, s10, v3
	v_mul_lo_u32 v5, v3, s8
	v_sub_u32_e32 v1, v1, v5
	v_mul_lo_u32 v26, v1, s3
	v_mul_lo_u32 v24, v1, s2
	s_cbranch_scc1 .LBB13_116
; %bb.115:
	s_load_dwordx4 s[8:11], s[34:35], 0x10
	s_load_dwordx2 s[2:3], s[34:35], 0xcc
	s_waitcnt lgkmcnt(0)
	v_mul_hi_u32 v1, s9, v3
	v_add_u32_e32 v1, v3, v1
	v_lshrrev_b32_e32 v1, s10, v1
	v_mul_lo_u32 v1, v1, s8
	v_sub_u32_e32 v1, v3, v1
	v_mad_u64_u32 v[24:25], s[6:7], v1, s2, v[24:25]
	v_mad_u64_u32 v[26:27], s[2:3], v1, s3, v[26:27]
.LBB13_116:
	s_and_b64 vcc, exec, s[0:1]
	s_cbranch_vccnz .LBB13_123
; %bb.117:
	s_mov_b32 s6, 0
	s_cmp_lg_u32 s33, 0
	v_mov_b32_e32 v30, 0
	v_mov_b32_e32 v28, 0
	s_cbranch_scc0 .LBB13_122
; %bb.118:
	s_min_u32 s28, s58, 15
	s_add_i32 s28, s28, 1
	s_cmp_eq_u32 s58, 2
	s_cbranch_scc1 .LBB13_124
; %bb.119:
	s_add_u32 s24, s34, 0xc4
	s_addc_u32 s25, s35, 0
	s_and_b32 s6, s28, 28
	s_mov_b32 s7, 0
	v_mov_b32_e32 v28, 0
	s_mov_b64 s[26:27], s[34:35]
	v_mov_b32_e32 v1, v31
	v_mov_b32_e32 v30, 0
.LBB13_120:                             ; =>This Inner Loop Header: Depth=1
	s_load_dwordx8 s[16:23], s[26:27], 0x4
	s_load_dwordx4 s[0:3], s[26:27], 0x24
	s_load_dwordx8 s[8:15], s[24:25], 0x0
	s_add_u32 s26, s26, 48
	s_addc_u32 s27, s27, 0
	s_waitcnt lgkmcnt(0)
	v_mul_hi_u32 v3, s17, v1
	v_add_u32_e32 v3, v1, v3
	v_lshrrev_b32_e32 v3, s18, v3
	v_mul_lo_u32 v5, v3, s16
	v_mul_hi_u32 v7, s20, v3
	v_sub_u32_e32 v1, v1, v5
	v_add_u32_e32 v5, v3, v7
	v_lshrrev_b32_e32 v5, s21, v5
	v_mul_lo_u32 v9, v5, s19
	v_mul_hi_u32 v11, s23, v5
	v_sub_u32_e32 v3, v3, v9
	v_add_u32_e32 v9, v5, v11
	v_mul_lo_u32 v7, v1, s9
	v_mul_lo_u32 v1, v1, s8
	;; [unrolled: 1-line block ×4, first 2 shown]
	v_lshrrev_b32_e32 v9, s0, v9
	v_add3_u32 v3, v1, v28, v3
	v_add3_u32 v7, v7, v30, v11
	v_mul_lo_u32 v1, v9, s22
	v_mul_hi_u32 v11, s2, v9
	v_sub_u32_e32 v1, v5, v1
	v_add_u32_e32 v5, v9, v11
	v_mul_lo_u32 v11, v1, s12
	v_mul_lo_u32 v13, v1, s13
	v_lshrrev_b32_e32 v1, s3, v5
	s_add_i32 s7, s7, 4
	v_mul_lo_u32 v5, v1, s1
	s_add_u32 s24, s24, 32
	v_sub_u32_e32 v5, v9, v5
	s_addc_u32 s25, s25, 0
	v_mul_lo_u32 v9, v5, s14
	v_mul_lo_u32 v5, v5, s15
	s_cmp_lg_u32 s6, s7
	v_add3_u32 v30, v13, v7, v5
	v_add3_u32 v28, v11, v3, v9
	s_cbranch_scc1 .LBB13_120
; %bb.121:
	v_mov_b32_e32 v29, v30
	s_and_b32 s7, s28, 3
	s_cmp_eq_u32 s7, 0
	s_cbranch_scc0 .LBB13_125
.LBB13_122:
	s_cbranch_execz .LBB13_128
	s_branch .LBB13_130
.LBB13_123:
                                        ; implicit-def: $vgpr30
                                        ; implicit-def: $vgpr28
	s_branch .LBB13_128
.LBB13_124:
	s_mov_b32 s7, s6
	v_pk_mov_b32 v[28:29], s[6:7], s[6:7] op_sel:[0,1]
                                        ; implicit-def: $vgpr30
	v_mov_b32_e32 v1, v31
	s_and_b32 s7, s28, 3
	s_cmp_eq_u32 s7, 0
	s_cbranch_scc1 .LBB13_122
.LBB13_125:
	s_lshl_b32 s0, s6, 3
	s_add_u32 s0, s0, s34
	s_addc_u32 s1, 0, s35
	s_add_u32 s0, s0, 0xc4
	s_addc_u32 s1, s1, 0
	s_mul_i32 s2, s6, 12
	s_add_u32 s2, s34, s2
	s_addc_u32 s3, 0, s35
.LBB13_126:                             ; =>This Inner Loop Header: Depth=1
	s_load_dwordx2 s[8:9], s[2:3], 0x4
	s_load_dword s6, s[2:3], 0xc
	s_load_dwordx2 s[10:11], s[0:1], 0x0
	s_add_u32 s2, s2, 12
	s_addc_u32 s3, s3, 0
	s_waitcnt lgkmcnt(0)
	v_mul_hi_u32 v3, s9, v1
	v_add_u32_e32 v3, v1, v3
	v_lshrrev_b32_e32 v3, s6, v3
	v_mul_lo_u32 v5, v3, s8
	v_mov_b32_e32 v30, v29
	s_add_u32 s0, s0, 8
	v_sub_u32_e32 v5, v1, v5
	s_addc_u32 s1, s1, 0
	s_add_i32 s7, s7, -1
	v_mad_u64_u32 v[32:33], s[8:9], v5, s11, v[30:31]
	v_mad_u64_u32 v[28:29], s[8:9], v5, s10, v[28:29]
	s_cmp_lg_u32 s7, 0
	v_mov_b32_e32 v1, v3
	v_mov_b32_e32 v29, v32
	s_cbranch_scc1 .LBB13_126
; %bb.127:
	v_mov_b32_e32 v30, v29
	s_cbranch_execnz .LBB13_130
.LBB13_128:
	s_load_dwordx4 s[0:3], s[34:35], 0x4
	s_load_dwordx2 s[6:7], s[34:35], 0xc4
	s_cmp_lt_u32 s33, 2
	s_waitcnt lgkmcnt(0)
	v_mul_hi_u32 v1, s1, v31
	v_add_u32_e32 v1, v31, v1
	v_lshrrev_b32_e32 v1, s2, v1
	v_mul_lo_u32 v3, v1, s0
	v_sub_u32_e32 v3, v31, v3
	v_mul_lo_u32 v30, v3, s7
	v_mul_lo_u32 v28, v3, s6
	s_cbranch_scc1 .LBB13_130
; %bb.129:
	s_load_dwordx4 s[0:3], s[34:35], 0x10
	s_load_dwordx2 s[6:7], s[34:35], 0xcc
	s_waitcnt lgkmcnt(0)
	v_mul_hi_u32 v3, s1, v1
	v_add_u32_e32 v3, v1, v3
	v_lshrrev_b32_e32 v3, s2, v3
	v_mul_lo_u32 v3, v3, s0
	v_sub_u32_e32 v1, v1, v3
	v_mad_u64_u32 v[28:29], s[0:1], v1, s6, v[28:29]
	v_mad_u64_u32 v[30:31], s[0:1], v1, s7, v[30:31]
.LBB13_130:
	s_load_dwordx4 s[0:3], s[34:35], 0x148
	s_load_dword s6, s[4:5], 0x160
	s_waitcnt lgkmcnt(0)
	global_load_ushort v1, v2, s[2:3]
	global_load_ushort v3, v6, s[2:3]
	;; [unrolled: 1-line block ×8, first 2 shown]
	v_mov_b32_e32 v2, 0xffff8000
	s_lshr_b32 s2, s6, 16
	v_and_b32_e32 v2, s2, v2
	s_waitcnt vmcnt(7)
	v_and_b32_e32 v1, 0x7fff, v1
	s_waitcnt vmcnt(6)
	;; [unrolled: 2-line block ×8, first 2 shown]
	v_and_b32_e32 v11, 0x7fff, v15
	v_or_b32_e32 v1, v1, v2
	v_or_b32_e32 v3, v3, v2
	;; [unrolled: 1-line block ×8, first 2 shown]
	global_store_short v0, v1, s[0:1]
	global_store_short v4, v3, s[0:1]
	;; [unrolled: 1-line block ×8, first 2 shown]
	s_endpgm
.LBB13_131:
	s_mov_b32 s53, s52
	v_pk_mov_b32 v[0:1], s[52:53], s[52:53] op_sel:[0,1]
                                        ; implicit-def: $vgpr2
	v_mov_b32_e32 v3, v24
.LBB13_132:
	s_and_b32 s12, s61, 3
	s_cmp_eq_u32 s12, 0
	s_cbranch_scc1 .LBB13_136
; %bb.133:
	s_lshl_b32 s8, s52, 3
	s_add_u32 s8, s8, s34
	s_addc_u32 s9, s35, 0
	s_add_u32 s8, s8, 0xc4
	s_addc_u32 s9, s9, 0
	s_mul_i32 s10, s52, 12
	s_add_u32 s10, s34, s10
	s_addc_u32 s11, s35, 0
.LBB13_134:                             ; =>This Inner Loop Header: Depth=1
	s_load_dwordx2 s[14:15], s[10:11], 0x4
	s_load_dword s13, s[10:11], 0xc
	s_load_dwordx2 s[16:17], s[8:9], 0x0
	v_mov_b32_e32 v2, v1
	s_add_u32 s10, s10, 12
	s_waitcnt lgkmcnt(0)
	v_mul_hi_u32 v1, s15, v3
	v_add_u32_e32 v1, v3, v1
	v_lshrrev_b32_e32 v1, s13, v1
	s_addc_u32 s11, s11, 0
	v_mul_lo_u32 v5, v1, s14
	s_add_u32 s8, s8, 8
	v_sub_u32_e32 v5, v3, v5
	v_mov_b32_e32 v3, v1
	s_addc_u32 s9, s9, 0
	s_add_i32 s12, s12, -1
	v_mad_u64_u32 v[6:7], s[14:15], v5, s17, v[2:3]
	v_mad_u64_u32 v[0:1], s[14:15], v5, s16, v[0:1]
	s_cmp_lg_u32 s12, 0
	v_mov_b32_e32 v1, v6
	s_cbranch_scc1 .LBB13_134
; %bb.135:
	v_mov_b32_e32 v2, v1
.LBB13_136:
	s_cbranch_execnz .LBB13_139
.LBB13_137:
	v_mul_hi_u32 v0, s25, v24
	v_add_u32_e32 v0, v24, v0
	v_lshrrev_b32_e32 v1, s26, v0
	v_mul_lo_u32 v0, v1, s24
	v_sub_u32_e32 v0, v24, v0
	v_mul_lo_u32 v2, v0, s29
	s_andn2_b64 vcc, exec, s[44:45]
	v_mul_lo_u32 v0, v0, s28
	s_cbranch_vccnz .LBB13_139
; %bb.138:
	v_mul_hi_u32 v3, s42, v1
	v_add_u32_e32 v3, v1, v3
	v_lshrrev_b32_e32 v3, s43, v3
	v_mul_lo_u32 v3, v3, s27
	v_sub_u32_e32 v3, v1, v3
	v_mad_u64_u32 v[0:1], s[8:9], v3, s30, v[0:1]
	v_mad_u64_u32 v[2:3], s[8:9], v3, s31, v[2:3]
.LBB13_139:
	global_load_ushort v1, v2, s[2:3]
	v_add_u32_e32 v24, 0x80, v24
	s_waitcnt vmcnt(0)
	v_and_b32_e32 v1, 0x7fff, v1
	v_or_b32_e32 v1, v1, v4
	global_store_short v0, v1, s[0:1]
	s_or_b64 exec, exec, s[50:51]
	v_cmp_gt_i32_e32 vcc, s59, v24
	s_and_saveexec_b64 s[50:51], vcc
	s_cbranch_execnz .LBB13_17
.LBB13_140:
	s_or_b64 exec, exec, s[50:51]
	v_cmp_gt_i32_e32 vcc, s59, v24
	s_and_saveexec_b64 s[50:51], vcc
	s_cbranch_execz .LBB13_157
.LBB13_141:
	s_andn2_b64 vcc, exec, s[6:7]
	s_cbranch_vccnz .LBB13_147
; %bb.142:
	s_mov_b32 s52, 0
	s_andn2_b64 vcc, exec, s[48:49]
	v_mov_b32_e32 v2, 0
	v_mov_b32_e32 v0, 0
	s_cbranch_vccnz .LBB13_170
; %bb.143:
	s_add_i32 s61, s60, 1
	s_cmp_eq_u32 s58, 2
	s_cbranch_scc1 .LBB13_165
; %bb.144:
	s_and_b32 s52, s61, 28
	s_mov_b32 s53, 0
	v_mov_b32_e32 v0, 0
	s_mov_b64 s[54:55], s[34:35]
	s_mov_b64 s[56:57], s[46:47]
	v_mov_b32_e32 v3, v24
	v_mov_b32_e32 v2, 0
.LBB13_145:                             ; =>This Inner Loop Header: Depth=1
	s_load_dwordx8 s[16:23], s[54:55], 0x4
	s_load_dwordx4 s[36:39], s[54:55], 0x24
	s_load_dwordx8 s[8:15], s[56:57], 0x0
	s_add_u32 s54, s54, 48
	s_addc_u32 s55, s55, 0
	s_waitcnt lgkmcnt(0)
	v_mul_hi_u32 v1, s17, v3
	v_add_u32_e32 v1, v3, v1
	v_lshrrev_b32_e32 v1, s18, v1
	v_mul_lo_u32 v5, v1, s16
	v_mul_hi_u32 v6, s20, v1
	v_sub_u32_e32 v3, v3, v5
	v_add_u32_e32 v5, v1, v6
	v_lshrrev_b32_e32 v5, s21, v5
	v_mul_lo_u32 v7, v5, s19
	v_mul_hi_u32 v8, s23, v5
	v_sub_u32_e32 v1, v1, v7
	v_add_u32_e32 v7, v5, v8
	v_mul_lo_u32 v6, v3, s9
	v_mul_lo_u32 v3, v3, s8
	;; [unrolled: 1-line block ×4, first 2 shown]
	v_lshrrev_b32_e32 v7, s36, v7
	v_add3_u32 v0, v3, v0, v1
	v_mul_hi_u32 v3, s38, v7
	v_add_u32_e32 v3, v7, v3
	v_lshrrev_b32_e32 v3, s39, v3
	s_add_i32 s53, s53, 4
	v_add3_u32 v1, v6, v2, v8
	v_mul_lo_u32 v2, v7, s22
	v_mul_lo_u32 v6, v3, s37
	s_add_u32 s56, s56, 32
	v_sub_u32_e32 v2, v5, v2
	v_sub_u32_e32 v6, v7, v6
	s_addc_u32 s57, s57, 0
	v_mul_lo_u32 v5, v2, s12
	v_mul_lo_u32 v2, v2, s13
	;; [unrolled: 1-line block ×4, first 2 shown]
	s_cmp_eq_u32 s52, s53
	v_add3_u32 v2, v2, v1, v6
	v_add3_u32 v0, v5, v0, v7
	s_cbranch_scc0 .LBB13_145
; %bb.146:
	v_mov_b32_e32 v1, v2
	s_branch .LBB13_166
.LBB13_147:
                                        ; implicit-def: $vgpr2
                                        ; implicit-def: $vgpr0
	s_branch .LBB13_171
.LBB13_148:
	s_mov_b32 s53, s52
	v_pk_mov_b32 v[0:1], s[52:53], s[52:53] op_sel:[0,1]
                                        ; implicit-def: $vgpr2
	v_mov_b32_e32 v3, v24
.LBB13_149:
	s_and_b32 s12, s61, 3
	s_cmp_eq_u32 s12, 0
	s_cbranch_scc1 .LBB13_153
; %bb.150:
	s_lshl_b32 s8, s52, 3
	s_add_u32 s8, s8, s34
	s_addc_u32 s9, s35, 0
	s_add_u32 s8, s8, 0xc4
	s_addc_u32 s9, s9, 0
	s_mul_i32 s10, s52, 12
	s_add_u32 s10, s34, s10
	s_addc_u32 s11, s35, 0
.LBB13_151:                             ; =>This Inner Loop Header: Depth=1
	s_load_dwordx2 s[14:15], s[10:11], 0x4
	s_load_dword s13, s[10:11], 0xc
	s_load_dwordx2 s[16:17], s[8:9], 0x0
	v_mov_b32_e32 v2, v1
	s_add_u32 s10, s10, 12
	s_waitcnt lgkmcnt(0)
	v_mul_hi_u32 v1, s15, v3
	v_add_u32_e32 v1, v3, v1
	v_lshrrev_b32_e32 v1, s13, v1
	s_addc_u32 s11, s11, 0
	v_mul_lo_u32 v5, v1, s14
	s_add_u32 s8, s8, 8
	v_sub_u32_e32 v5, v3, v5
	v_mov_b32_e32 v3, v1
	s_addc_u32 s9, s9, 0
	s_add_i32 s12, s12, -1
	v_mad_u64_u32 v[6:7], s[14:15], v5, s17, v[2:3]
	v_mad_u64_u32 v[0:1], s[14:15], v5, s16, v[0:1]
	s_cmp_lg_u32 s12, 0
	v_mov_b32_e32 v1, v6
	s_cbranch_scc1 .LBB13_151
; %bb.152:
	v_mov_b32_e32 v2, v1
.LBB13_153:
	s_cbranch_execnz .LBB13_156
.LBB13_154:
	v_mul_hi_u32 v0, s25, v24
	v_add_u32_e32 v0, v24, v0
	v_lshrrev_b32_e32 v1, s26, v0
	v_mul_lo_u32 v0, v1, s24
	v_sub_u32_e32 v0, v24, v0
	v_mul_lo_u32 v2, v0, s29
	s_andn2_b64 vcc, exec, s[44:45]
	v_mul_lo_u32 v0, v0, s28
	s_cbranch_vccnz .LBB13_156
; %bb.155:
	v_mul_hi_u32 v3, s42, v1
	v_add_u32_e32 v3, v1, v3
	v_lshrrev_b32_e32 v3, s43, v3
	v_mul_lo_u32 v3, v3, s27
	v_sub_u32_e32 v3, v1, v3
	v_mad_u64_u32 v[0:1], s[8:9], v3, s30, v[0:1]
	v_mad_u64_u32 v[2:3], s[8:9], v3, s31, v[2:3]
.LBB13_156:
	global_load_ushort v1, v2, s[2:3]
	v_add_u32_e32 v24, 0x80, v24
	s_waitcnt vmcnt(0)
	v_and_b32_e32 v1, 0x7fff, v1
	v_or_b32_e32 v1, v1, v4
	global_store_short v0, v1, s[0:1]
	s_or_b64 exec, exec, s[50:51]
	v_cmp_gt_i32_e32 vcc, s59, v24
	s_and_saveexec_b64 s[50:51], vcc
	s_cbranch_execnz .LBB13_141
.LBB13_157:
	s_or_b64 exec, exec, s[50:51]
	v_cmp_gt_i32_e32 vcc, s59, v24
	s_and_saveexec_b64 s[50:51], vcc
	s_cbranch_execz .LBB13_174
.LBB13_158:
	s_andn2_b64 vcc, exec, s[6:7]
	s_cbranch_vccnz .LBB13_164
; %bb.159:
	s_mov_b32 s52, 0
	s_andn2_b64 vcc, exec, s[48:49]
	v_mov_b32_e32 v2, 0
	v_mov_b32_e32 v0, 0
	s_cbranch_vccnz .LBB13_187
; %bb.160:
	s_add_i32 s61, s60, 1
	s_cmp_eq_u32 s58, 2
	s_cbranch_scc1 .LBB13_182
; %bb.161:
	s_and_b32 s52, s61, 28
	s_mov_b32 s53, 0
	v_mov_b32_e32 v0, 0
	s_mov_b64 s[54:55], s[34:35]
	s_mov_b64 s[56:57], s[46:47]
	v_mov_b32_e32 v3, v24
	v_mov_b32_e32 v2, 0
.LBB13_162:                             ; =>This Inner Loop Header: Depth=1
	s_load_dwordx8 s[16:23], s[54:55], 0x4
	s_load_dwordx4 s[36:39], s[54:55], 0x24
	s_load_dwordx8 s[8:15], s[56:57], 0x0
	s_add_u32 s54, s54, 48
	s_addc_u32 s55, s55, 0
	s_waitcnt lgkmcnt(0)
	v_mul_hi_u32 v1, s17, v3
	v_add_u32_e32 v1, v3, v1
	v_lshrrev_b32_e32 v1, s18, v1
	v_mul_lo_u32 v5, v1, s16
	v_mul_hi_u32 v6, s20, v1
	v_sub_u32_e32 v3, v3, v5
	v_add_u32_e32 v5, v1, v6
	v_lshrrev_b32_e32 v5, s21, v5
	v_mul_lo_u32 v7, v5, s19
	v_mul_hi_u32 v8, s23, v5
	v_sub_u32_e32 v1, v1, v7
	v_add_u32_e32 v7, v5, v8
	v_mul_lo_u32 v6, v3, s9
	v_mul_lo_u32 v3, v3, s8
	;; [unrolled: 1-line block ×4, first 2 shown]
	v_lshrrev_b32_e32 v7, s36, v7
	v_add3_u32 v0, v3, v0, v1
	v_mul_hi_u32 v3, s38, v7
	v_add_u32_e32 v3, v7, v3
	v_lshrrev_b32_e32 v3, s39, v3
	s_add_i32 s53, s53, 4
	v_add3_u32 v1, v6, v2, v8
	v_mul_lo_u32 v2, v7, s22
	v_mul_lo_u32 v6, v3, s37
	s_add_u32 s56, s56, 32
	v_sub_u32_e32 v2, v5, v2
	v_sub_u32_e32 v6, v7, v6
	s_addc_u32 s57, s57, 0
	v_mul_lo_u32 v5, v2, s12
	v_mul_lo_u32 v2, v2, s13
	;; [unrolled: 1-line block ×4, first 2 shown]
	s_cmp_eq_u32 s52, s53
	v_add3_u32 v2, v2, v1, v6
	v_add3_u32 v0, v5, v0, v7
	s_cbranch_scc0 .LBB13_162
; %bb.163:
	v_mov_b32_e32 v1, v2
	s_branch .LBB13_183
.LBB13_164:
                                        ; implicit-def: $vgpr2
                                        ; implicit-def: $vgpr0
	s_branch .LBB13_188
.LBB13_165:
	s_mov_b32 s53, s52
	v_pk_mov_b32 v[0:1], s[52:53], s[52:53] op_sel:[0,1]
                                        ; implicit-def: $vgpr2
	v_mov_b32_e32 v3, v24
.LBB13_166:
	s_and_b32 s12, s61, 3
	s_cmp_eq_u32 s12, 0
	s_cbranch_scc1 .LBB13_170
; %bb.167:
	s_lshl_b32 s8, s52, 3
	s_add_u32 s8, s8, s34
	s_addc_u32 s9, s35, 0
	s_add_u32 s8, s8, 0xc4
	s_addc_u32 s9, s9, 0
	s_mul_i32 s10, s52, 12
	s_add_u32 s10, s34, s10
	s_addc_u32 s11, s35, 0
.LBB13_168:                             ; =>This Inner Loop Header: Depth=1
	s_load_dwordx2 s[14:15], s[10:11], 0x4
	s_load_dword s13, s[10:11], 0xc
	s_load_dwordx2 s[16:17], s[8:9], 0x0
	v_mov_b32_e32 v2, v1
	s_add_u32 s10, s10, 12
	s_waitcnt lgkmcnt(0)
	v_mul_hi_u32 v1, s15, v3
	v_add_u32_e32 v1, v3, v1
	v_lshrrev_b32_e32 v1, s13, v1
	s_addc_u32 s11, s11, 0
	v_mul_lo_u32 v5, v1, s14
	s_add_u32 s8, s8, 8
	v_sub_u32_e32 v5, v3, v5
	v_mov_b32_e32 v3, v1
	s_addc_u32 s9, s9, 0
	s_add_i32 s12, s12, -1
	v_mad_u64_u32 v[6:7], s[14:15], v5, s17, v[2:3]
	v_mad_u64_u32 v[0:1], s[14:15], v5, s16, v[0:1]
	s_cmp_lg_u32 s12, 0
	v_mov_b32_e32 v1, v6
	s_cbranch_scc1 .LBB13_168
; %bb.169:
	v_mov_b32_e32 v2, v1
.LBB13_170:
	s_cbranch_execnz .LBB13_173
.LBB13_171:
	v_mul_hi_u32 v0, s25, v24
	v_add_u32_e32 v0, v24, v0
	v_lshrrev_b32_e32 v1, s26, v0
	v_mul_lo_u32 v0, v1, s24
	v_sub_u32_e32 v0, v24, v0
	v_mul_lo_u32 v2, v0, s29
	s_andn2_b64 vcc, exec, s[44:45]
	v_mul_lo_u32 v0, v0, s28
	s_cbranch_vccnz .LBB13_173
; %bb.172:
	v_mul_hi_u32 v3, s42, v1
	v_add_u32_e32 v3, v1, v3
	v_lshrrev_b32_e32 v3, s43, v3
	v_mul_lo_u32 v3, v3, s27
	v_sub_u32_e32 v3, v1, v3
	v_mad_u64_u32 v[0:1], s[8:9], v3, s30, v[0:1]
	v_mad_u64_u32 v[2:3], s[8:9], v3, s31, v[2:3]
.LBB13_173:
	global_load_ushort v1, v2, s[2:3]
	v_add_u32_e32 v24, 0x80, v24
	s_waitcnt vmcnt(0)
	v_and_b32_e32 v1, 0x7fff, v1
	v_or_b32_e32 v1, v1, v4
	global_store_short v0, v1, s[0:1]
	s_or_b64 exec, exec, s[50:51]
	v_cmp_gt_i32_e32 vcc, s59, v24
	s_and_saveexec_b64 s[50:51], vcc
	s_cbranch_execnz .LBB13_158
.LBB13_174:
	s_or_b64 exec, exec, s[50:51]
	v_cmp_gt_i32_e32 vcc, s59, v24
	s_and_saveexec_b64 s[50:51], vcc
	s_cbranch_execz .LBB13_191
.LBB13_175:
	s_andn2_b64 vcc, exec, s[6:7]
	s_cbranch_vccnz .LBB13_181
; %bb.176:
	s_mov_b32 s52, 0
	s_andn2_b64 vcc, exec, s[48:49]
	v_mov_b32_e32 v2, 0
	v_mov_b32_e32 v0, 0
	s_cbranch_vccnz .LBB13_204
; %bb.177:
	s_add_i32 s61, s60, 1
	s_cmp_eq_u32 s58, 2
	s_cbranch_scc1 .LBB13_199
; %bb.178:
	s_and_b32 s52, s61, 28
	s_mov_b32 s53, 0
	v_mov_b32_e32 v0, 0
	s_mov_b64 s[54:55], s[34:35]
	s_mov_b64 s[56:57], s[46:47]
	v_mov_b32_e32 v3, v24
	v_mov_b32_e32 v2, 0
.LBB13_179:                             ; =>This Inner Loop Header: Depth=1
	s_load_dwordx8 s[16:23], s[54:55], 0x4
	s_load_dwordx4 s[36:39], s[54:55], 0x24
	s_load_dwordx8 s[8:15], s[56:57], 0x0
	s_add_u32 s54, s54, 48
	s_addc_u32 s55, s55, 0
	s_waitcnt lgkmcnt(0)
	v_mul_hi_u32 v1, s17, v3
	v_add_u32_e32 v1, v3, v1
	v_lshrrev_b32_e32 v1, s18, v1
	v_mul_lo_u32 v5, v1, s16
	v_mul_hi_u32 v6, s20, v1
	v_sub_u32_e32 v3, v3, v5
	v_add_u32_e32 v5, v1, v6
	v_lshrrev_b32_e32 v5, s21, v5
	v_mul_lo_u32 v7, v5, s19
	v_mul_hi_u32 v8, s23, v5
	v_sub_u32_e32 v1, v1, v7
	v_add_u32_e32 v7, v5, v8
	v_mul_lo_u32 v6, v3, s9
	v_mul_lo_u32 v3, v3, s8
	;; [unrolled: 1-line block ×4, first 2 shown]
	v_lshrrev_b32_e32 v7, s36, v7
	v_add3_u32 v0, v3, v0, v1
	v_mul_hi_u32 v3, s38, v7
	v_add_u32_e32 v3, v7, v3
	v_lshrrev_b32_e32 v3, s39, v3
	s_add_i32 s53, s53, 4
	v_add3_u32 v1, v6, v2, v8
	v_mul_lo_u32 v2, v7, s22
	v_mul_lo_u32 v6, v3, s37
	s_add_u32 s56, s56, 32
	v_sub_u32_e32 v2, v5, v2
	v_sub_u32_e32 v6, v7, v6
	s_addc_u32 s57, s57, 0
	v_mul_lo_u32 v5, v2, s12
	v_mul_lo_u32 v2, v2, s13
	;; [unrolled: 1-line block ×4, first 2 shown]
	s_cmp_eq_u32 s52, s53
	v_add3_u32 v2, v2, v1, v6
	v_add3_u32 v0, v5, v0, v7
	s_cbranch_scc0 .LBB13_179
; %bb.180:
	v_mov_b32_e32 v1, v2
	s_branch .LBB13_200
.LBB13_181:
                                        ; implicit-def: $vgpr2
                                        ; implicit-def: $vgpr0
	s_branch .LBB13_205
.LBB13_182:
	s_mov_b32 s53, s52
	v_pk_mov_b32 v[0:1], s[52:53], s[52:53] op_sel:[0,1]
                                        ; implicit-def: $vgpr2
	v_mov_b32_e32 v3, v24
.LBB13_183:
	s_and_b32 s12, s61, 3
	s_cmp_eq_u32 s12, 0
	s_cbranch_scc1 .LBB13_187
; %bb.184:
	s_lshl_b32 s8, s52, 3
	s_add_u32 s8, s8, s34
	s_addc_u32 s9, s35, 0
	s_add_u32 s8, s8, 0xc4
	s_addc_u32 s9, s9, 0
	s_mul_i32 s10, s52, 12
	s_add_u32 s10, s34, s10
	s_addc_u32 s11, s35, 0
.LBB13_185:                             ; =>This Inner Loop Header: Depth=1
	s_load_dwordx2 s[14:15], s[10:11], 0x4
	s_load_dword s13, s[10:11], 0xc
	s_load_dwordx2 s[16:17], s[8:9], 0x0
	v_mov_b32_e32 v2, v1
	s_add_u32 s10, s10, 12
	s_waitcnt lgkmcnt(0)
	v_mul_hi_u32 v1, s15, v3
	v_add_u32_e32 v1, v3, v1
	v_lshrrev_b32_e32 v1, s13, v1
	s_addc_u32 s11, s11, 0
	v_mul_lo_u32 v5, v1, s14
	s_add_u32 s8, s8, 8
	v_sub_u32_e32 v5, v3, v5
	v_mov_b32_e32 v3, v1
	s_addc_u32 s9, s9, 0
	s_add_i32 s12, s12, -1
	v_mad_u64_u32 v[6:7], s[14:15], v5, s17, v[2:3]
	v_mad_u64_u32 v[0:1], s[14:15], v5, s16, v[0:1]
	s_cmp_lg_u32 s12, 0
	v_mov_b32_e32 v1, v6
	s_cbranch_scc1 .LBB13_185
; %bb.186:
	v_mov_b32_e32 v2, v1
.LBB13_187:
	s_cbranch_execnz .LBB13_190
.LBB13_188:
	v_mul_hi_u32 v0, s25, v24
	v_add_u32_e32 v0, v24, v0
	v_lshrrev_b32_e32 v1, s26, v0
	v_mul_lo_u32 v0, v1, s24
	v_sub_u32_e32 v0, v24, v0
	v_mul_lo_u32 v2, v0, s29
	s_andn2_b64 vcc, exec, s[44:45]
	v_mul_lo_u32 v0, v0, s28
	s_cbranch_vccnz .LBB13_190
; %bb.189:
	v_mul_hi_u32 v3, s42, v1
	v_add_u32_e32 v3, v1, v3
	v_lshrrev_b32_e32 v3, s43, v3
	v_mul_lo_u32 v3, v3, s27
	v_sub_u32_e32 v3, v1, v3
	v_mad_u64_u32 v[0:1], s[8:9], v3, s30, v[0:1]
	v_mad_u64_u32 v[2:3], s[8:9], v3, s31, v[2:3]
.LBB13_190:
	global_load_ushort v1, v2, s[2:3]
	v_add_u32_e32 v24, 0x80, v24
	s_waitcnt vmcnt(0)
	v_and_b32_e32 v1, 0x7fff, v1
	v_or_b32_e32 v1, v1, v4
	global_store_short v0, v1, s[0:1]
	s_or_b64 exec, exec, s[50:51]
	v_cmp_gt_i32_e32 vcc, s59, v24
	s_and_saveexec_b64 s[50:51], vcc
	s_cbranch_execnz .LBB13_175
.LBB13_191:
	s_or_b64 exec, exec, s[50:51]
	v_cmp_gt_i32_e32 vcc, s59, v24
	s_and_saveexec_b64 s[50:51], vcc
	s_cbranch_execz .LBB13_208
.LBB13_192:
	s_andn2_b64 vcc, exec, s[6:7]
	s_cbranch_vccnz .LBB13_198
; %bb.193:
	s_mov_b32 s52, 0
	s_andn2_b64 vcc, exec, s[48:49]
	v_mov_b32_e32 v2, 0
	v_mov_b32_e32 v0, 0
	s_cbranch_vccnz .LBB13_221
; %bb.194:
	s_add_i32 s61, s60, 1
	s_cmp_eq_u32 s58, 2
	s_cbranch_scc1 .LBB13_216
; %bb.195:
	s_and_b32 s52, s61, 28
	s_mov_b32 s53, 0
	v_mov_b32_e32 v0, 0
	s_mov_b64 s[54:55], s[34:35]
	s_mov_b64 s[56:57], s[46:47]
	v_mov_b32_e32 v3, v24
	v_mov_b32_e32 v2, 0
.LBB13_196:                             ; =>This Inner Loop Header: Depth=1
	s_load_dwordx8 s[16:23], s[54:55], 0x4
	s_load_dwordx4 s[36:39], s[54:55], 0x24
	s_load_dwordx8 s[8:15], s[56:57], 0x0
	s_add_u32 s54, s54, 48
	s_addc_u32 s55, s55, 0
	s_waitcnt lgkmcnt(0)
	v_mul_hi_u32 v1, s17, v3
	v_add_u32_e32 v1, v3, v1
	v_lshrrev_b32_e32 v1, s18, v1
	v_mul_lo_u32 v5, v1, s16
	v_mul_hi_u32 v6, s20, v1
	v_sub_u32_e32 v3, v3, v5
	v_add_u32_e32 v5, v1, v6
	v_lshrrev_b32_e32 v5, s21, v5
	v_mul_lo_u32 v7, v5, s19
	v_mul_hi_u32 v8, s23, v5
	v_sub_u32_e32 v1, v1, v7
	v_add_u32_e32 v7, v5, v8
	v_mul_lo_u32 v6, v3, s9
	v_mul_lo_u32 v3, v3, s8
	;; [unrolled: 1-line block ×4, first 2 shown]
	v_lshrrev_b32_e32 v7, s36, v7
	v_add3_u32 v0, v3, v0, v1
	v_mul_hi_u32 v3, s38, v7
	v_add_u32_e32 v3, v7, v3
	v_lshrrev_b32_e32 v3, s39, v3
	s_add_i32 s53, s53, 4
	v_add3_u32 v1, v6, v2, v8
	v_mul_lo_u32 v2, v7, s22
	v_mul_lo_u32 v6, v3, s37
	s_add_u32 s56, s56, 32
	v_sub_u32_e32 v2, v5, v2
	v_sub_u32_e32 v6, v7, v6
	s_addc_u32 s57, s57, 0
	v_mul_lo_u32 v5, v2, s12
	v_mul_lo_u32 v2, v2, s13
	;; [unrolled: 1-line block ×4, first 2 shown]
	s_cmp_eq_u32 s52, s53
	v_add3_u32 v2, v2, v1, v6
	v_add3_u32 v0, v5, v0, v7
	s_cbranch_scc0 .LBB13_196
; %bb.197:
	v_mov_b32_e32 v1, v2
	s_branch .LBB13_217
.LBB13_198:
                                        ; implicit-def: $vgpr2
                                        ; implicit-def: $vgpr0
	s_branch .LBB13_222
.LBB13_199:
	s_mov_b32 s53, s52
	v_pk_mov_b32 v[0:1], s[52:53], s[52:53] op_sel:[0,1]
                                        ; implicit-def: $vgpr2
	v_mov_b32_e32 v3, v24
.LBB13_200:
	s_and_b32 s12, s61, 3
	s_cmp_eq_u32 s12, 0
	s_cbranch_scc1 .LBB13_204
; %bb.201:
	s_lshl_b32 s8, s52, 3
	s_add_u32 s8, s8, s34
	s_addc_u32 s9, s35, 0
	s_add_u32 s8, s8, 0xc4
	s_addc_u32 s9, s9, 0
	s_mul_i32 s10, s52, 12
	s_add_u32 s10, s34, s10
	s_addc_u32 s11, s35, 0
.LBB13_202:                             ; =>This Inner Loop Header: Depth=1
	s_load_dwordx2 s[14:15], s[10:11], 0x4
	s_load_dword s13, s[10:11], 0xc
	s_load_dwordx2 s[16:17], s[8:9], 0x0
	v_mov_b32_e32 v2, v1
	s_add_u32 s10, s10, 12
	s_waitcnt lgkmcnt(0)
	v_mul_hi_u32 v1, s15, v3
	v_add_u32_e32 v1, v3, v1
	v_lshrrev_b32_e32 v1, s13, v1
	s_addc_u32 s11, s11, 0
	v_mul_lo_u32 v5, v1, s14
	s_add_u32 s8, s8, 8
	v_sub_u32_e32 v5, v3, v5
	v_mov_b32_e32 v3, v1
	s_addc_u32 s9, s9, 0
	s_add_i32 s12, s12, -1
	v_mad_u64_u32 v[6:7], s[14:15], v5, s17, v[2:3]
	v_mad_u64_u32 v[0:1], s[14:15], v5, s16, v[0:1]
	s_cmp_lg_u32 s12, 0
	v_mov_b32_e32 v1, v6
	s_cbranch_scc1 .LBB13_202
; %bb.203:
	v_mov_b32_e32 v2, v1
.LBB13_204:
	s_cbranch_execnz .LBB13_207
.LBB13_205:
	v_mul_hi_u32 v0, s25, v24
	v_add_u32_e32 v0, v24, v0
	v_lshrrev_b32_e32 v1, s26, v0
	v_mul_lo_u32 v0, v1, s24
	v_sub_u32_e32 v0, v24, v0
	v_mul_lo_u32 v2, v0, s29
	s_andn2_b64 vcc, exec, s[44:45]
	v_mul_lo_u32 v0, v0, s28
	s_cbranch_vccnz .LBB13_207
; %bb.206:
	v_mul_hi_u32 v3, s42, v1
	v_add_u32_e32 v3, v1, v3
	v_lshrrev_b32_e32 v3, s43, v3
	v_mul_lo_u32 v3, v3, s27
	v_sub_u32_e32 v3, v1, v3
	v_mad_u64_u32 v[0:1], s[8:9], v3, s30, v[0:1]
	v_mad_u64_u32 v[2:3], s[8:9], v3, s31, v[2:3]
.LBB13_207:
	global_load_ushort v1, v2, s[2:3]
	v_add_u32_e32 v24, 0x80, v24
	s_waitcnt vmcnt(0)
	v_and_b32_e32 v1, 0x7fff, v1
	v_or_b32_e32 v1, v1, v4
	global_store_short v0, v1, s[0:1]
	s_or_b64 exec, exec, s[50:51]
	v_cmp_gt_i32_e32 vcc, s59, v24
	s_and_saveexec_b64 s[50:51], vcc
	s_cbranch_execnz .LBB13_192
.LBB13_208:
	s_or_b64 exec, exec, s[50:51]
	v_cmp_gt_i32_e32 vcc, s59, v24
	s_and_saveexec_b64 s[50:51], vcc
	s_cbranch_execz .LBB13_225
.LBB13_209:
	s_andn2_b64 vcc, exec, s[6:7]
	s_cbranch_vccnz .LBB13_215
; %bb.210:
	s_mov_b32 s52, 0
	s_andn2_b64 vcc, exec, s[48:49]
	v_mov_b32_e32 v2, 0
	v_mov_b32_e32 v0, 0
	s_cbranch_vccnz .LBB13_233
; %bb.211:
	s_add_i32 s61, s60, 1
	s_cmp_eq_u32 s58, 2
	s_cbranch_scc1 .LBB13_228
; %bb.212:
	s_and_b32 s52, s61, 28
	s_mov_b32 s53, 0
	v_mov_b32_e32 v0, 0
	s_mov_b64 s[54:55], s[34:35]
	s_mov_b64 s[56:57], s[46:47]
	v_mov_b32_e32 v3, v24
	v_mov_b32_e32 v2, 0
.LBB13_213:                             ; =>This Inner Loop Header: Depth=1
	s_load_dwordx8 s[16:23], s[54:55], 0x4
	s_load_dwordx4 s[36:39], s[54:55], 0x24
	s_load_dwordx8 s[8:15], s[56:57], 0x0
	s_add_u32 s54, s54, 48
	s_addc_u32 s55, s55, 0
	s_waitcnt lgkmcnt(0)
	v_mul_hi_u32 v1, s17, v3
	v_add_u32_e32 v1, v3, v1
	v_lshrrev_b32_e32 v1, s18, v1
	v_mul_lo_u32 v5, v1, s16
	v_mul_hi_u32 v6, s20, v1
	v_sub_u32_e32 v3, v3, v5
	v_add_u32_e32 v5, v1, v6
	v_lshrrev_b32_e32 v5, s21, v5
	v_mul_lo_u32 v7, v5, s19
	v_mul_hi_u32 v8, s23, v5
	v_sub_u32_e32 v1, v1, v7
	v_add_u32_e32 v7, v5, v8
	v_mul_lo_u32 v6, v3, s9
	v_mul_lo_u32 v3, v3, s8
	;; [unrolled: 1-line block ×4, first 2 shown]
	v_lshrrev_b32_e32 v7, s36, v7
	v_add3_u32 v0, v3, v0, v1
	v_mul_hi_u32 v3, s38, v7
	v_add_u32_e32 v3, v7, v3
	v_lshrrev_b32_e32 v3, s39, v3
	s_add_i32 s53, s53, 4
	v_add3_u32 v1, v6, v2, v8
	v_mul_lo_u32 v2, v7, s22
	v_mul_lo_u32 v6, v3, s37
	s_add_u32 s56, s56, 32
	v_sub_u32_e32 v2, v5, v2
	v_sub_u32_e32 v6, v7, v6
	s_addc_u32 s57, s57, 0
	v_mul_lo_u32 v5, v2, s12
	v_mul_lo_u32 v2, v2, s13
	;; [unrolled: 1-line block ×4, first 2 shown]
	s_cmp_eq_u32 s52, s53
	v_add3_u32 v2, v2, v1, v6
	v_add3_u32 v0, v5, v0, v7
	s_cbranch_scc0 .LBB13_213
; %bb.214:
	v_mov_b32_e32 v1, v2
	s_branch .LBB13_229
.LBB13_215:
                                        ; implicit-def: $vgpr2
                                        ; implicit-def: $vgpr0
	s_branch .LBB13_234
.LBB13_216:
	s_mov_b32 s53, s52
	v_pk_mov_b32 v[0:1], s[52:53], s[52:53] op_sel:[0,1]
                                        ; implicit-def: $vgpr2
	v_mov_b32_e32 v3, v24
.LBB13_217:
	s_and_b32 s12, s61, 3
	s_cmp_eq_u32 s12, 0
	s_cbranch_scc1 .LBB13_221
; %bb.218:
	s_lshl_b32 s8, s52, 3
	s_add_u32 s8, s8, s34
	s_addc_u32 s9, s35, 0
	s_add_u32 s8, s8, 0xc4
	s_addc_u32 s9, s9, 0
	s_mul_i32 s10, s52, 12
	s_add_u32 s10, s34, s10
	s_addc_u32 s11, s35, 0
.LBB13_219:                             ; =>This Inner Loop Header: Depth=1
	s_load_dwordx2 s[14:15], s[10:11], 0x4
	s_load_dword s13, s[10:11], 0xc
	s_load_dwordx2 s[16:17], s[8:9], 0x0
	v_mov_b32_e32 v2, v1
	s_add_u32 s10, s10, 12
	s_waitcnt lgkmcnt(0)
	v_mul_hi_u32 v1, s15, v3
	v_add_u32_e32 v1, v3, v1
	v_lshrrev_b32_e32 v1, s13, v1
	s_addc_u32 s11, s11, 0
	v_mul_lo_u32 v5, v1, s14
	s_add_u32 s8, s8, 8
	v_sub_u32_e32 v5, v3, v5
	v_mov_b32_e32 v3, v1
	s_addc_u32 s9, s9, 0
	s_add_i32 s12, s12, -1
	v_mad_u64_u32 v[6:7], s[14:15], v5, s17, v[2:3]
	v_mad_u64_u32 v[0:1], s[14:15], v5, s16, v[0:1]
	s_cmp_lg_u32 s12, 0
	v_mov_b32_e32 v1, v6
	s_cbranch_scc1 .LBB13_219
; %bb.220:
	v_mov_b32_e32 v2, v1
.LBB13_221:
	s_cbranch_execnz .LBB13_224
.LBB13_222:
	v_mul_hi_u32 v0, s25, v24
	v_add_u32_e32 v0, v24, v0
	v_lshrrev_b32_e32 v1, s26, v0
	v_mul_lo_u32 v0, v1, s24
	v_sub_u32_e32 v0, v24, v0
	v_mul_lo_u32 v2, v0, s29
	s_andn2_b64 vcc, exec, s[44:45]
	v_mul_lo_u32 v0, v0, s28
	s_cbranch_vccnz .LBB13_224
; %bb.223:
	v_mul_hi_u32 v3, s42, v1
	v_add_u32_e32 v3, v1, v3
	v_lshrrev_b32_e32 v3, s43, v3
	v_mul_lo_u32 v3, v3, s27
	v_sub_u32_e32 v3, v1, v3
	v_mad_u64_u32 v[0:1], s[8:9], v3, s30, v[0:1]
	v_mad_u64_u32 v[2:3], s[8:9], v3, s31, v[2:3]
.LBB13_224:
	global_load_ushort v1, v2, s[2:3]
	v_add_u32_e32 v24, 0x80, v24
	s_waitcnt vmcnt(0)
	v_and_b32_e32 v1, 0x7fff, v1
	v_or_b32_e32 v1, v1, v4
	global_store_short v0, v1, s[0:1]
	s_or_b64 exec, exec, s[50:51]
	v_cmp_gt_i32_e32 vcc, s59, v24
	s_and_saveexec_b64 s[50:51], vcc
	s_cbranch_execnz .LBB13_209
.LBB13_225:
	s_or_b64 exec, exec, s[50:51]
	v_cmp_gt_i32_e32 vcc, s59, v24
	s_and_saveexec_b64 s[50:51], vcc
	s_cbranch_execnz .LBB13_237
.LBB13_226:
	s_or_b64 exec, exec, s[50:51]
                                        ; implicit-def: $vgpr31
                                        ; implicit-def: $vgpr24
	s_andn2_saveexec_b64 s[0:1], s[40:41]
	s_cbranch_execnz .LBB13_9
.LBB13_227:
	s_endpgm
.LBB13_228:
	s_mov_b32 s53, s52
	v_pk_mov_b32 v[0:1], s[52:53], s[52:53] op_sel:[0,1]
                                        ; implicit-def: $vgpr2
	v_mov_b32_e32 v3, v24
.LBB13_229:
	s_and_b32 s12, s61, 3
	s_cmp_eq_u32 s12, 0
	s_cbranch_scc1 .LBB13_233
; %bb.230:
	s_lshl_b32 s8, s52, 3
	s_add_u32 s8, s8, s34
	s_addc_u32 s9, s35, 0
	s_add_u32 s8, s8, 0xc4
	s_addc_u32 s9, s9, 0
	s_mul_i32 s10, s52, 12
	s_add_u32 s10, s34, s10
	s_addc_u32 s11, s35, 0
.LBB13_231:                             ; =>This Inner Loop Header: Depth=1
	s_load_dwordx2 s[14:15], s[10:11], 0x4
	s_load_dword s13, s[10:11], 0xc
	s_load_dwordx2 s[16:17], s[8:9], 0x0
	v_mov_b32_e32 v2, v1
	s_add_u32 s10, s10, 12
	s_waitcnt lgkmcnt(0)
	v_mul_hi_u32 v1, s15, v3
	v_add_u32_e32 v1, v3, v1
	v_lshrrev_b32_e32 v1, s13, v1
	s_addc_u32 s11, s11, 0
	v_mul_lo_u32 v5, v1, s14
	s_add_u32 s8, s8, 8
	v_sub_u32_e32 v5, v3, v5
	v_mov_b32_e32 v3, v1
	s_addc_u32 s9, s9, 0
	s_add_i32 s12, s12, -1
	v_mad_u64_u32 v[6:7], s[14:15], v5, s17, v[2:3]
	v_mad_u64_u32 v[0:1], s[14:15], v5, s16, v[0:1]
	s_cmp_lg_u32 s12, 0
	v_mov_b32_e32 v1, v6
	s_cbranch_scc1 .LBB13_231
; %bb.232:
	v_mov_b32_e32 v2, v1
.LBB13_233:
	s_cbranch_execnz .LBB13_236
.LBB13_234:
	v_mul_hi_u32 v0, s25, v24
	v_add_u32_e32 v0, v24, v0
	v_lshrrev_b32_e32 v1, s26, v0
	v_mul_lo_u32 v0, v1, s24
	v_sub_u32_e32 v0, v24, v0
	v_mul_lo_u32 v2, v0, s29
	s_andn2_b64 vcc, exec, s[44:45]
	v_mul_lo_u32 v0, v0, s28
	s_cbranch_vccnz .LBB13_236
; %bb.235:
	v_mul_hi_u32 v3, s42, v1
	v_add_u32_e32 v3, v1, v3
	v_lshrrev_b32_e32 v3, s43, v3
	v_mul_lo_u32 v3, v3, s27
	v_sub_u32_e32 v3, v1, v3
	v_mad_u64_u32 v[0:1], s[8:9], v3, s30, v[0:1]
	v_mad_u64_u32 v[2:3], s[8:9], v3, s31, v[2:3]
.LBB13_236:
	global_load_ushort v1, v2, s[2:3]
	v_add_u32_e32 v24, 0x80, v24
	s_waitcnt vmcnt(0)
	v_and_b32_e32 v1, 0x7fff, v1
	v_or_b32_e32 v1, v1, v4
	global_store_short v0, v1, s[0:1]
	s_or_b64 exec, exec, s[50:51]
	v_cmp_gt_i32_e32 vcc, s59, v24
	s_and_saveexec_b64 s[50:51], vcc
	s_cbranch_execz .LBB13_226
.LBB13_237:
	s_andn2_b64 vcc, exec, s[6:7]
	s_cbranch_vccnz .LBB13_243
; %bb.238:
	s_mov_b32 s52, 0
	s_andn2_b64 vcc, exec, s[48:49]
	v_mov_b32_e32 v2, 0
	v_mov_b32_e32 v0, 0
	s_cbranch_vccnz .LBB13_249
; %bb.239:
	s_add_i32 s60, s60, 1
	s_cmp_eq_u32 s58, 2
	s_cbranch_scc1 .LBB13_244
; %bb.240:
	s_and_b32 s52, s60, 28
	s_mov_b32 s53, 0
	v_mov_b32_e32 v0, 0
	s_mov_b64 s[48:49], s[34:35]
	v_mov_b32_e32 v3, v24
	v_mov_b32_e32 v2, 0
.LBB13_241:                             ; =>This Inner Loop Header: Depth=1
	s_load_dwordx8 s[16:23], s[48:49], 0x4
	s_load_dwordx4 s[36:39], s[48:49], 0x24
	s_load_dwordx8 s[8:15], s[46:47], 0x0
	s_add_u32 s48, s48, 48
	s_addc_u32 s49, s49, 0
	s_waitcnt lgkmcnt(0)
	v_mul_hi_u32 v1, s17, v3
	v_add_u32_e32 v1, v3, v1
	v_lshrrev_b32_e32 v1, s18, v1
	v_mul_lo_u32 v5, v1, s16
	v_mul_hi_u32 v6, s20, v1
	v_sub_u32_e32 v3, v3, v5
	v_add_u32_e32 v5, v1, v6
	v_lshrrev_b32_e32 v5, s21, v5
	v_mul_lo_u32 v7, v5, s19
	v_mul_hi_u32 v8, s23, v5
	v_sub_u32_e32 v1, v1, v7
	v_add_u32_e32 v7, v5, v8
	v_mul_lo_u32 v6, v3, s9
	v_mul_lo_u32 v3, v3, s8
	;; [unrolled: 1-line block ×4, first 2 shown]
	v_lshrrev_b32_e32 v7, s36, v7
	v_add3_u32 v0, v3, v0, v1
	v_mul_hi_u32 v3, s38, v7
	v_add_u32_e32 v3, v7, v3
	v_lshrrev_b32_e32 v3, s39, v3
	s_add_i32 s53, s53, 4
	v_add3_u32 v1, v6, v2, v8
	v_mul_lo_u32 v2, v7, s22
	v_mul_lo_u32 v6, v3, s37
	s_add_u32 s46, s46, 32
	v_sub_u32_e32 v2, v5, v2
	v_sub_u32_e32 v6, v7, v6
	s_addc_u32 s47, s47, 0
	v_mul_lo_u32 v5, v2, s12
	v_mul_lo_u32 v2, v2, s13
	;; [unrolled: 1-line block ×4, first 2 shown]
	s_cmp_eq_u32 s52, s53
	v_add3_u32 v2, v2, v1, v6
	v_add3_u32 v0, v5, v0, v7
	s_cbranch_scc0 .LBB13_241
; %bb.242:
	v_mov_b32_e32 v1, v2
	s_branch .LBB13_245
.LBB13_243:
                                        ; implicit-def: $vgpr2
                                        ; implicit-def: $vgpr0
	s_branch .LBB13_250
.LBB13_244:
	s_mov_b32 s53, s52
	v_pk_mov_b32 v[0:1], s[52:53], s[52:53] op_sel:[0,1]
                                        ; implicit-def: $vgpr2
	v_mov_b32_e32 v3, v24
.LBB13_245:
	s_and_b32 s12, s60, 3
	s_cmp_eq_u32 s12, 0
	s_cbranch_scc1 .LBB13_249
; %bb.246:
	s_lshl_b32 s8, s52, 3
	s_add_u32 s8, s8, s34
	s_addc_u32 s9, s35, 0
	s_add_u32 s8, s8, 0xc4
	s_addc_u32 s9, s9, 0
	s_mul_i32 s10, s52, 12
	s_add_u32 s10, s34, s10
	s_addc_u32 s11, s35, 0
.LBB13_247:                             ; =>This Inner Loop Header: Depth=1
	s_load_dwordx2 s[14:15], s[10:11], 0x4
	s_load_dword s13, s[10:11], 0xc
	s_load_dwordx2 s[16:17], s[8:9], 0x0
	v_mov_b32_e32 v2, v1
	s_add_u32 s10, s10, 12
	s_waitcnt lgkmcnt(0)
	v_mul_hi_u32 v1, s15, v3
	v_add_u32_e32 v1, v3, v1
	v_lshrrev_b32_e32 v1, s13, v1
	s_addc_u32 s11, s11, 0
	v_mul_lo_u32 v5, v1, s14
	s_add_u32 s8, s8, 8
	v_sub_u32_e32 v5, v3, v5
	v_mov_b32_e32 v3, v1
	s_addc_u32 s9, s9, 0
	s_add_i32 s12, s12, -1
	v_mad_u64_u32 v[6:7], s[14:15], v5, s17, v[2:3]
	v_mad_u64_u32 v[0:1], s[14:15], v5, s16, v[0:1]
	s_cmp_lg_u32 s12, 0
	v_mov_b32_e32 v1, v6
	s_cbranch_scc1 .LBB13_247
; %bb.248:
	v_mov_b32_e32 v2, v1
.LBB13_249:
	s_cbranch_execnz .LBB13_252
.LBB13_250:
	v_mul_hi_u32 v0, s25, v24
	v_add_u32_e32 v0, v24, v0
	v_lshrrev_b32_e32 v1, s26, v0
	v_mul_lo_u32 v0, v1, s24
	v_sub_u32_e32 v0, v24, v0
	v_mul_lo_u32 v2, v0, s29
	s_andn2_b64 vcc, exec, s[44:45]
	v_mul_lo_u32 v0, v0, s28
	s_cbranch_vccnz .LBB13_252
; %bb.251:
	v_mul_hi_u32 v3, s42, v1
	v_add_u32_e32 v3, v1, v3
	v_lshrrev_b32_e32 v3, s43, v3
	v_mul_lo_u32 v3, v3, s27
	v_sub_u32_e32 v3, v1, v3
	v_mad_u64_u32 v[0:1], s[8:9], v3, s30, v[0:1]
	v_mad_u64_u32 v[2:3], s[8:9], v3, s31, v[2:3]
.LBB13_252:
	global_load_ushort v1, v2, s[2:3]
	s_waitcnt vmcnt(0)
	v_and_b32_e32 v1, 0x7fff, v1
	v_or_b32_e32 v1, v1, v4
	global_store_short v0, v1, s[0:1]
	s_or_b64 exec, exec, s[50:51]
                                        ; implicit-def: $vgpr31
                                        ; implicit-def: $vgpr24
	s_andn2_saveexec_b64 s[0:1], s[40:41]
	s_cbranch_execz .LBB13_227
	s_branch .LBB13_9
	.section	.rodata,"a",@progbits
	.p2align	6, 0x0
	.amdhsa_kernel _ZN2at6native32elementwise_kernel_manual_unrollILi128ELi8EZNS0_22gpu_kernel_impl_nocastINS0_13BUnaryFunctorIN3c104HalfES5_S5_ZNS0_20copysign_kernel_cudaERNS_18TensorIteratorBaseEEUlS5_S5_E_EEEEvS7_RKT_EUlibE_EEviT1_
		.amdhsa_group_segment_fixed_size 0
		.amdhsa_private_segment_fixed_size 0
		.amdhsa_kernarg_size 360
		.amdhsa_user_sgpr_count 6
		.amdhsa_user_sgpr_private_segment_buffer 1
		.amdhsa_user_sgpr_dispatch_ptr 0
		.amdhsa_user_sgpr_queue_ptr 0
		.amdhsa_user_sgpr_kernarg_segment_ptr 1
		.amdhsa_user_sgpr_dispatch_id 0
		.amdhsa_user_sgpr_flat_scratch_init 0
		.amdhsa_user_sgpr_kernarg_preload_length 0
		.amdhsa_user_sgpr_kernarg_preload_offset 0
		.amdhsa_user_sgpr_private_segment_size 0
		.amdhsa_uses_dynamic_stack 0
		.amdhsa_system_sgpr_private_segment_wavefront_offset 0
		.amdhsa_system_sgpr_workgroup_id_x 1
		.amdhsa_system_sgpr_workgroup_id_y 0
		.amdhsa_system_sgpr_workgroup_id_z 0
		.amdhsa_system_sgpr_workgroup_info 0
		.amdhsa_system_vgpr_workitem_id 0
		.amdhsa_next_free_vgpr 34
		.amdhsa_next_free_sgpr 62
		.amdhsa_accum_offset 36
		.amdhsa_reserve_vcc 1
		.amdhsa_reserve_flat_scratch 0
		.amdhsa_float_round_mode_32 0
		.amdhsa_float_round_mode_16_64 0
		.amdhsa_float_denorm_mode_32 3
		.amdhsa_float_denorm_mode_16_64 3
		.amdhsa_dx10_clamp 1
		.amdhsa_ieee_mode 1
		.amdhsa_fp16_overflow 0
		.amdhsa_tg_split 0
		.amdhsa_exception_fp_ieee_invalid_op 0
		.amdhsa_exception_fp_denorm_src 0
		.amdhsa_exception_fp_ieee_div_zero 0
		.amdhsa_exception_fp_ieee_overflow 0
		.amdhsa_exception_fp_ieee_underflow 0
		.amdhsa_exception_fp_ieee_inexact 0
		.amdhsa_exception_int_div_zero 0
	.end_amdhsa_kernel
	.section	.text._ZN2at6native32elementwise_kernel_manual_unrollILi128ELi8EZNS0_22gpu_kernel_impl_nocastINS0_13BUnaryFunctorIN3c104HalfES5_S5_ZNS0_20copysign_kernel_cudaERNS_18TensorIteratorBaseEEUlS5_S5_E_EEEEvS7_RKT_EUlibE_EEviT1_,"axG",@progbits,_ZN2at6native32elementwise_kernel_manual_unrollILi128ELi8EZNS0_22gpu_kernel_impl_nocastINS0_13BUnaryFunctorIN3c104HalfES5_S5_ZNS0_20copysign_kernel_cudaERNS_18TensorIteratorBaseEEUlS5_S5_E_EEEEvS7_RKT_EUlibE_EEviT1_,comdat
.Lfunc_end13:
	.size	_ZN2at6native32elementwise_kernel_manual_unrollILi128ELi8EZNS0_22gpu_kernel_impl_nocastINS0_13BUnaryFunctorIN3c104HalfES5_S5_ZNS0_20copysign_kernel_cudaERNS_18TensorIteratorBaseEEUlS5_S5_E_EEEEvS7_RKT_EUlibE_EEviT1_, .Lfunc_end13-_ZN2at6native32elementwise_kernel_manual_unrollILi128ELi8EZNS0_22gpu_kernel_impl_nocastINS0_13BUnaryFunctorIN3c104HalfES5_S5_ZNS0_20copysign_kernel_cudaERNS_18TensorIteratorBaseEEUlS5_S5_E_EEEEvS7_RKT_EUlibE_EEviT1_
                                        ; -- End function
	.section	.AMDGPU.csdata,"",@progbits
; Kernel info:
; codeLenInByte = 11636
; NumSgprs: 66
; NumVgprs: 34
; NumAgprs: 0
; TotalNumVgprs: 34
; ScratchSize: 0
; MemoryBound: 0
; FloatMode: 240
; IeeeMode: 1
; LDSByteSize: 0 bytes/workgroup (compile time only)
; SGPRBlocks: 8
; VGPRBlocks: 4
; NumSGPRsForWavesPerEU: 66
; NumVGPRsForWavesPerEU: 34
; AccumOffset: 36
; Occupancy: 8
; WaveLimiterHint : 1
; COMPUTE_PGM_RSRC2:SCRATCH_EN: 0
; COMPUTE_PGM_RSRC2:USER_SGPR: 6
; COMPUTE_PGM_RSRC2:TRAP_HANDLER: 0
; COMPUTE_PGM_RSRC2:TGID_X_EN: 1
; COMPUTE_PGM_RSRC2:TGID_Y_EN: 0
; COMPUTE_PGM_RSRC2:TGID_Z_EN: 0
; COMPUTE_PGM_RSRC2:TIDIG_COMP_CNT: 0
; COMPUTE_PGM_RSRC3_GFX90A:ACCUM_OFFSET: 8
; COMPUTE_PGM_RSRC3_GFX90A:TG_SPLIT: 0
	.section	.text._ZN2at6native32elementwise_kernel_manual_unrollILi128ELi4EZNS0_15gpu_kernel_implINS0_13BUnaryFunctorIN3c104HalfES5_S5_ZNS0_20copysign_kernel_cudaERNS_18TensorIteratorBaseEEUlS5_S5_E_EEEEvS7_RKT_EUlibE_EEviT1_,"axG",@progbits,_ZN2at6native32elementwise_kernel_manual_unrollILi128ELi4EZNS0_15gpu_kernel_implINS0_13BUnaryFunctorIN3c104HalfES5_S5_ZNS0_20copysign_kernel_cudaERNS_18TensorIteratorBaseEEUlS5_S5_E_EEEEvS7_RKT_EUlibE_EEviT1_,comdat
	.globl	_ZN2at6native32elementwise_kernel_manual_unrollILi128ELi4EZNS0_15gpu_kernel_implINS0_13BUnaryFunctorIN3c104HalfES5_S5_ZNS0_20copysign_kernel_cudaERNS_18TensorIteratorBaseEEUlS5_S5_E_EEEEvS7_RKT_EUlibE_EEviT1_ ; -- Begin function _ZN2at6native32elementwise_kernel_manual_unrollILi128ELi4EZNS0_15gpu_kernel_implINS0_13BUnaryFunctorIN3c104HalfES5_S5_ZNS0_20copysign_kernel_cudaERNS_18TensorIteratorBaseEEUlS5_S5_E_EEEEvS7_RKT_EUlibE_EEviT1_
	.p2align	8
	.type	_ZN2at6native32elementwise_kernel_manual_unrollILi128ELi4EZNS0_15gpu_kernel_implINS0_13BUnaryFunctorIN3c104HalfES5_S5_ZNS0_20copysign_kernel_cudaERNS_18TensorIteratorBaseEEUlS5_S5_E_EEEEvS7_RKT_EUlibE_EEviT1_,@function
_ZN2at6native32elementwise_kernel_manual_unrollILi128ELi4EZNS0_15gpu_kernel_implINS0_13BUnaryFunctorIN3c104HalfES5_S5_ZNS0_20copysign_kernel_cudaERNS_18TensorIteratorBaseEEUlS5_S5_E_EEEEvS7_RKT_EUlibE_EEviT1_: ; @_ZN2at6native32elementwise_kernel_manual_unrollILi128ELi4EZNS0_15gpu_kernel_implINS0_13BUnaryFunctorIN3c104HalfES5_S5_ZNS0_20copysign_kernel_cudaERNS_18TensorIteratorBaseEEUlS5_S5_E_EEEEvS7_RKT_EUlibE_EEviT1_
; %bb.0:
	s_load_dwordx8 s[8:15], s[4:5], 0x8
	s_load_dword s33, s[4:5], 0x0
	v_lshl_or_b32 v2, s6, 9, v0
	v_or_b32_e32 v0, 0x180, v2
	s_mov_b64 s[2:3], 0
	s_waitcnt lgkmcnt(0)
	s_lshr_b32 s14, s14, 16
	v_lshrrev_b16_e64 v3, 8, s15
	v_cmp_le_i32_e32 vcc, s33, v0
	s_mov_b64 s[6:7], 0
	s_and_saveexec_b64 s[0:1], vcc
	s_xor_b64 s[4:5], exec, s[0:1]
	s_cbranch_execz .LBB14_1027
; %bb.1:
	v_mov_b32_e32 v0, 0xffff8000
	v_and_b32_e32 v4, s14, v0
	v_cmp_gt_i32_e32 vcc, s33, v2
	s_mov_b64 s[20:21], -1
	s_mov_b64 s[22:23], 0
	s_mov_b64 s[16:17], 0
	s_and_saveexec_b64 s[18:19], vcc
	s_cbranch_execz .LBB14_252
; %bb.2:
	v_mul_lo_u32 v0, v2, s13
	v_ashrrev_i32_e32 v1, 31, v0
	v_mov_b32_e32 v5, s11
	v_add_co_u32_e32 v0, vcc, s10, v0
	v_addc_co_u32_e32 v1, vcc, v5, v1, vcc
	v_cmp_gt_i16_e32 vcc, 11, v3
	s_cbranch_vccnz .LBB14_9
; %bb.3:
	v_cmp_lt_i16_e32 vcc, 25, v3
	s_cbranch_vccz .LBB14_18
; %bb.4:
	v_cmp_lt_i16_e32 vcc, 28, v3
	s_cbranch_vccz .LBB14_22
	;; [unrolled: 3-line block ×4, first 2 shown]
; %bb.7:
	v_cmp_eq_u16_e32 vcc, 46, v3
	s_cbranch_vccz .LBB14_28
; %bb.8:
	global_load_dword v5, v[0:1], off
	s_mov_b64 s[0:1], -1
	s_waitcnt vmcnt(0)
	v_lshlrev_b32_e32 v5, 16, v5
	v_cvt_f16_f32_e32 v5, v5
	s_branch .LBB14_30
.LBB14_9:
                                        ; implicit-def: $vgpr5
	s_mov_b64 s[0:1], 0
	s_cbranch_execnz .LBB14_203
.LBB14_10:
	s_andn2_b64 vcc, exec, s[0:1]
	s_cbranch_vccnz .LBB14_250
.LBB14_11:
	v_mul_lo_u32 v0, v2, s12
	v_ashrrev_i32_e32 v1, 31, v0
	v_mov_b32_e32 v7, s9
	v_add_co_u32_e32 v0, vcc, s8, v0
	v_addc_co_u32_e32 v1, vcc, v7, v1, vcc
	v_mov_b32_e32 v7, 11
	s_waitcnt vmcnt(0)
	v_and_b32_e32 v6, 0x7fff, v5
	v_cmp_lt_i16_sdwa s[0:1], s15, v7 src0_sel:BYTE_0 src1_sel:DWORD
	v_or_b32_e32 v5, v6, v4
	s_and_b64 vcc, exec, s[0:1]
	s_cbranch_vccnz .LBB14_19
; %bb.12:
	v_mov_b32_e32 v7, 25
	v_cmp_gt_i16_sdwa s[0:1], s15, v7 src0_sel:BYTE_0 src1_sel:DWORD
	s_and_b64 vcc, exec, s[0:1]
	s_cbranch_vccz .LBB14_23
; %bb.13:
	v_mov_b32_e32 v7, 28
	v_cmp_gt_i16_sdwa s[0:1], s15, v7 src0_sel:BYTE_0 src1_sel:DWORD
	s_and_b64 vcc, exec, s[0:1]
	s_cbranch_vccz .LBB14_25
	;; [unrolled: 5-line block ×4, first 2 shown]
; %bb.16:
	v_mov_b32_e32 v7, 46
	v_cmp_eq_u16_sdwa s[6:7], s15, v7 src0_sel:BYTE_0 src1_sel:DWORD
	s_mov_b64 s[20:21], 0
	s_mov_b64 s[0:1], -1
	s_and_b64 vcc, exec, s[6:7]
	s_mov_b64 s[6:7], 0
	s_cbranch_vccz .LBB14_34
; %bb.17:
	v_cvt_f32_f16_e32 v7, v5
	s_movk_i32 s0, 0x7fff
	v_mov_b32_e32 v8, 0x7fc0
	v_cmp_o_f16_e32 vcc, v5, v5
	v_bfe_u32 v9, v7, 16, 1
	v_add3_u32 v7, v7, v9, s0
	v_lshrrev_b32_e32 v7, 16, v7
	v_cndmask_b32_e32 v7, v8, v7, vcc
	global_store_dword v[0:1], v7, off
	s_mov_b64 s[6:7], -1
	s_mov_b64 s[0:1], 0
	s_branch .LBB14_34
.LBB14_18:
	s_mov_b64 s[0:1], 0
                                        ; implicit-def: $vgpr5
	s_cbranch_execnz .LBB14_168
	s_branch .LBB14_202
.LBB14_19:
	s_mov_b64 s[0:1], 0
	s_mov_b64 s[6:7], 0
	s_cbranch_execnz .LBB14_103
.LBB14_20:
	s_andn2_b64 vcc, exec, s[6:7]
	s_cbranch_vccnz .LBB14_141
.LBB14_21:
	v_add_u32_e32 v2, 0x80, v2
	s_mov_b64 s[20:21], -1
	s_branch .LBB14_251
.LBB14_22:
	s_mov_b64 s[6:7], -1
	s_mov_b64 s[0:1], 0
                                        ; implicit-def: $vgpr5
	s_branch .LBB14_149
.LBB14_23:
	s_mov_b64 s[20:21], -1
	s_mov_b64 s[0:1], 0
	s_mov_b64 s[6:7], 0
	s_branch .LBB14_61
.LBB14_24:
	s_mov_b64 s[6:7], -1
	s_mov_b64 s[0:1], 0
                                        ; implicit-def: $vgpr5
	s_branch .LBB14_144
.LBB14_25:
	s_mov_b64 s[20:21], -1
	s_mov_b64 s[0:1], 0
	s_mov_b64 s[6:7], 0
	s_branch .LBB14_44
.LBB14_26:
	s_mov_b64 s[6:7], -1
	s_branch .LBB14_29
.LBB14_27:
	s_mov_b64 s[20:21], -1
	s_mov_b64 s[0:1], 0
	s_mov_b64 s[6:7], 0
	s_branch .LBB14_40
.LBB14_28:
	s_mov_b64 s[16:17], -1
.LBB14_29:
	s_mov_b64 s[0:1], 0
                                        ; implicit-def: $vgpr5
.LBB14_30:
	s_and_b64 vcc, exec, s[6:7]
	s_cbranch_vccz .LBB14_143
; %bb.31:
	v_cmp_eq_u16_e32 vcc, 44, v3
	s_cbranch_vccz .LBB14_142
; %bb.32:
	global_load_ubyte v5, v[0:1], off
	s_movk_i32 s6, 0xff
	v_mov_b32_e32 v7, 0x7e00
	s_mov_b64 s[0:1], -1
	s_mov_b64 s[16:17], 0
	s_waitcnt vmcnt(0)
	v_lshlrev_b32_e32 v6, 23, v5
	v_cvt_f16_f32_e32 v6, v6
	v_cmp_ne_u32_e32 vcc, s6, v5
	v_cndmask_b32_e32 v6, v7, v6, vcc
	v_cmp_ne_u32_e32 vcc, 0, v5
	v_cndmask_b32_e32 v5, 0, v6, vcc
	s_branch .LBB14_143
.LBB14_33:
	s_mov_b64 s[20:21], -1
	s_mov_b64 s[0:1], 0
	s_mov_b64 s[6:7], 0
.LBB14_34:
	s_and_b64 vcc, exec, s[20:21]
	s_cbranch_vccz .LBB14_39
; %bb.35:
	v_mov_b32_e32 v7, 44
	v_cmp_eq_u16_sdwa s[20:21], s15, v7 src0_sel:BYTE_0 src1_sel:DWORD
	s_mov_b64 s[0:1], -1
	s_and_b64 vcc, exec, s[20:21]
	s_cbranch_vccz .LBB14_39
; %bb.36:
	v_cvt_f32_f16_e32 v7, v5
	s_movk_i32 s0, 0xff
	v_mov_b32_e32 v9, 0xff
	v_bfe_u32 v8, v7, 23, 8
	v_cmp_ne_u32_e32 vcc, s0, v8
	s_and_saveexec_b64 s[6:7], vcc
; %bb.37:
	s_mov_b32 s0, 0x3fffff
	v_lshrrev_b32_e32 v9, 23, v7
	v_and_b32_e32 v10, 0x400000, v7
	v_and_or_b32 v7, v7, s0, v8
	v_cmp_ne_u32_e32 vcc, 0, v10
	v_cmp_ne_u32_e64 s[0:1], 0, v7
	s_and_b64 s[0:1], vcc, s[0:1]
	v_cndmask_b32_e64 v7, 0, 1, s[0:1]
	v_add_u32_e32 v9, v9, v7
; %bb.38:
	s_or_b64 exec, exec, s[6:7]
	s_mov_b64 s[6:7], -1
	s_mov_b64 s[0:1], 0
	global_store_byte v[0:1], v9, off
.LBB14_39:
	s_mov_b64 s[20:21], 0
.LBB14_40:
	s_and_b64 vcc, exec, s[20:21]
	s_cbranch_vccz .LBB14_43
; %bb.41:
	v_mov_b32_e32 v7, 29
	v_cmp_eq_u16_sdwa s[20:21], s15, v7 src0_sel:BYTE_0 src1_sel:DWORD
	s_mov_b64 s[0:1], -1
	s_and_b64 vcc, exec, s[20:21]
	s_cbranch_vccz .LBB14_43
; %bb.42:
	v_cvt_f32_f16_e32 v7, v5
	v_mov_b32_e32 v9, 0
	s_mov_b64 s[6:7], -1
	s_mov_b64 s[0:1], 0
	v_cvt_u32_f32_e32 v8, v7
	s_mov_b64 s[20:21], 0
	global_store_dwordx2 v[0:1], v[8:9], off
	s_branch .LBB14_44
.LBB14_43:
	s_mov_b64 s[20:21], 0
.LBB14_44:
	s_and_b64 vcc, exec, s[20:21]
	s_cbranch_vccz .LBB14_60
; %bb.45:
	v_mov_b32_e32 v7, 27
	v_cmp_lt_i16_sdwa s[20:21], s15, v7 src0_sel:BYTE_0 src1_sel:DWORD
	s_mov_b64 s[6:7], -1
	s_and_b64 vcc, exec, s[20:21]
	s_cbranch_vccnz .LBB14_51
; %bb.46:
	v_cmp_gt_i16_sdwa s[20:21], s15, v7 src0_sel:BYTE_0 src1_sel:DWORD
	s_and_b64 vcc, exec, s[20:21]
	s_cbranch_vccz .LBB14_48
; %bb.47:
	v_cvt_f32_f16_e32 v7, v5
	s_mov_b64 s[6:7], 0
	v_cvt_u32_f32_e32 v7, v7
	global_store_dword v[0:1], v7, off
.LBB14_48:
	s_andn2_b64 vcc, exec, s[6:7]
	s_cbranch_vccnz .LBB14_50
; %bb.49:
	v_cvt_u16_f16_e32 v7, v5
	global_store_short v[0:1], v7, off
.LBB14_50:
	s_mov_b64 s[6:7], 0
.LBB14_51:
	s_andn2_b64 vcc, exec, s[6:7]
	s_cbranch_vccnz .LBB14_59
; %bb.52:
	v_cvt_f32_f16_e32 v7, v5
	s_mov_b32 s6, 0x43800000
	v_mov_b32_e32 v9, 0x80
	v_and_b32_e32 v8, 0x7fffffff, v7
	v_cmp_gt_u32_e32 vcc, s6, v8
	s_and_saveexec_b64 s[6:7], vcc
	s_cbranch_execz .LBB14_58
; %bb.53:
	s_mov_b32 s20, 0x3bffffff
	v_cmp_lt_u32_e32 vcc, s20, v8
	s_mov_b64 s[20:21], 0
                                        ; implicit-def: $vgpr8
	s_and_saveexec_b64 s[24:25], vcc
	s_xor_b64 s[24:25], exec, s[24:25]
	s_cbranch_execz .LBB14_279
; %bb.54:
	v_bfe_u32 v8, v7, 20, 1
	s_mov_b32 s26, 0x487ffff
	v_add3_u32 v8, v7, v8, s26
	s_mov_b64 s[20:21], exec
	v_lshrrev_b32_e32 v8, 20, v8
	s_or_saveexec_b64 s[24:25], s[24:25]
                                        ; implicit-def: $sgpr26
	s_xor_b64 exec, exec, s[24:25]
	s_cbranch_execnz .LBB14_280
.LBB14_55:
	s_or_b64 exec, exec, s[24:25]
	v_mov_b32_e32 v9, s26
	s_and_saveexec_b64 s[24:25], s[20:21]
.LBB14_56:
	v_lshrrev_b32_e32 v7, 24, v7
	s_movk_i32 s20, 0x80
	v_and_or_b32 v9, v7, s20, v8
.LBB14_57:
	s_or_b64 exec, exec, s[24:25]
.LBB14_58:
	s_or_b64 exec, exec, s[6:7]
	global_store_byte v[0:1], v9, off
.LBB14_59:
	s_mov_b64 s[6:7], -1
.LBB14_60:
	s_mov_b64 s[20:21], 0
.LBB14_61:
	s_and_b64 vcc, exec, s[20:21]
	s_cbranch_vccz .LBB14_102
; %bb.62:
	v_mov_b32_e32 v7, 22
	v_cmp_gt_i16_sdwa s[24:25], s15, v7 src0_sel:BYTE_0 src1_sel:DWORD
	s_mov_b64 s[20:21], -1
	s_and_b64 vcc, exec, s[24:25]
	s_cbranch_vccz .LBB14_94
; %bb.63:
	v_mov_b32_e32 v7, 24
	v_cmp_lt_i16_sdwa s[20:21], s15, v7 src0_sel:BYTE_0 src1_sel:DWORD
	s_mov_b64 s[6:7], -1
	s_and_b64 vcc, exec, s[20:21]
	s_cbranch_vccnz .LBB14_83
; %bb.64:
	v_cmp_gt_i16_sdwa s[20:21], s15, v7 src0_sel:BYTE_0 src1_sel:DWORD
	s_and_b64 vcc, exec, s[20:21]
	s_cbranch_vccz .LBB14_72
; %bb.65:
	v_cvt_f32_f16_e32 v7, v5
	s_mov_b32 s6, 0x47800000
	v_mov_b32_e32 v9, 0x80
	v_and_b32_e32 v8, 0x7fffffff, v7
	v_cmp_gt_u32_e32 vcc, s6, v8
	s_and_saveexec_b64 s[6:7], vcc
	s_cbranch_execz .LBB14_71
; %bb.66:
	s_mov_b32 s20, 0x37ffffff
	v_cmp_lt_u32_e32 vcc, s20, v8
	s_mov_b64 s[20:21], 0
                                        ; implicit-def: $vgpr8
	s_and_saveexec_b64 s[24:25], vcc
	s_xor_b64 s[24:25], exec, s[24:25]
	s_cbranch_execz .LBB14_283
; %bb.67:
	v_bfe_u32 v8, v7, 21, 1
	s_mov_b32 s26, 0x88fffff
	v_add3_u32 v8, v7, v8, s26
	s_mov_b64 s[20:21], exec
	v_lshrrev_b32_e32 v8, 21, v8
	s_or_saveexec_b64 s[24:25], s[24:25]
                                        ; implicit-def: $sgpr26
	s_xor_b64 exec, exec, s[24:25]
	s_cbranch_execnz .LBB14_284
.LBB14_68:
	s_or_b64 exec, exec, s[24:25]
	v_mov_b32_e32 v9, s26
	s_and_saveexec_b64 s[24:25], s[20:21]
.LBB14_69:
	v_lshrrev_b32_e32 v7, 24, v7
	s_movk_i32 s20, 0x80
	v_and_or_b32 v9, v7, s20, v8
.LBB14_70:
	s_or_b64 exec, exec, s[24:25]
.LBB14_71:
	s_or_b64 exec, exec, s[6:7]
	s_mov_b64 s[6:7], 0
	global_store_byte v[0:1], v9, off
.LBB14_72:
	s_and_b64 vcc, exec, s[6:7]
	s_cbranch_vccz .LBB14_82
; %bb.73:
	v_cvt_f32_f16_e32 v7, v5
	s_mov_b32 s6, 0x43f00000
                                        ; implicit-def: $vgpr8
	v_and_b32_e32 v9, 0x7fffffff, v7
	v_cmp_gt_u32_e32 vcc, s6, v9
	s_and_saveexec_b64 s[6:7], vcc
	s_xor_b64 s[6:7], exec, s[6:7]
	s_cbranch_execz .LBB14_79
; %bb.74:
	s_mov_b32 s20, 0x3c7fffff
	v_cmp_lt_u32_e32 vcc, s20, v9
                                        ; implicit-def: $vgpr8
	s_and_saveexec_b64 s[20:21], vcc
	s_xor_b64 s[20:21], exec, s[20:21]
; %bb.75:
	v_bfe_u32 v8, v7, 20, 1
	s_mov_b32 s24, 0x407ffff
	v_add3_u32 v8, v7, v8, s24
	v_lshrrev_b32_e32 v9, 20, v8
	v_and_b32_e32 v8, 0xff00000, v8
	s_mov_b32 s24, 0x7f00000
	v_mov_b32_e32 v10, 0x7e
	v_cmp_ne_u32_e32 vcc, s24, v8
	v_cndmask_b32_e32 v8, v10, v9, vcc
; %bb.76:
	s_andn2_saveexec_b64 s[20:21], s[20:21]
; %bb.77:
	s_mov_b32 s24, 0x46800000
	v_add_f32_e64 v8, |v7|, s24
; %bb.78:
	s_or_b64 exec, exec, s[20:21]
                                        ; implicit-def: $vgpr9
.LBB14_79:
	s_andn2_saveexec_b64 s[6:7], s[6:7]
; %bb.80:
	s_mov_b32 s20, 0x7f800000
	v_mov_b32_e32 v8, 0x7e
	v_mov_b32_e32 v10, 0x7f
	v_cmp_lt_u32_e32 vcc, s20, v9
	v_cndmask_b32_e32 v8, v8, v10, vcc
; %bb.81:
	s_or_b64 exec, exec, s[6:7]
	v_lshrrev_b32_e32 v7, 24, v7
	s_movk_i32 s6, 0x80
	v_and_or_b32 v7, v7, s6, v8
	global_store_byte v[0:1], v7, off
.LBB14_82:
	s_mov_b64 s[6:7], 0
.LBB14_83:
	s_andn2_b64 vcc, exec, s[6:7]
	s_cbranch_vccnz .LBB14_93
; %bb.84:
	v_cvt_f32_f16_e32 v7, v5
	s_mov_b32 s6, 0x47800000
                                        ; implicit-def: $vgpr8
	v_and_b32_e32 v9, 0x7fffffff, v7
	v_cmp_gt_u32_e32 vcc, s6, v9
	s_and_saveexec_b64 s[6:7], vcc
	s_xor_b64 s[6:7], exec, s[6:7]
	s_cbranch_execz .LBB14_90
; %bb.85:
	s_mov_b32 s20, 0x387fffff
	v_cmp_lt_u32_e32 vcc, s20, v9
                                        ; implicit-def: $vgpr8
	s_and_saveexec_b64 s[20:21], vcc
	s_xor_b64 s[20:21], exec, s[20:21]
; %bb.86:
	v_bfe_u32 v8, v7, 21, 1
	s_mov_b32 s24, 0x80fffff
	v_add3_u32 v8, v7, v8, s24
	v_lshrrev_b32_e32 v8, 21, v8
; %bb.87:
	s_andn2_saveexec_b64 s[20:21], s[20:21]
; %bb.88:
	s_mov_b32 s24, 0x43000000
	v_add_f32_e64 v8, |v7|, s24
; %bb.89:
	s_or_b64 exec, exec, s[20:21]
                                        ; implicit-def: $vgpr9
.LBB14_90:
	s_andn2_saveexec_b64 s[6:7], s[6:7]
; %bb.91:
	s_mov_b32 s20, 0x7f800000
	v_mov_b32_e32 v8, 0x7c
	v_mov_b32_e32 v10, 0x7f
	v_cmp_lt_u32_e32 vcc, s20, v9
	v_cndmask_b32_e32 v8, v8, v10, vcc
; %bb.92:
	s_or_b64 exec, exec, s[6:7]
	v_lshrrev_b32_e32 v7, 24, v7
	s_movk_i32 s6, 0x80
	v_and_or_b32 v7, v7, s6, v8
	global_store_byte v[0:1], v7, off
.LBB14_93:
	s_mov_b64 s[20:21], 0
	s_mov_b64 s[6:7], -1
.LBB14_94:
	s_andn2_b64 vcc, exec, s[20:21]
	s_cbranch_vccnz .LBB14_102
; %bb.95:
	v_mov_b32_e32 v7, 14
	v_cmp_gt_i16_sdwa s[24:25], s15, v7 src0_sel:BYTE_0 src1_sel:DWORD
	s_mov_b64 s[20:21], -1
	s_and_b64 vcc, exec, s[24:25]
	s_cbranch_vccz .LBB14_99
; %bb.96:
	v_mov_b32_e32 v7, 15
	v_cmp_eq_u16_sdwa s[20:21], s15, v7 src0_sel:BYTE_0 src1_sel:DWORD
	s_mov_b64 s[0:1], -1
	s_and_b64 vcc, exec, s[20:21]
	s_cbranch_vccz .LBB14_98
; %bb.97:
	v_cvt_f32_f16_e32 v7, v5
	s_movk_i32 s0, 0x7fff
	v_mov_b32_e32 v8, 0x7fc0
	v_cmp_o_f16_e32 vcc, v5, v5
	v_bfe_u32 v9, v7, 16, 1
	v_add3_u32 v7, v7, v9, s0
	v_lshrrev_b32_e32 v7, 16, v7
	v_cndmask_b32_e32 v7, v8, v7, vcc
	global_store_short v[0:1], v7, off
	s_mov_b64 s[6:7], -1
	s_mov_b64 s[0:1], 0
.LBB14_98:
	s_mov_b64 s[20:21], 0
.LBB14_99:
	s_and_b64 vcc, exec, s[20:21]
	s_cbranch_vccz .LBB14_102
; %bb.100:
	v_mov_b32_e32 v7, 11
	v_cmp_eq_u16_sdwa s[20:21], s15, v7 src0_sel:BYTE_0 src1_sel:DWORD
	s_mov_b64 s[0:1], -1
	s_and_b64 vcc, exec, s[20:21]
	s_cbranch_vccz .LBB14_102
; %bb.101:
	v_cmp_ne_u16_e32 vcc, 0, v6
	v_cndmask_b32_e64 v6, 0, 1, vcc
	s_mov_b64 s[6:7], -1
	s_mov_b64 s[0:1], 0
	global_store_byte v[0:1], v6, off
.LBB14_102:
	s_branch .LBB14_20
.LBB14_103:
	v_mov_b32_e32 v6, 5
	v_cmp_lt_i16_sdwa s[20:21], s15, v6 src0_sel:BYTE_0 src1_sel:DWORD
	s_mov_b64 s[6:7], -1
	s_and_b64 vcc, exec, s[20:21]
	s_cbranch_vccnz .LBB14_124
; %bb.104:
	v_mov_b32_e32 v6, 8
	v_cmp_lt_i16_sdwa s[20:21], s15, v6 src0_sel:BYTE_0 src1_sel:DWORD
	s_and_b64 vcc, exec, s[20:21]
	s_cbranch_vccnz .LBB14_114
; %bb.105:
	v_mov_b32_e32 v6, 9
	v_cmp_lt_i16_sdwa s[20:21], s15, v6 src0_sel:BYTE_0 src1_sel:DWORD
	s_and_b64 vcc, exec, s[20:21]
	s_cbranch_vccnz .LBB14_111
; %bb.106:
	v_cmp_gt_i16_sdwa s[20:21], s15, v6 src0_sel:BYTE_0 src1_sel:DWORD
	s_and_b64 vcc, exec, s[20:21]
	s_cbranch_vccz .LBB14_108
; %bb.107:
	v_cvt_f32_f16_e32 v6, v5
	v_mov_b32_e32 v8, 0
	v_mov_b32_e32 v9, v8
	s_mov_b64 s[6:7], 0
	v_cvt_f64_f32_e32 v[6:7], v6
	global_store_dwordx4 v[0:1], v[6:9], off
.LBB14_108:
	s_andn2_b64 vcc, exec, s[6:7]
	s_cbranch_vccnz .LBB14_110
; %bb.109:
	v_cvt_f32_f16_e32 v6, v5
	v_mov_b32_e32 v7, 0
	global_store_dwordx2 v[0:1], v[6:7], off
.LBB14_110:
	s_mov_b64 s[6:7], 0
.LBB14_111:
	s_andn2_b64 vcc, exec, s[6:7]
	s_cbranch_vccnz .LBB14_113
; %bb.112:
	v_and_b32_e32 v6, 0xffff, v5
	global_store_dword v[0:1], v6, off
.LBB14_113:
	s_mov_b64 s[6:7], 0
.LBB14_114:
	s_andn2_b64 vcc, exec, s[6:7]
	s_cbranch_vccnz .LBB14_123
; %bb.115:
	v_mov_b32_e32 v6, 6
	v_cmp_lt_i16_sdwa s[20:21], s15, v6 src0_sel:BYTE_0 src1_sel:DWORD
	s_mov_b64 s[6:7], -1
	s_and_b64 vcc, exec, s[20:21]
	s_cbranch_vccnz .LBB14_121
; %bb.116:
	v_cmp_gt_i16_sdwa s[20:21], s15, v6 src0_sel:BYTE_0 src1_sel:DWORD
	s_and_b64 vcc, exec, s[20:21]
	s_cbranch_vccz .LBB14_118
; %bb.117:
	v_cvt_f32_f16_e32 v6, v5
	s_mov_b64 s[6:7], 0
	v_cvt_f64_f32_e32 v[6:7], v6
	global_store_dwordx2 v[0:1], v[6:7], off
.LBB14_118:
	s_andn2_b64 vcc, exec, s[6:7]
	s_cbranch_vccnz .LBB14_120
; %bb.119:
	v_cvt_f32_f16_e32 v6, v5
	global_store_dword v[0:1], v6, off
.LBB14_120:
	s_mov_b64 s[6:7], 0
.LBB14_121:
	s_andn2_b64 vcc, exec, s[6:7]
	s_cbranch_vccnz .LBB14_123
; %bb.122:
	global_store_short v[0:1], v5, off
.LBB14_123:
	s_mov_b64 s[6:7], 0
.LBB14_124:
	s_andn2_b64 vcc, exec, s[6:7]
	s_cbranch_vccnz .LBB14_140
; %bb.125:
	v_mov_b32_e32 v6, 2
	v_cmp_lt_i16_sdwa s[20:21], s15, v6 src0_sel:BYTE_0 src1_sel:DWORD
	s_mov_b64 s[6:7], -1
	s_and_b64 vcc, exec, s[20:21]
	s_cbranch_vccnz .LBB14_135
; %bb.126:
	v_mov_b32_e32 v6, 3
	v_cmp_lt_i16_sdwa s[20:21], s15, v6 src0_sel:BYTE_0 src1_sel:DWORD
	s_and_b64 vcc, exec, s[20:21]
	s_cbranch_vccnz .LBB14_132
; %bb.127:
	v_cmp_gt_i16_sdwa s[20:21], s15, v6 src0_sel:BYTE_0 src1_sel:DWORD
	s_and_b64 vcc, exec, s[20:21]
	s_cbranch_vccz .LBB14_129
; %bb.128:
	v_cvt_f32_f16_e32 v6, v5
	s_mov_b64 s[6:7], 0
	v_cvt_i32_f32_e32 v6, v6
	v_ashrrev_i32_e32 v7, 31, v6
	global_store_dwordx2 v[0:1], v[6:7], off
.LBB14_129:
	s_andn2_b64 vcc, exec, s[6:7]
	s_cbranch_vccnz .LBB14_131
; %bb.130:
	v_cvt_f32_f16_e32 v6, v5
	v_cvt_i32_f32_e32 v6, v6
	global_store_dword v[0:1], v6, off
.LBB14_131:
	s_mov_b64 s[6:7], 0
.LBB14_132:
	s_andn2_b64 vcc, exec, s[6:7]
	s_cbranch_vccnz .LBB14_134
; %bb.133:
	v_cvt_i16_f16_e32 v6, v5
	global_store_short v[0:1], v6, off
.LBB14_134:
	s_mov_b64 s[6:7], 0
.LBB14_135:
	s_andn2_b64 vcc, exec, s[6:7]
	s_cbranch_vccnz .LBB14_140
; %bb.136:
	v_mov_b32_e32 v6, 0
	v_cmp_gt_i16_sdwa s[20:21], s15, v6 src0_sel:BYTE_0 src1_sel:DWORD
	s_mov_b64 s[6:7], -1
	s_and_b64 vcc, exec, s[20:21]
	s_cbranch_vccz .LBB14_138
; %bb.137:
	v_cvt_i16_f16_e32 v6, v5
	global_store_byte v[0:1], v6, off
	s_mov_b64 s[6:7], 0
.LBB14_138:
	s_andn2_b64 vcc, exec, s[6:7]
	s_cbranch_vccnz .LBB14_140
; %bb.139:
	v_cvt_f32_f16_e32 v5, v5
	v_cvt_i32_f32_e32 v5, v5
	global_store_byte v[0:1], v5, off
.LBB14_140:
	s_branch .LBB14_21
.LBB14_141:
	s_mov_b64 s[20:21], 0
                                        ; implicit-def: $vgpr2
	s_branch .LBB14_251
.LBB14_142:
	s_mov_b64 s[16:17], -1
                                        ; implicit-def: $vgpr5
.LBB14_143:
	s_mov_b64 s[6:7], 0
.LBB14_144:
	s_and_b64 vcc, exec, s[6:7]
	s_cbranch_vccz .LBB14_148
; %bb.145:
	v_cmp_eq_u16_e32 vcc, 29, v3
	s_cbranch_vccz .LBB14_147
; %bb.146:
	global_load_dwordx2 v[6:7], v[0:1], off
	s_mov_b64 s[0:1], -1
	s_mov_b64 s[16:17], 0
	s_mov_b64 s[6:7], 0
	s_waitcnt vmcnt(0)
	v_ffbh_u32_e32 v5, v7
	v_min_u32_e32 v5, 32, v5
	v_lshlrev_b64 v[6:7], v5, v[6:7]
	v_min_u32_e32 v6, 1, v6
	v_or_b32_e32 v6, v7, v6
	v_cvt_f32_u32_e32 v6, v6
	v_sub_u32_e32 v5, 32, v5
	v_ldexp_f32 v5, v6, v5
	v_cvt_f16_f32_e32 v5, v5
	s_branch .LBB14_149
.LBB14_147:
	s_mov_b64 s[16:17], -1
                                        ; implicit-def: $vgpr5
.LBB14_148:
	s_mov_b64 s[6:7], 0
.LBB14_149:
	s_and_b64 vcc, exec, s[6:7]
	s_cbranch_vccz .LBB14_167
; %bb.150:
	v_cmp_gt_i16_e32 vcc, 27, v3
	s_cbranch_vccnz .LBB14_153
; %bb.151:
	v_cmp_lt_i16_e32 vcc, 27, v3
	s_cbranch_vccz .LBB14_154
; %bb.152:
	global_load_dword v5, v[0:1], off
	s_mov_b64 s[0:1], 0
	s_waitcnt vmcnt(0)
	v_cvt_f32_u32_e32 v5, v5
	v_cvt_f16_f32_e32 v5, v5
	s_branch .LBB14_155
.LBB14_153:
	s_mov_b64 s[0:1], -1
                                        ; implicit-def: $vgpr5
	s_branch .LBB14_158
.LBB14_154:
	s_mov_b64 s[0:1], -1
                                        ; implicit-def: $vgpr5
.LBB14_155:
	s_andn2_b64 vcc, exec, s[0:1]
	s_cbranch_vccnz .LBB14_157
; %bb.156:
	global_load_ushort v5, v[0:1], off
	s_waitcnt vmcnt(0)
	v_cvt_f16_u16_e32 v5, v5
.LBB14_157:
	s_mov_b64 s[0:1], 0
.LBB14_158:
	s_andn2_b64 vcc, exec, s[0:1]
	s_cbranch_vccnz .LBB14_166
; %bb.159:
	global_load_ubyte v6, v[0:1], off
	s_movk_i32 s0, 0x7f
                                        ; implicit-def: $sgpr24
	s_waitcnt vmcnt(0)
	v_cmp_lt_i16_e32 vcc, s0, v6
	s_mov_b64 s[0:1], 0
	s_and_saveexec_b64 s[6:7], vcc
	s_xor_b64 s[6:7], exec, s[6:7]
	s_cbranch_execz .LBB14_179
; %bb.160:
	s_movk_i32 s0, 0x80
	v_cmp_eq_u16_e32 vcc, s0, v6
	s_mov_b64 s[0:1], -1
                                        ; implicit-def: $sgpr24
	s_and_saveexec_b64 s[20:21], vcc
; %bb.161:
	s_movk_i32 s24, 0x7e00
	s_xor_b64 s[0:1], exec, -1
; %bb.162:
	s_or_b64 exec, exec, s[20:21]
	s_and_b64 s[0:1], s[0:1], exec
	s_or_saveexec_b64 s[6:7], s[6:7]
	v_mov_b32_e32 v5, s24
	s_xor_b64 exec, exec, s[6:7]
	s_cbranch_execnz .LBB14_180
.LBB14_163:
	s_or_b64 exec, exec, s[6:7]
	s_and_saveexec_b64 s[6:7], s[0:1]
	s_cbranch_execz .LBB14_165
.LBB14_164:
	v_lshlrev_b32_e32 v5, 24, v6
	v_and_b32_e32 v6, 0xffff, v6
	v_and_b32_e32 v7, 7, v6
	v_ffbh_u32_e32 v9, v7
	v_min_u32_e32 v9, 32, v9
	v_subrev_u32_e32 v10, 28, v9
	v_bfe_u32 v8, v6, 3, 4
	v_lshlrev_b32_e32 v6, v10, v6
	v_sub_u32_e32 v9, 29, v9
	v_and_b32_e32 v6, 7, v6
	v_cmp_eq_u32_e32 vcc, 0, v8
	v_cndmask_b32_e32 v8, v8, v9, vcc
	v_cndmask_b32_e32 v6, v7, v6, vcc
	v_mov_b32_e32 v7, 0x3b800000
	v_lshlrev_b32_e32 v6, 20, v6
	v_and_b32_e32 v5, 0x80000000, v5
	v_lshl_add_u32 v7, v8, 23, v7
	v_or3_b32 v5, v5, v7, v6
	v_cvt_f16_f32_e32 v5, v5
.LBB14_165:
	s_or_b64 exec, exec, s[6:7]
.LBB14_166:
	s_mov_b64 s[0:1], -1
.LBB14_167:
	s_branch .LBB14_202
.LBB14_168:
	v_cmp_lt_i16_e32 vcc, 22, v3
	s_cbranch_vccz .LBB14_178
; %bb.169:
	v_cmp_gt_i16_e32 vcc, 24, v3
	s_cbranch_vccnz .LBB14_181
; %bb.170:
	v_cmp_lt_i16_e32 vcc, 24, v3
	s_cbranch_vccz .LBB14_182
; %bb.171:
	global_load_ubyte v6, v[0:1], off
	s_movk_i32 s0, 0x7f
                                        ; implicit-def: $sgpr24
	s_waitcnt vmcnt(0)
	v_cmp_lt_i16_e32 vcc, s0, v6
	s_mov_b64 s[0:1], 0
	s_and_saveexec_b64 s[6:7], vcc
	s_xor_b64 s[6:7], exec, s[6:7]
	s_cbranch_execz .LBB14_194
; %bb.172:
	s_movk_i32 s0, 0x80
	v_cmp_eq_u16_e32 vcc, s0, v6
	s_mov_b64 s[0:1], -1
                                        ; implicit-def: $sgpr24
	s_and_saveexec_b64 s[20:21], vcc
; %bb.173:
	s_movk_i32 s24, 0x7e00
	s_xor_b64 s[0:1], exec, -1
; %bb.174:
	s_or_b64 exec, exec, s[20:21]
	s_and_b64 s[0:1], s[0:1], exec
	s_or_saveexec_b64 s[6:7], s[6:7]
	v_mov_b32_e32 v5, s24
	s_xor_b64 exec, exec, s[6:7]
	s_cbranch_execnz .LBB14_195
.LBB14_175:
	s_or_b64 exec, exec, s[6:7]
	s_and_saveexec_b64 s[6:7], s[0:1]
	s_cbranch_execz .LBB14_177
.LBB14_176:
	v_lshlrev_b32_e32 v5, 24, v6
	v_and_b32_e32 v6, 0xffff, v6
	v_and_b32_e32 v7, 3, v6
	v_ffbh_u32_e32 v9, v7
	v_min_u32_e32 v9, 32, v9
	v_subrev_u32_e32 v10, 29, v9
	v_bfe_u32 v8, v6, 2, 5
	v_lshlrev_b32_e32 v6, v10, v6
	v_sub_u32_e32 v9, 30, v9
	v_and_b32_e32 v6, 3, v6
	v_cmp_eq_u32_e32 vcc, 0, v8
	v_cndmask_b32_e32 v8, v8, v9, vcc
	v_cndmask_b32_e32 v6, v7, v6, vcc
	v_mov_b32_e32 v7, 0x37800000
	v_lshlrev_b32_e32 v6, 21, v6
	v_and_b32_e32 v5, 0x80000000, v5
	v_lshl_add_u32 v7, v8, 23, v7
	v_or3_b32 v5, v5, v7, v6
	v_cvt_f16_f32_e32 v5, v5
.LBB14_177:
	s_or_b64 exec, exec, s[6:7]
	s_mov_b64 s[0:1], 0
	s_branch .LBB14_183
.LBB14_178:
	s_mov_b64 s[6:7], -1
                                        ; implicit-def: $vgpr5
	s_branch .LBB14_189
.LBB14_179:
	s_or_saveexec_b64 s[6:7], s[6:7]
	v_mov_b32_e32 v5, s24
	s_xor_b64 exec, exec, s[6:7]
	s_cbranch_execz .LBB14_163
.LBB14_180:
	v_cmp_ne_u16_e32 vcc, 0, v6
	s_andn2_b64 s[0:1], s[0:1], exec
	s_and_b64 s[20:21], vcc, exec
	s_or_b64 s[0:1], s[0:1], s[20:21]
	v_mov_b32_e32 v5, v6
	s_or_b64 exec, exec, s[6:7]
	s_and_saveexec_b64 s[6:7], s[0:1]
	s_cbranch_execnz .LBB14_164
	s_branch .LBB14_165
.LBB14_181:
	s_mov_b64 s[0:1], -1
                                        ; implicit-def: $vgpr5
	s_branch .LBB14_186
.LBB14_182:
	s_mov_b64 s[0:1], -1
                                        ; implicit-def: $vgpr5
.LBB14_183:
	s_and_b64 vcc, exec, s[0:1]
	s_cbranch_vccz .LBB14_185
; %bb.184:
	global_load_ubyte v5, v[0:1], off
	s_mov_b32 s0, 0x7f800000
	s_waitcnt vmcnt(0)
	v_lshlrev_b32_e32 v5, 24, v5
	v_and_b32_e32 v6, 0x7f000000, v5
	v_ffbh_u32_e32 v7, v6
	v_min_u32_e32 v7, 32, v7
	v_sub_u32_e64 v7, v7, 4 clamp
	v_lshlrev_b32_e32 v9, v7, v6
	v_lshlrev_b32_e32 v7, 23, v7
	v_lshrrev_b32_e32 v9, 4, v9
	v_add_u32_e32 v8, 0x1000000, v6
	v_sub_u32_e32 v7, v9, v7
	v_ashrrev_i32_e32 v8, 8, v8
	v_add_u32_e32 v7, 0x3c000000, v7
	v_and_or_b32 v7, v8, s0, v7
	v_cmp_ne_u32_e32 vcc, 0, v6
	v_cndmask_b32_e32 v6, 0, v7, vcc
	s_brev_b32 s0, 1
	v_and_or_b32 v5, v5, s0, v6
	v_cvt_f16_f32_e32 v5, v5
.LBB14_185:
	s_mov_b64 s[0:1], 0
.LBB14_186:
	s_andn2_b64 vcc, exec, s[0:1]
	s_cbranch_vccnz .LBB14_188
; %bb.187:
	global_load_ubyte v5, v[0:1], off
	s_movk_i32 s0, 0x7f00
	s_brev_b32 s1, 16
	s_waitcnt vmcnt(0)
	v_lshlrev_b16_e32 v6, 8, v5
	v_lshlrev_b32_e32 v5, 25, v5
	v_lshrrev_b32_e32 v7, 4, v5
	v_and_or_b32 v8, v6, s0, 0.5
	v_or_b32_e32 v7, 0x70000000, v7
	v_add_f32_e32 v8, -0.5, v8
	v_mul_f32_e32 v7, 0x7800000, v7
	v_cmp_gt_u32_e32 vcc, s1, v5
	v_bfe_i32 v6, v6, 0, 16
	v_cndmask_b32_e32 v5, v7, v8, vcc
	s_brev_b32 s0, 1
	v_and_or_b32 v5, v6, s0, v5
	v_cvt_f16_f32_e32 v5, v5
.LBB14_188:
	s_mov_b64 s[6:7], 0
	s_mov_b64 s[0:1], -1
.LBB14_189:
	s_andn2_b64 vcc, exec, s[6:7]
	s_cbranch_vccnz .LBB14_202
; %bb.190:
	v_cmp_lt_i16_e32 vcc, 14, v3
	s_cbranch_vccz .LBB14_193
; %bb.191:
	v_cmp_eq_u16_e32 vcc, 15, v3
	s_cbranch_vccz .LBB14_196
; %bb.192:
	global_load_ushort v5, v[0:1], off
	s_mov_b64 s[0:1], -1
	s_mov_b64 s[16:17], 0
	s_waitcnt vmcnt(0)
	v_lshlrev_b32_e32 v5, 16, v5
	v_cvt_f16_f32_e32 v5, v5
	s_branch .LBB14_197
.LBB14_193:
	s_mov_b64 s[6:7], -1
                                        ; implicit-def: $vgpr5
	s_branch .LBB14_198
.LBB14_194:
	s_or_saveexec_b64 s[6:7], s[6:7]
	v_mov_b32_e32 v5, s24
	s_xor_b64 exec, exec, s[6:7]
	s_cbranch_execz .LBB14_175
.LBB14_195:
	v_cmp_ne_u16_e32 vcc, 0, v6
	s_andn2_b64 s[0:1], s[0:1], exec
	s_and_b64 s[20:21], vcc, exec
	s_or_b64 s[0:1], s[0:1], s[20:21]
	v_mov_b32_e32 v5, v6
	s_or_b64 exec, exec, s[6:7]
	s_and_saveexec_b64 s[6:7], s[0:1]
	s_cbranch_execnz .LBB14_176
	s_branch .LBB14_177
.LBB14_196:
	s_mov_b64 s[16:17], -1
                                        ; implicit-def: $vgpr5
.LBB14_197:
	s_mov_b64 s[6:7], 0
.LBB14_198:
	s_and_b64 vcc, exec, s[6:7]
	s_cbranch_vccz .LBB14_202
; %bb.199:
	v_cmp_eq_u16_e32 vcc, 11, v3
	s_cbranch_vccz .LBB14_201
; %bb.200:
	global_load_ubyte v5, v[0:1], off
	v_mov_b32_e32 v6, 0x3c00
	s_mov_b64 s[0:1], -1
	s_mov_b64 s[16:17], 0
	s_waitcnt vmcnt(0)
	v_cmp_ne_u16_e32 vcc, 0, v5
	v_cndmask_b32_e32 v5, 0, v6, vcc
	s_branch .LBB14_202
.LBB14_201:
	s_mov_b64 s[16:17], -1
                                        ; implicit-def: $vgpr5
.LBB14_202:
	s_branch .LBB14_10
.LBB14_203:
	v_cmp_gt_i16_e32 vcc, 5, v3
	s_cbranch_vccnz .LBB14_208
; %bb.204:
	v_cmp_gt_i16_e32 vcc, 8, v3
	s_cbranch_vccnz .LBB14_209
; %bb.205:
	;; [unrolled: 3-line block ×3, first 2 shown]
	v_cmp_lt_i16_e32 vcc, 9, v3
	s_cbranch_vccz .LBB14_211
; %bb.207:
	global_load_dwordx2 v[6:7], v[0:1], off
	s_mov_b64 s[0:1], 0
	s_waitcnt vmcnt(0)
	v_cvt_f32_f64_e32 v5, v[6:7]
	v_cvt_f16_f32_e32 v5, v5
	s_branch .LBB14_212
.LBB14_208:
                                        ; implicit-def: $vgpr5
	s_branch .LBB14_230
.LBB14_209:
	s_mov_b64 s[0:1], -1
                                        ; implicit-def: $vgpr5
	s_branch .LBB14_218
.LBB14_210:
	s_mov_b64 s[0:1], -1
                                        ; implicit-def: $vgpr5
	s_branch .LBB14_215
.LBB14_211:
	s_mov_b64 s[0:1], -1
                                        ; implicit-def: $vgpr5
.LBB14_212:
	s_andn2_b64 vcc, exec, s[0:1]
	s_cbranch_vccnz .LBB14_214
; %bb.213:
	global_load_dword v5, v[0:1], off
	s_waitcnt vmcnt(0)
	v_cvt_f16_f32_e32 v5, v5
.LBB14_214:
	s_mov_b64 s[0:1], 0
.LBB14_215:
	s_andn2_b64 vcc, exec, s[0:1]
	s_cbranch_vccnz .LBB14_217
; %bb.216:
	global_load_dword v5, v[0:1], off
.LBB14_217:
	s_mov_b64 s[0:1], 0
.LBB14_218:
	s_andn2_b64 vcc, exec, s[0:1]
	s_cbranch_vccnz .LBB14_229
; %bb.219:
	v_cmp_gt_i16_e32 vcc, 6, v3
	s_cbranch_vccnz .LBB14_222
; %bb.220:
	v_cmp_lt_i16_e32 vcc, 6, v3
	s_cbranch_vccz .LBB14_223
; %bb.221:
	global_load_dwordx2 v[6:7], v[0:1], off
	s_mov_b64 s[0:1], 0
	s_waitcnt vmcnt(0)
	v_cvt_f32_f64_e32 v5, v[6:7]
	v_cvt_f16_f32_e32 v5, v5
	s_branch .LBB14_224
.LBB14_222:
	s_mov_b64 s[0:1], -1
                                        ; implicit-def: $vgpr5
	s_branch .LBB14_227
.LBB14_223:
	s_mov_b64 s[0:1], -1
                                        ; implicit-def: $vgpr5
.LBB14_224:
	s_andn2_b64 vcc, exec, s[0:1]
	s_cbranch_vccnz .LBB14_226
; %bb.225:
	global_load_dword v5, v[0:1], off
	s_waitcnt vmcnt(0)
	v_cvt_f16_f32_e32 v5, v5
.LBB14_226:
	s_mov_b64 s[0:1], 0
.LBB14_227:
	s_andn2_b64 vcc, exec, s[0:1]
	s_cbranch_vccnz .LBB14_229
; %bb.228:
	global_load_ushort v5, v[0:1], off
.LBB14_229:
	s_cbranch_execnz .LBB14_249
.LBB14_230:
	v_cmp_gt_i16_e32 vcc, 2, v3
	s_cbranch_vccnz .LBB14_234
; %bb.231:
	v_cmp_gt_i16_e32 vcc, 3, v3
	s_cbranch_vccnz .LBB14_235
; %bb.232:
	v_cmp_lt_i16_e32 vcc, 3, v3
	s_cbranch_vccz .LBB14_236
; %bb.233:
	global_load_dwordx2 v[6:7], v[0:1], off
	s_mov_b64 s[0:1], 0
	s_waitcnt vmcnt(0)
	v_xor_b32_e32 v8, v6, v7
	v_ffbh_i32_e32 v5, v7
	v_ashrrev_i32_e32 v8, 31, v8
	v_add_u32_e32 v5, -1, v5
	v_add_u32_e32 v8, 32, v8
	v_min_u32_e32 v5, v5, v8
	v_lshlrev_b64 v[6:7], v5, v[6:7]
	v_min_u32_e32 v6, 1, v6
	v_or_b32_e32 v6, v7, v6
	v_cvt_f32_i32_e32 v6, v6
	v_sub_u32_e32 v5, 32, v5
	v_ldexp_f32 v5, v6, v5
	v_cvt_f16_f32_e32 v5, v5
	s_branch .LBB14_237
.LBB14_234:
	s_mov_b64 s[0:1], -1
                                        ; implicit-def: $vgpr5
	s_branch .LBB14_243
.LBB14_235:
	s_mov_b64 s[0:1], -1
                                        ; implicit-def: $vgpr5
	s_branch .LBB14_240
.LBB14_236:
	s_mov_b64 s[0:1], -1
                                        ; implicit-def: $vgpr5
.LBB14_237:
	s_andn2_b64 vcc, exec, s[0:1]
	s_cbranch_vccnz .LBB14_239
; %bb.238:
	global_load_dword v5, v[0:1], off
	s_waitcnt vmcnt(0)
	v_cvt_f32_i32_e32 v5, v5
	v_cvt_f16_f32_e32 v5, v5
.LBB14_239:
	s_mov_b64 s[0:1], 0
.LBB14_240:
	s_andn2_b64 vcc, exec, s[0:1]
	s_cbranch_vccnz .LBB14_242
; %bb.241:
	global_load_ushort v5, v[0:1], off
	s_waitcnt vmcnt(0)
	v_cvt_f16_i16_e32 v5, v5
.LBB14_242:
	s_mov_b64 s[0:1], 0
.LBB14_243:
	s_andn2_b64 vcc, exec, s[0:1]
	s_cbranch_vccnz .LBB14_249
; %bb.244:
	v_cmp_lt_i16_e32 vcc, 0, v3
	s_cbranch_vccz .LBB14_246
; %bb.245:
	global_load_sbyte v5, v[0:1], off
	s_mov_b64 s[0:1], 0
	s_waitcnt vmcnt(0)
	v_cvt_f16_i16_e32 v5, v5
	s_branch .LBB14_247
.LBB14_246:
	s_mov_b64 s[0:1], -1
                                        ; implicit-def: $vgpr5
.LBB14_247:
	s_andn2_b64 vcc, exec, s[0:1]
	s_cbranch_vccnz .LBB14_249
; %bb.248:
	global_load_ubyte v0, v[0:1], off
	s_waitcnt vmcnt(0)
	v_cvt_f16_u16_e32 v5, v0
.LBB14_249:
	s_branch .LBB14_11
.LBB14_250:
	s_mov_b64 s[0:1], 0
                                        ; implicit-def: $vgpr2
	s_mov_b64 s[20:21], 0
.LBB14_251:
	s_and_b64 s[6:7], s[0:1], exec
	s_and_b64 s[16:17], s[16:17], exec
	s_orn2_b64 s[20:21], s[20:21], exec
.LBB14_252:
	s_or_b64 exec, exec, s[18:19]
	s_mov_b64 s[24:25], 0
	s_mov_b64 s[0:1], 0
                                        ; implicit-def: $vgpr0_vgpr1
                                        ; implicit-def: $vgpr6
	s_and_saveexec_b64 s[18:19], s[20:21]
	s_cbranch_execz .LBB14_261
; %bb.253:
	v_cmp_gt_i32_e32 vcc, s33, v2
	s_mov_b64 s[0:1], -1
	s_mov_b64 s[20:21], s[16:17]
	s_mov_b64 s[22:23], s[6:7]
	s_and_saveexec_b64 s[24:25], vcc
	s_cbranch_execz .LBB14_513
; %bb.254:
	v_mul_lo_u32 v0, v2, s13
	v_ashrrev_i32_e32 v1, 31, v0
	s_waitcnt vmcnt(0)
	v_mov_b32_e32 v5, s11
	v_add_co_u32_e32 v0, vcc, s10, v0
	v_addc_co_u32_e32 v1, vcc, v5, v1, vcc
	v_cmp_gt_i16_e32 vcc, 11, v3
	s_cbranch_vccnz .LBB14_264
; %bb.255:
	v_cmp_lt_i16_e32 vcc, 25, v3
	s_cbranch_vccz .LBB14_273
; %bb.256:
	v_cmp_lt_i16_e32 vcc, 28, v3
	s_cbranch_vccz .LBB14_275
	;; [unrolled: 3-line block ×4, first 2 shown]
; %bb.259:
	v_cmp_eq_u16_e32 vcc, 46, v3
	s_mov_b64 s[22:23], 0
	s_cbranch_vccz .LBB14_285
; %bb.260:
	global_load_dword v5, v[0:1], off
	s_mov_b64 s[20:21], 0
	s_waitcnt vmcnt(0)
	v_lshlrev_b32_e32 v5, 16, v5
	v_cvt_f16_f32_e32 v5, v5
	s_branch .LBB14_286
.LBB14_261:
	s_or_b64 exec, exec, s[18:19]
	s_mov_b64 s[18:19], 0
	s_and_saveexec_b64 s[20:21], s[16:17]
	s_cbranch_execnz .LBB14_859
.LBB14_262:
	s_or_b64 exec, exec, s[20:21]
	s_and_saveexec_b64 s[16:17], s[22:23]
	s_xor_b64 s[16:17], exec, s[16:17]
	s_cbranch_execz .LBB14_860
.LBB14_263:
	global_load_ubyte v5, v[0:1], off
	v_mov_b32_e32 v6, 0x3c00
	s_or_b64 s[0:1], s[0:1], exec
	s_waitcnt vmcnt(0)
	v_cmp_ne_u16_e32 vcc, 0, v5
	v_cndmask_b32_e32 v6, 0, v6, vcc
	s_or_b64 exec, exec, s[16:17]
	s_and_saveexec_b64 s[16:17], s[24:25]
	s_cbranch_execz .LBB14_906
	s_branch .LBB14_861
.LBB14_264:
	s_mov_b64 s[0:1], 0
                                        ; implicit-def: $vgpr5
	s_mov_b64 s[20:21], s[16:17]
	s_cbranch_execnz .LBB14_463
.LBB14_265:
	s_andn2_b64 vcc, exec, s[0:1]
	s_cbranch_vccnz .LBB14_511
.LBB14_266:
	v_mul_lo_u32 v0, v2, s12
	v_ashrrev_i32_e32 v1, 31, v0
	v_mov_b32_e32 v7, s9
	v_add_co_u32_e32 v0, vcc, s8, v0
	v_addc_co_u32_e32 v1, vcc, v7, v1, vcc
	v_mov_b32_e32 v7, 11
	s_waitcnt vmcnt(0)
	v_and_b32_e32 v6, 0x7fff, v5
	v_cmp_lt_i16_sdwa s[0:1], s15, v7 src0_sel:BYTE_0 src1_sel:DWORD
	v_or_b32_e32 v5, v6, v4
	s_and_b64 vcc, exec, s[0:1]
	s_cbranch_vccnz .LBB14_274
; %bb.267:
	v_mov_b32_e32 v7, 25
	v_cmp_gt_i16_sdwa s[0:1], s15, v7 src0_sel:BYTE_0 src1_sel:DWORD
	s_and_b64 vcc, exec, s[0:1]
	s_cbranch_vccz .LBB14_276
; %bb.268:
	v_mov_b32_e32 v7, 28
	v_cmp_gt_i16_sdwa s[0:1], s15, v7 src0_sel:BYTE_0 src1_sel:DWORD
	s_and_b64 vcc, exec, s[0:1]
	s_cbranch_vccz .LBB14_278
	;; [unrolled: 5-line block ×4, first 2 shown]
; %bb.271:
	v_mov_b32_e32 v7, 46
	v_cmp_eq_u16_sdwa s[22:23], s15, v7 src0_sel:BYTE_0 src1_sel:DWORD
	s_mov_b64 s[26:27], 0
	s_mov_b64 s[0:1], -1
	s_and_b64 vcc, exec, s[22:23]
	s_mov_b64 s[22:23], 0
	s_cbranch_vccz .LBB14_290
; %bb.272:
	v_cvt_f32_f16_e32 v7, v5
	s_movk_i32 s0, 0x7fff
	v_mov_b32_e32 v8, 0x7fc0
	v_cmp_o_f16_e32 vcc, v5, v5
	v_bfe_u32 v9, v7, 16, 1
	v_add3_u32 v7, v7, v9, s0
	v_lshrrev_b32_e32 v7, 16, v7
	v_cndmask_b32_e32 v7, v8, v7, vcc
	global_store_dword v[0:1], v7, off
	s_mov_b64 s[22:23], -1
	s_mov_b64 s[0:1], 0
	s_branch .LBB14_290
.LBB14_273:
	s_mov_b64 s[22:23], -1
	s_mov_b64 s[0:1], 0
	s_mov_b64 s[20:21], s[16:17]
                                        ; implicit-def: $vgpr5
	s_branch .LBB14_427
.LBB14_274:
	s_mov_b64 s[26:27], -1
	s_mov_b64 s[22:23], 0
	s_mov_b64 s[0:1], s[6:7]
	s_branch .LBB14_359
.LBB14_275:
	s_mov_b64 s[22:23], -1
	s_mov_b64 s[0:1], 0
	s_mov_b64 s[20:21], s[16:17]
                                        ; implicit-def: $vgpr5
	s_branch .LBB14_408
.LBB14_276:
	s_mov_b64 s[26:27], -1
	s_mov_b64 s[22:23], 0
	s_mov_b64 s[0:1], s[6:7]
	s_branch .LBB14_317
.LBB14_277:
	s_mov_b64 s[22:23], -1
	s_mov_b64 s[0:1], 0
	s_mov_b64 s[20:21], s[16:17]
                                        ; implicit-def: $vgpr5
	s_branch .LBB14_403
.LBB14_278:
	s_mov_b64 s[26:27], -1
	s_mov_b64 s[22:23], 0
	s_mov_b64 s[0:1], s[6:7]
	s_branch .LBB14_300
.LBB14_279:
	s_or_saveexec_b64 s[24:25], s[24:25]
                                        ; implicit-def: $sgpr26
	s_xor_b64 exec, exec, s[24:25]
	s_cbranch_execz .LBB14_55
.LBB14_280:
	s_mov_b32 s26, 0x46000000
	v_add_f32_e64 v8, |v7|, s26
	v_and_b32_e32 v8, 0xff, v8
	v_cmp_ne_u32_e32 vcc, 0, v8
	s_andn2_b64 s[20:21], s[20:21], exec
	s_and_b64 s[28:29], vcc, exec
	s_mov_b32 s26, 0
	s_or_b64 s[20:21], s[20:21], s[28:29]
	s_or_b64 exec, exec, s[24:25]
	v_mov_b32_e32 v9, s26
	s_and_saveexec_b64 s[24:25], s[20:21]
	s_cbranch_execnz .LBB14_56
	s_branch .LBB14_57
.LBB14_281:
	s_mov_b64 s[22:23], -1
	s_mov_b64 s[0:1], 0
	s_mov_b64 s[20:21], s[16:17]
                                        ; implicit-def: $vgpr5
	s_branch .LBB14_286
.LBB14_282:
	s_mov_b64 s[26:27], -1
	s_mov_b64 s[22:23], 0
	s_mov_b64 s[0:1], s[6:7]
	s_branch .LBB14_296
.LBB14_283:
	s_or_saveexec_b64 s[24:25], s[24:25]
                                        ; implicit-def: $sgpr26
	s_xor_b64 exec, exec, s[24:25]
	s_cbranch_execz .LBB14_68
.LBB14_284:
	s_mov_b32 s26, 0x42800000
	v_add_f32_e64 v8, |v7|, s26
	v_and_b32_e32 v8, 0xff, v8
	v_cmp_ne_u32_e32 vcc, 0, v8
	s_andn2_b64 s[20:21], s[20:21], exec
	s_and_b64 s[28:29], vcc, exec
	s_mov_b32 s26, 0
	s_or_b64 s[20:21], s[20:21], s[28:29]
	s_or_b64 exec, exec, s[24:25]
	v_mov_b32_e32 v9, s26
	s_and_saveexec_b64 s[24:25], s[20:21]
	s_cbranch_execnz .LBB14_69
	s_branch .LBB14_70
.LBB14_285:
	s_mov_b64 s[20:21], -1
                                        ; implicit-def: $vgpr5
	s_mov_b64 s[0:1], 0
.LBB14_286:
	s_and_b64 vcc, exec, s[22:23]
	s_cbranch_vccz .LBB14_402
; %bb.287:
	v_cmp_eq_u16_e32 vcc, 44, v3
	s_cbranch_vccz .LBB14_401
; %bb.288:
	global_load_ubyte v5, v[0:1], off
	s_movk_i32 s20, 0xff
	v_mov_b32_e32 v7, 0x7e00
	s_mov_b64 s[0:1], -1
	s_waitcnt vmcnt(0)
	v_lshlrev_b32_e32 v6, 23, v5
	v_cvt_f16_f32_e32 v6, v6
	v_cmp_ne_u32_e32 vcc, s20, v5
	s_mov_b64 s[20:21], 0
	v_cndmask_b32_e32 v6, v7, v6, vcc
	v_cmp_ne_u32_e32 vcc, 0, v5
	v_cndmask_b32_e32 v5, 0, v6, vcc
	s_branch .LBB14_402
.LBB14_289:
	s_mov_b64 s[26:27], -1
	s_mov_b64 s[22:23], 0
	s_mov_b64 s[0:1], s[6:7]
.LBB14_290:
	s_and_b64 vcc, exec, s[26:27]
	s_cbranch_vccz .LBB14_295
; %bb.291:
	v_mov_b32_e32 v7, 44
	v_cmp_eq_u16_sdwa s[26:27], s15, v7 src0_sel:BYTE_0 src1_sel:DWORD
	s_mov_b64 s[0:1], -1
	s_and_b64 vcc, exec, s[26:27]
	s_cbranch_vccz .LBB14_295
; %bb.292:
	v_cvt_f32_f16_e32 v7, v5
	s_movk_i32 s0, 0xff
	v_mov_b32_e32 v9, 0xff
	v_bfe_u32 v8, v7, 23, 8
	v_cmp_ne_u32_e32 vcc, s0, v8
	s_and_saveexec_b64 s[22:23], vcc
; %bb.293:
	s_mov_b32 s0, 0x3fffff
	v_lshrrev_b32_e32 v9, 23, v7
	v_and_b32_e32 v10, 0x400000, v7
	v_and_or_b32 v7, v7, s0, v8
	v_cmp_ne_u32_e32 vcc, 0, v10
	v_cmp_ne_u32_e64 s[0:1], 0, v7
	s_and_b64 s[0:1], vcc, s[0:1]
	v_cndmask_b32_e64 v7, 0, 1, s[0:1]
	v_add_u32_e32 v9, v9, v7
; %bb.294:
	s_or_b64 exec, exec, s[22:23]
	s_mov_b64 s[22:23], -1
	s_mov_b64 s[0:1], 0
	global_store_byte v[0:1], v9, off
.LBB14_295:
	s_mov_b64 s[26:27], 0
.LBB14_296:
	s_and_b64 vcc, exec, s[26:27]
	s_cbranch_vccz .LBB14_299
; %bb.297:
	v_mov_b32_e32 v7, 29
	v_cmp_eq_u16_sdwa s[26:27], s15, v7 src0_sel:BYTE_0 src1_sel:DWORD
	s_mov_b64 s[0:1], -1
	s_and_b64 vcc, exec, s[26:27]
	s_cbranch_vccz .LBB14_299
; %bb.298:
	v_cvt_f32_f16_e32 v7, v5
	v_mov_b32_e32 v9, 0
	s_mov_b64 s[22:23], -1
	s_mov_b64 s[0:1], 0
	v_cvt_u32_f32_e32 v8, v7
	s_mov_b64 s[26:27], 0
	global_store_dwordx2 v[0:1], v[8:9], off
	s_branch .LBB14_300
.LBB14_299:
	s_mov_b64 s[26:27], 0
.LBB14_300:
	s_and_b64 vcc, exec, s[26:27]
	s_cbranch_vccz .LBB14_316
; %bb.301:
	v_mov_b32_e32 v7, 27
	v_cmp_lt_i16_sdwa s[26:27], s15, v7 src0_sel:BYTE_0 src1_sel:DWORD
	s_mov_b64 s[22:23], -1
	s_and_b64 vcc, exec, s[26:27]
	s_cbranch_vccnz .LBB14_307
; %bb.302:
	v_cmp_gt_i16_sdwa s[26:27], s15, v7 src0_sel:BYTE_0 src1_sel:DWORD
	s_and_b64 vcc, exec, s[26:27]
	s_cbranch_vccz .LBB14_304
; %bb.303:
	v_cvt_f32_f16_e32 v7, v5
	s_mov_b64 s[22:23], 0
	v_cvt_u32_f32_e32 v7, v7
	global_store_dword v[0:1], v7, off
.LBB14_304:
	s_andn2_b64 vcc, exec, s[22:23]
	s_cbranch_vccnz .LBB14_306
; %bb.305:
	v_cvt_u16_f16_e32 v7, v5
	global_store_short v[0:1], v7, off
.LBB14_306:
	s_mov_b64 s[22:23], 0
.LBB14_307:
	s_andn2_b64 vcc, exec, s[22:23]
	s_cbranch_vccnz .LBB14_315
; %bb.308:
	v_cvt_f32_f16_e32 v7, v5
	s_mov_b32 s22, 0x43800000
	v_mov_b32_e32 v9, 0x80
	v_and_b32_e32 v8, 0x7fffffff, v7
	v_cmp_gt_u32_e32 vcc, s22, v8
	s_and_saveexec_b64 s[22:23], vcc
	s_cbranch_execz .LBB14_314
; %bb.309:
	s_mov_b32 s26, 0x3bffffff
	v_cmp_lt_u32_e32 vcc, s26, v8
	s_mov_b64 s[26:27], 0
                                        ; implicit-def: $vgpr8
	s_and_saveexec_b64 s[28:29], vcc
	s_xor_b64 s[28:29], exec, s[28:29]
	s_cbranch_execz .LBB14_526
; %bb.310:
	v_bfe_u32 v8, v7, 20, 1
	s_mov_b32 s30, 0x487ffff
	v_add3_u32 v8, v7, v8, s30
	s_mov_b64 s[26:27], exec
	v_lshrrev_b32_e32 v8, 20, v8
	s_or_saveexec_b64 s[28:29], s[28:29]
                                        ; implicit-def: $sgpr30
	s_xor_b64 exec, exec, s[28:29]
	s_cbranch_execnz .LBB14_527
.LBB14_311:
	s_or_b64 exec, exec, s[28:29]
	v_mov_b32_e32 v9, s30
	s_and_saveexec_b64 s[28:29], s[26:27]
.LBB14_312:
	v_lshrrev_b32_e32 v7, 24, v7
	s_movk_i32 s26, 0x80
	v_and_or_b32 v9, v7, s26, v8
.LBB14_313:
	s_or_b64 exec, exec, s[28:29]
.LBB14_314:
	s_or_b64 exec, exec, s[22:23]
	global_store_byte v[0:1], v9, off
.LBB14_315:
	s_mov_b64 s[22:23], -1
.LBB14_316:
	s_mov_b64 s[26:27], 0
.LBB14_317:
	s_and_b64 vcc, exec, s[26:27]
	s_cbranch_vccz .LBB14_358
; %bb.318:
	v_mov_b32_e32 v7, 22
	v_cmp_gt_i16_sdwa s[28:29], s15, v7 src0_sel:BYTE_0 src1_sel:DWORD
	s_mov_b64 s[26:27], -1
	s_and_b64 vcc, exec, s[28:29]
	s_cbranch_vccz .LBB14_350
; %bb.319:
	v_mov_b32_e32 v7, 24
	v_cmp_lt_i16_sdwa s[26:27], s15, v7 src0_sel:BYTE_0 src1_sel:DWORD
	s_mov_b64 s[22:23], -1
	s_and_b64 vcc, exec, s[26:27]
	s_cbranch_vccnz .LBB14_339
; %bb.320:
	v_cmp_gt_i16_sdwa s[26:27], s15, v7 src0_sel:BYTE_0 src1_sel:DWORD
	s_and_b64 vcc, exec, s[26:27]
	s_cbranch_vccz .LBB14_328
; %bb.321:
	v_cvt_f32_f16_e32 v7, v5
	s_mov_b32 s22, 0x47800000
	v_mov_b32_e32 v9, 0x80
	v_and_b32_e32 v8, 0x7fffffff, v7
	v_cmp_gt_u32_e32 vcc, s22, v8
	s_and_saveexec_b64 s[22:23], vcc
	s_cbranch_execz .LBB14_327
; %bb.322:
	s_mov_b32 s26, 0x37ffffff
	v_cmp_lt_u32_e32 vcc, s26, v8
	s_mov_b64 s[26:27], 0
                                        ; implicit-def: $vgpr8
	s_and_saveexec_b64 s[28:29], vcc
	s_xor_b64 s[28:29], exec, s[28:29]
	s_cbranch_execz .LBB14_529
; %bb.323:
	v_bfe_u32 v8, v7, 21, 1
	s_mov_b32 s30, 0x88fffff
	v_add3_u32 v8, v7, v8, s30
	s_mov_b64 s[26:27], exec
	v_lshrrev_b32_e32 v8, 21, v8
	s_or_saveexec_b64 s[28:29], s[28:29]
                                        ; implicit-def: $sgpr30
	s_xor_b64 exec, exec, s[28:29]
	s_cbranch_execnz .LBB14_530
.LBB14_324:
	s_or_b64 exec, exec, s[28:29]
	v_mov_b32_e32 v9, s30
	s_and_saveexec_b64 s[28:29], s[26:27]
.LBB14_325:
	v_lshrrev_b32_e32 v7, 24, v7
	s_movk_i32 s26, 0x80
	v_and_or_b32 v9, v7, s26, v8
.LBB14_326:
	s_or_b64 exec, exec, s[28:29]
.LBB14_327:
	s_or_b64 exec, exec, s[22:23]
	s_mov_b64 s[22:23], 0
	global_store_byte v[0:1], v9, off
.LBB14_328:
	s_and_b64 vcc, exec, s[22:23]
	s_cbranch_vccz .LBB14_338
; %bb.329:
	v_cvt_f32_f16_e32 v7, v5
	s_mov_b32 s22, 0x43f00000
                                        ; implicit-def: $vgpr8
	v_and_b32_e32 v9, 0x7fffffff, v7
	v_cmp_gt_u32_e32 vcc, s22, v9
	s_and_saveexec_b64 s[22:23], vcc
	s_xor_b64 s[22:23], exec, s[22:23]
	s_cbranch_execz .LBB14_335
; %bb.330:
	s_mov_b32 s26, 0x3c7fffff
	v_cmp_lt_u32_e32 vcc, s26, v9
                                        ; implicit-def: $vgpr8
	s_and_saveexec_b64 s[26:27], vcc
	s_xor_b64 s[26:27], exec, s[26:27]
; %bb.331:
	v_bfe_u32 v8, v7, 20, 1
	s_mov_b32 s28, 0x407ffff
	v_add3_u32 v8, v7, v8, s28
	v_lshrrev_b32_e32 v9, 20, v8
	v_and_b32_e32 v8, 0xff00000, v8
	s_mov_b32 s28, 0x7f00000
	v_mov_b32_e32 v10, 0x7e
	v_cmp_ne_u32_e32 vcc, s28, v8
	v_cndmask_b32_e32 v8, v10, v9, vcc
; %bb.332:
	s_andn2_saveexec_b64 s[26:27], s[26:27]
; %bb.333:
	s_mov_b32 s28, 0x46800000
	v_add_f32_e64 v8, |v7|, s28
; %bb.334:
	s_or_b64 exec, exec, s[26:27]
                                        ; implicit-def: $vgpr9
.LBB14_335:
	s_andn2_saveexec_b64 s[22:23], s[22:23]
; %bb.336:
	s_mov_b32 s26, 0x7f800000
	v_mov_b32_e32 v8, 0x7e
	v_mov_b32_e32 v10, 0x7f
	v_cmp_lt_u32_e32 vcc, s26, v9
	v_cndmask_b32_e32 v8, v8, v10, vcc
; %bb.337:
	s_or_b64 exec, exec, s[22:23]
	v_lshrrev_b32_e32 v7, 24, v7
	s_movk_i32 s22, 0x80
	v_and_or_b32 v7, v7, s22, v8
	global_store_byte v[0:1], v7, off
.LBB14_338:
	s_mov_b64 s[22:23], 0
.LBB14_339:
	s_andn2_b64 vcc, exec, s[22:23]
	s_cbranch_vccnz .LBB14_349
; %bb.340:
	v_cvt_f32_f16_e32 v7, v5
	s_mov_b32 s22, 0x47800000
                                        ; implicit-def: $vgpr8
	v_and_b32_e32 v9, 0x7fffffff, v7
	v_cmp_gt_u32_e32 vcc, s22, v9
	s_and_saveexec_b64 s[22:23], vcc
	s_xor_b64 s[22:23], exec, s[22:23]
	s_cbranch_execz .LBB14_346
; %bb.341:
	s_mov_b32 s26, 0x387fffff
	v_cmp_lt_u32_e32 vcc, s26, v9
                                        ; implicit-def: $vgpr8
	s_and_saveexec_b64 s[26:27], vcc
	s_xor_b64 s[26:27], exec, s[26:27]
; %bb.342:
	v_bfe_u32 v8, v7, 21, 1
	s_mov_b32 s28, 0x80fffff
	v_add3_u32 v8, v7, v8, s28
	v_lshrrev_b32_e32 v8, 21, v8
; %bb.343:
	s_andn2_saveexec_b64 s[26:27], s[26:27]
; %bb.344:
	s_mov_b32 s28, 0x43000000
	v_add_f32_e64 v8, |v7|, s28
; %bb.345:
	s_or_b64 exec, exec, s[26:27]
                                        ; implicit-def: $vgpr9
.LBB14_346:
	s_andn2_saveexec_b64 s[22:23], s[22:23]
; %bb.347:
	s_mov_b32 s26, 0x7f800000
	v_mov_b32_e32 v8, 0x7c
	v_mov_b32_e32 v10, 0x7f
	v_cmp_lt_u32_e32 vcc, s26, v9
	v_cndmask_b32_e32 v8, v8, v10, vcc
; %bb.348:
	s_or_b64 exec, exec, s[22:23]
	v_lshrrev_b32_e32 v7, 24, v7
	s_movk_i32 s22, 0x80
	v_and_or_b32 v7, v7, s22, v8
	global_store_byte v[0:1], v7, off
.LBB14_349:
	s_mov_b64 s[26:27], 0
	s_mov_b64 s[22:23], -1
.LBB14_350:
	s_andn2_b64 vcc, exec, s[26:27]
	s_cbranch_vccnz .LBB14_358
; %bb.351:
	v_mov_b32_e32 v7, 14
	v_cmp_gt_i16_sdwa s[28:29], s15, v7 src0_sel:BYTE_0 src1_sel:DWORD
	s_mov_b64 s[26:27], -1
	s_and_b64 vcc, exec, s[28:29]
	s_cbranch_vccz .LBB14_355
; %bb.352:
	v_mov_b32_e32 v7, 15
	v_cmp_eq_u16_sdwa s[26:27], s15, v7 src0_sel:BYTE_0 src1_sel:DWORD
	s_mov_b64 s[0:1], -1
	s_and_b64 vcc, exec, s[26:27]
	s_cbranch_vccz .LBB14_354
; %bb.353:
	v_cvt_f32_f16_e32 v7, v5
	s_movk_i32 s0, 0x7fff
	v_mov_b32_e32 v8, 0x7fc0
	v_cmp_o_f16_e32 vcc, v5, v5
	v_bfe_u32 v9, v7, 16, 1
	v_add3_u32 v7, v7, v9, s0
	v_lshrrev_b32_e32 v7, 16, v7
	v_cndmask_b32_e32 v7, v8, v7, vcc
	global_store_short v[0:1], v7, off
	s_mov_b64 s[22:23], -1
	s_mov_b64 s[0:1], 0
.LBB14_354:
	s_mov_b64 s[26:27], 0
.LBB14_355:
	s_and_b64 vcc, exec, s[26:27]
	s_cbranch_vccz .LBB14_358
; %bb.356:
	v_mov_b32_e32 v7, 11
	v_cmp_eq_u16_sdwa s[26:27], s15, v7 src0_sel:BYTE_0 src1_sel:DWORD
	s_mov_b64 s[0:1], -1
	s_and_b64 vcc, exec, s[26:27]
	s_cbranch_vccz .LBB14_358
; %bb.357:
	v_cmp_ne_u16_e32 vcc, 0, v6
	v_cndmask_b32_e64 v6, 0, 1, vcc
	s_mov_b64 s[22:23], -1
	s_mov_b64 s[0:1], 0
	global_store_byte v[0:1], v6, off
.LBB14_358:
	s_mov_b64 s[26:27], 0
.LBB14_359:
	s_and_b64 vcc, exec, s[26:27]
	s_cbranch_vccz .LBB14_398
; %bb.360:
	v_mov_b32_e32 v6, 5
	v_cmp_lt_i16_sdwa s[26:27], s15, v6 src0_sel:BYTE_0 src1_sel:DWORD
	s_mov_b64 s[22:23], -1
	s_and_b64 vcc, exec, s[26:27]
	s_cbranch_vccnz .LBB14_381
; %bb.361:
	v_mov_b32_e32 v6, 8
	v_cmp_lt_i16_sdwa s[26:27], s15, v6 src0_sel:BYTE_0 src1_sel:DWORD
	s_and_b64 vcc, exec, s[26:27]
	s_cbranch_vccnz .LBB14_371
; %bb.362:
	v_mov_b32_e32 v6, 9
	v_cmp_lt_i16_sdwa s[26:27], s15, v6 src0_sel:BYTE_0 src1_sel:DWORD
	s_and_b64 vcc, exec, s[26:27]
	s_cbranch_vccnz .LBB14_368
; %bb.363:
	v_cmp_gt_i16_sdwa s[26:27], s15, v6 src0_sel:BYTE_0 src1_sel:DWORD
	s_and_b64 vcc, exec, s[26:27]
	s_cbranch_vccz .LBB14_365
; %bb.364:
	v_cvt_f32_f16_e32 v6, v5
	v_mov_b32_e32 v8, 0
	v_mov_b32_e32 v9, v8
	s_mov_b64 s[22:23], 0
	v_cvt_f64_f32_e32 v[6:7], v6
	global_store_dwordx4 v[0:1], v[6:9], off
.LBB14_365:
	s_andn2_b64 vcc, exec, s[22:23]
	s_cbranch_vccnz .LBB14_367
; %bb.366:
	v_cvt_f32_f16_e32 v6, v5
	v_mov_b32_e32 v7, 0
	global_store_dwordx2 v[0:1], v[6:7], off
.LBB14_367:
	s_mov_b64 s[22:23], 0
.LBB14_368:
	s_andn2_b64 vcc, exec, s[22:23]
	s_cbranch_vccnz .LBB14_370
; %bb.369:
	v_and_b32_e32 v6, 0xffff, v5
	global_store_dword v[0:1], v6, off
.LBB14_370:
	s_mov_b64 s[22:23], 0
.LBB14_371:
	s_andn2_b64 vcc, exec, s[22:23]
	s_cbranch_vccnz .LBB14_380
; %bb.372:
	v_mov_b32_e32 v6, 6
	v_cmp_lt_i16_sdwa s[26:27], s15, v6 src0_sel:BYTE_0 src1_sel:DWORD
	s_mov_b64 s[22:23], -1
	s_and_b64 vcc, exec, s[26:27]
	s_cbranch_vccnz .LBB14_378
; %bb.373:
	v_cmp_gt_i16_sdwa s[26:27], s15, v6 src0_sel:BYTE_0 src1_sel:DWORD
	s_and_b64 vcc, exec, s[26:27]
	s_cbranch_vccz .LBB14_375
; %bb.374:
	v_cvt_f32_f16_e32 v6, v5
	s_mov_b64 s[22:23], 0
	v_cvt_f64_f32_e32 v[6:7], v6
	global_store_dwordx2 v[0:1], v[6:7], off
.LBB14_375:
	s_andn2_b64 vcc, exec, s[22:23]
	s_cbranch_vccnz .LBB14_377
; %bb.376:
	v_cvt_f32_f16_e32 v6, v5
	global_store_dword v[0:1], v6, off
.LBB14_377:
	s_mov_b64 s[22:23], 0
.LBB14_378:
	s_andn2_b64 vcc, exec, s[22:23]
	s_cbranch_vccnz .LBB14_380
; %bb.379:
	global_store_short v[0:1], v5, off
.LBB14_380:
	s_mov_b64 s[22:23], 0
.LBB14_381:
	s_andn2_b64 vcc, exec, s[22:23]
	s_cbranch_vccnz .LBB14_397
; %bb.382:
	v_mov_b32_e32 v6, 2
	v_cmp_lt_i16_sdwa s[26:27], s15, v6 src0_sel:BYTE_0 src1_sel:DWORD
	s_mov_b64 s[22:23], -1
	s_and_b64 vcc, exec, s[26:27]
	s_cbranch_vccnz .LBB14_392
; %bb.383:
	v_mov_b32_e32 v6, 3
	v_cmp_lt_i16_sdwa s[26:27], s15, v6 src0_sel:BYTE_0 src1_sel:DWORD
	s_and_b64 vcc, exec, s[26:27]
	s_cbranch_vccnz .LBB14_389
; %bb.384:
	v_cmp_gt_i16_sdwa s[26:27], s15, v6 src0_sel:BYTE_0 src1_sel:DWORD
	s_and_b64 vcc, exec, s[26:27]
	s_cbranch_vccz .LBB14_386
; %bb.385:
	v_cvt_f32_f16_e32 v6, v5
	s_mov_b64 s[22:23], 0
	v_cvt_i32_f32_e32 v6, v6
	v_ashrrev_i32_e32 v7, 31, v6
	global_store_dwordx2 v[0:1], v[6:7], off
.LBB14_386:
	s_andn2_b64 vcc, exec, s[22:23]
	s_cbranch_vccnz .LBB14_388
; %bb.387:
	v_cvt_f32_f16_e32 v6, v5
	v_cvt_i32_f32_e32 v6, v6
	global_store_dword v[0:1], v6, off
.LBB14_388:
	s_mov_b64 s[22:23], 0
.LBB14_389:
	s_andn2_b64 vcc, exec, s[22:23]
	s_cbranch_vccnz .LBB14_391
; %bb.390:
	v_cvt_i16_f16_e32 v6, v5
	global_store_short v[0:1], v6, off
.LBB14_391:
	s_mov_b64 s[22:23], 0
.LBB14_392:
	s_andn2_b64 vcc, exec, s[22:23]
	s_cbranch_vccnz .LBB14_397
; %bb.393:
	v_mov_b32_e32 v6, 0
	v_cmp_gt_i16_sdwa s[26:27], s15, v6 src0_sel:BYTE_0 src1_sel:DWORD
	s_mov_b64 s[22:23], -1
	s_and_b64 vcc, exec, s[26:27]
	s_cbranch_vccz .LBB14_395
; %bb.394:
	v_cvt_i16_f16_e32 v6, v5
	s_mov_b64 s[22:23], 0
	global_store_byte v[0:1], v6, off
.LBB14_395:
	s_andn2_b64 vcc, exec, s[22:23]
	s_cbranch_vccnz .LBB14_397
; %bb.396:
	v_cvt_f32_f16_e32 v5, v5
	v_cvt_i32_f32_e32 v5, v5
	global_store_byte v[0:1], v5, off
.LBB14_397:
	s_mov_b64 s[22:23], -1
.LBB14_398:
	s_andn2_b64 vcc, exec, s[22:23]
	s_cbranch_vccnz .LBB14_400
; %bb.399:
	v_add_u32_e32 v2, 0x80, v2
	s_mov_b64 s[26:27], -1
	s_branch .LBB14_512
.LBB14_400:
	s_mov_b64 s[26:27], 0
                                        ; implicit-def: $vgpr2
	s_branch .LBB14_512
.LBB14_401:
	s_mov_b64 s[20:21], -1
                                        ; implicit-def: $vgpr5
.LBB14_402:
	s_mov_b64 s[22:23], 0
.LBB14_403:
	s_and_b64 vcc, exec, s[22:23]
	s_cbranch_vccz .LBB14_407
; %bb.404:
	v_cmp_eq_u16_e32 vcc, 29, v3
	s_cbranch_vccz .LBB14_406
; %bb.405:
	global_load_dwordx2 v[6:7], v[0:1], off
	s_mov_b64 s[0:1], -1
	s_mov_b64 s[20:21], 0
	s_mov_b64 s[22:23], 0
	s_waitcnt vmcnt(0)
	v_ffbh_u32_e32 v5, v7
	v_min_u32_e32 v5, 32, v5
	v_lshlrev_b64 v[6:7], v5, v[6:7]
	v_min_u32_e32 v6, 1, v6
	v_or_b32_e32 v6, v7, v6
	v_cvt_f32_u32_e32 v6, v6
	v_sub_u32_e32 v5, 32, v5
	v_ldexp_f32 v5, v6, v5
	v_cvt_f16_f32_e32 v5, v5
	s_branch .LBB14_408
.LBB14_406:
	s_mov_b64 s[20:21], -1
                                        ; implicit-def: $vgpr5
.LBB14_407:
	s_mov_b64 s[22:23], 0
.LBB14_408:
	s_and_b64 vcc, exec, s[22:23]
	s_cbranch_vccz .LBB14_426
; %bb.409:
	v_cmp_gt_i16_e32 vcc, 27, v3
	s_cbranch_vccnz .LBB14_412
; %bb.410:
	v_cmp_lt_i16_e32 vcc, 27, v3
	s_cbranch_vccz .LBB14_413
; %bb.411:
	global_load_dword v5, v[0:1], off
	s_mov_b64 s[0:1], 0
	s_waitcnt vmcnt(0)
	v_cvt_f32_u32_e32 v5, v5
	v_cvt_f16_f32_e32 v5, v5
	s_branch .LBB14_414
.LBB14_412:
	s_mov_b64 s[0:1], -1
                                        ; implicit-def: $vgpr5
	s_branch .LBB14_417
.LBB14_413:
	s_mov_b64 s[0:1], -1
                                        ; implicit-def: $vgpr5
.LBB14_414:
	s_andn2_b64 vcc, exec, s[0:1]
	s_cbranch_vccnz .LBB14_416
; %bb.415:
	global_load_ushort v5, v[0:1], off
	s_waitcnt vmcnt(0)
	v_cvt_f16_u16_e32 v5, v5
.LBB14_416:
	s_mov_b64 s[0:1], 0
.LBB14_417:
	s_andn2_b64 vcc, exec, s[0:1]
	s_cbranch_vccnz .LBB14_425
; %bb.418:
	global_load_ubyte v6, v[0:1], off
	s_movk_i32 s0, 0x7f
                                        ; implicit-def: $sgpr28
	s_waitcnt vmcnt(0)
	v_cmp_lt_i16_e32 vcc, s0, v6
	s_mov_b64 s[0:1], 0
	s_and_saveexec_b64 s[22:23], vcc
	s_xor_b64 s[22:23], exec, s[22:23]
	s_cbranch_execz .LBB14_439
; %bb.419:
	s_movk_i32 s0, 0x80
	v_cmp_eq_u16_e32 vcc, s0, v6
	s_mov_b64 s[0:1], -1
                                        ; implicit-def: $sgpr28
	s_and_saveexec_b64 s[26:27], vcc
; %bb.420:
	s_movk_i32 s28, 0x7e00
	s_xor_b64 s[0:1], exec, -1
; %bb.421:
	s_or_b64 exec, exec, s[26:27]
	s_and_b64 s[0:1], s[0:1], exec
	s_or_saveexec_b64 s[22:23], s[22:23]
	v_mov_b32_e32 v5, s28
	s_xor_b64 exec, exec, s[22:23]
	s_cbranch_execnz .LBB14_440
.LBB14_422:
	s_or_b64 exec, exec, s[22:23]
	s_and_saveexec_b64 s[22:23], s[0:1]
	s_cbranch_execz .LBB14_424
.LBB14_423:
	v_lshlrev_b32_e32 v5, 24, v6
	v_and_b32_e32 v6, 0xffff, v6
	v_and_b32_e32 v7, 7, v6
	v_ffbh_u32_e32 v9, v7
	v_min_u32_e32 v9, 32, v9
	v_subrev_u32_e32 v10, 28, v9
	v_bfe_u32 v8, v6, 3, 4
	v_lshlrev_b32_e32 v6, v10, v6
	v_sub_u32_e32 v9, 29, v9
	v_and_b32_e32 v6, 7, v6
	v_cmp_eq_u32_e32 vcc, 0, v8
	v_cndmask_b32_e32 v8, v8, v9, vcc
	v_cndmask_b32_e32 v6, v7, v6, vcc
	v_mov_b32_e32 v7, 0x3b800000
	v_lshlrev_b32_e32 v6, 20, v6
	v_and_b32_e32 v5, 0x80000000, v5
	v_lshl_add_u32 v7, v8, 23, v7
	v_or3_b32 v5, v5, v7, v6
	v_cvt_f16_f32_e32 v5, v5
.LBB14_424:
	s_or_b64 exec, exec, s[22:23]
.LBB14_425:
	s_mov_b64 s[0:1], -1
.LBB14_426:
	s_mov_b64 s[22:23], 0
.LBB14_427:
	s_and_b64 vcc, exec, s[22:23]
	s_cbranch_vccz .LBB14_462
; %bb.428:
	v_cmp_lt_i16_e32 vcc, 22, v3
	s_cbranch_vccz .LBB14_438
; %bb.429:
	v_cmp_gt_i16_e32 vcc, 24, v3
	s_cbranch_vccnz .LBB14_441
; %bb.430:
	v_cmp_lt_i16_e32 vcc, 24, v3
	s_cbranch_vccz .LBB14_442
; %bb.431:
	global_load_ubyte v6, v[0:1], off
	s_movk_i32 s0, 0x7f
                                        ; implicit-def: $sgpr28
	s_waitcnt vmcnt(0)
	v_cmp_lt_i16_e32 vcc, s0, v6
	s_mov_b64 s[0:1], 0
	s_and_saveexec_b64 s[22:23], vcc
	s_xor_b64 s[22:23], exec, s[22:23]
	s_cbranch_execz .LBB14_454
; %bb.432:
	s_movk_i32 s0, 0x80
	v_cmp_eq_u16_e32 vcc, s0, v6
	s_mov_b64 s[0:1], -1
                                        ; implicit-def: $sgpr28
	s_and_saveexec_b64 s[26:27], vcc
; %bb.433:
	s_movk_i32 s28, 0x7e00
	s_xor_b64 s[0:1], exec, -1
; %bb.434:
	s_or_b64 exec, exec, s[26:27]
	s_and_b64 s[0:1], s[0:1], exec
	s_or_saveexec_b64 s[22:23], s[22:23]
	v_mov_b32_e32 v5, s28
	s_xor_b64 exec, exec, s[22:23]
	s_cbranch_execnz .LBB14_455
.LBB14_435:
	s_or_b64 exec, exec, s[22:23]
	s_and_saveexec_b64 s[22:23], s[0:1]
	s_cbranch_execz .LBB14_437
.LBB14_436:
	v_lshlrev_b32_e32 v5, 24, v6
	v_and_b32_e32 v6, 0xffff, v6
	v_and_b32_e32 v7, 3, v6
	v_ffbh_u32_e32 v9, v7
	v_min_u32_e32 v9, 32, v9
	v_subrev_u32_e32 v10, 29, v9
	v_bfe_u32 v8, v6, 2, 5
	v_lshlrev_b32_e32 v6, v10, v6
	v_sub_u32_e32 v9, 30, v9
	v_and_b32_e32 v6, 3, v6
	v_cmp_eq_u32_e32 vcc, 0, v8
	v_cndmask_b32_e32 v8, v8, v9, vcc
	v_cndmask_b32_e32 v6, v7, v6, vcc
	v_mov_b32_e32 v7, 0x37800000
	v_lshlrev_b32_e32 v6, 21, v6
	v_and_b32_e32 v5, 0x80000000, v5
	v_lshl_add_u32 v7, v8, 23, v7
	v_or3_b32 v5, v5, v7, v6
	v_cvt_f16_f32_e32 v5, v5
.LBB14_437:
	s_or_b64 exec, exec, s[22:23]
	s_mov_b64 s[0:1], 0
	s_branch .LBB14_443
.LBB14_438:
	s_mov_b64 s[22:23], -1
                                        ; implicit-def: $vgpr5
	s_branch .LBB14_449
.LBB14_439:
	s_or_saveexec_b64 s[22:23], s[22:23]
	v_mov_b32_e32 v5, s28
	s_xor_b64 exec, exec, s[22:23]
	s_cbranch_execz .LBB14_422
.LBB14_440:
	v_cmp_ne_u16_e32 vcc, 0, v6
	s_andn2_b64 s[0:1], s[0:1], exec
	s_and_b64 s[26:27], vcc, exec
	s_or_b64 s[0:1], s[0:1], s[26:27]
	v_mov_b32_e32 v5, v6
	s_or_b64 exec, exec, s[22:23]
	s_and_saveexec_b64 s[22:23], s[0:1]
	s_cbranch_execnz .LBB14_423
	s_branch .LBB14_424
.LBB14_441:
	s_mov_b64 s[0:1], -1
                                        ; implicit-def: $vgpr5
	s_branch .LBB14_446
.LBB14_442:
	s_mov_b64 s[0:1], -1
                                        ; implicit-def: $vgpr5
.LBB14_443:
	s_and_b64 vcc, exec, s[0:1]
	s_cbranch_vccz .LBB14_445
; %bb.444:
	global_load_ubyte v5, v[0:1], off
	s_mov_b32 s0, 0x7f800000
	s_waitcnt vmcnt(0)
	v_lshlrev_b32_e32 v5, 24, v5
	v_and_b32_e32 v6, 0x7f000000, v5
	v_ffbh_u32_e32 v7, v6
	v_min_u32_e32 v7, 32, v7
	v_sub_u32_e64 v7, v7, 4 clamp
	v_lshlrev_b32_e32 v9, v7, v6
	v_lshlrev_b32_e32 v7, 23, v7
	v_lshrrev_b32_e32 v9, 4, v9
	v_add_u32_e32 v8, 0x1000000, v6
	v_sub_u32_e32 v7, v9, v7
	v_ashrrev_i32_e32 v8, 8, v8
	v_add_u32_e32 v7, 0x3c000000, v7
	v_and_or_b32 v7, v8, s0, v7
	v_cmp_ne_u32_e32 vcc, 0, v6
	v_cndmask_b32_e32 v6, 0, v7, vcc
	s_brev_b32 s0, 1
	v_and_or_b32 v5, v5, s0, v6
	v_cvt_f16_f32_e32 v5, v5
.LBB14_445:
	s_mov_b64 s[0:1], 0
.LBB14_446:
	s_andn2_b64 vcc, exec, s[0:1]
	s_cbranch_vccnz .LBB14_448
; %bb.447:
	global_load_ubyte v5, v[0:1], off
	s_movk_i32 s0, 0x7f00
	s_brev_b32 s1, 16
	s_waitcnt vmcnt(0)
	v_lshlrev_b16_e32 v6, 8, v5
	v_lshlrev_b32_e32 v5, 25, v5
	v_lshrrev_b32_e32 v7, 4, v5
	v_and_or_b32 v8, v6, s0, 0.5
	v_or_b32_e32 v7, 0x70000000, v7
	v_add_f32_e32 v8, -0.5, v8
	v_mul_f32_e32 v7, 0x7800000, v7
	v_cmp_gt_u32_e32 vcc, s1, v5
	v_bfe_i32 v6, v6, 0, 16
	v_cndmask_b32_e32 v5, v7, v8, vcc
	s_brev_b32 s0, 1
	v_and_or_b32 v5, v6, s0, v5
	v_cvt_f16_f32_e32 v5, v5
.LBB14_448:
	s_mov_b64 s[22:23], 0
	s_mov_b64 s[0:1], -1
.LBB14_449:
	s_andn2_b64 vcc, exec, s[22:23]
	s_cbranch_vccnz .LBB14_462
; %bb.450:
	v_cmp_lt_i16_e32 vcc, 14, v3
	s_cbranch_vccz .LBB14_453
; %bb.451:
	v_cmp_eq_u16_e32 vcc, 15, v3
	s_cbranch_vccz .LBB14_456
; %bb.452:
	global_load_ushort v5, v[0:1], off
	s_mov_b64 s[0:1], -1
	s_mov_b64 s[20:21], 0
	s_waitcnt vmcnt(0)
	v_lshlrev_b32_e32 v5, 16, v5
	v_cvt_f16_f32_e32 v5, v5
	s_branch .LBB14_457
.LBB14_453:
	s_mov_b64 s[22:23], -1
                                        ; implicit-def: $vgpr5
	s_branch .LBB14_458
.LBB14_454:
	s_or_saveexec_b64 s[22:23], s[22:23]
	v_mov_b32_e32 v5, s28
	s_xor_b64 exec, exec, s[22:23]
	s_cbranch_execz .LBB14_435
.LBB14_455:
	v_cmp_ne_u16_e32 vcc, 0, v6
	s_andn2_b64 s[0:1], s[0:1], exec
	s_and_b64 s[26:27], vcc, exec
	s_or_b64 s[0:1], s[0:1], s[26:27]
	v_mov_b32_e32 v5, v6
	s_or_b64 exec, exec, s[22:23]
	s_and_saveexec_b64 s[22:23], s[0:1]
	s_cbranch_execnz .LBB14_436
	s_branch .LBB14_437
.LBB14_456:
	s_mov_b64 s[20:21], -1
                                        ; implicit-def: $vgpr5
.LBB14_457:
	s_mov_b64 s[22:23], 0
.LBB14_458:
	s_and_b64 vcc, exec, s[22:23]
	s_cbranch_vccz .LBB14_462
; %bb.459:
	v_cmp_eq_u16_e32 vcc, 11, v3
	s_cbranch_vccz .LBB14_461
; %bb.460:
	global_load_ubyte v5, v[0:1], off
	v_mov_b32_e32 v6, 0x3c00
	s_mov_b64 s[0:1], -1
	s_mov_b64 s[20:21], 0
	s_waitcnt vmcnt(0)
	v_cmp_ne_u16_e32 vcc, 0, v5
	v_cndmask_b32_e32 v5, 0, v6, vcc
	s_branch .LBB14_462
.LBB14_461:
	s_mov_b64 s[20:21], -1
                                        ; implicit-def: $vgpr5
.LBB14_462:
	s_branch .LBB14_265
.LBB14_463:
	v_cmp_gt_i16_e32 vcc, 5, v3
	s_cbranch_vccnz .LBB14_468
; %bb.464:
	v_cmp_gt_i16_e32 vcc, 8, v3
	s_cbranch_vccnz .LBB14_469
; %bb.465:
	;; [unrolled: 3-line block ×3, first 2 shown]
	v_cmp_lt_i16_e32 vcc, 9, v3
	s_cbranch_vccz .LBB14_471
; %bb.467:
	global_load_dwordx2 v[6:7], v[0:1], off
	s_mov_b64 s[0:1], 0
	s_waitcnt vmcnt(0)
	v_cvt_f32_f64_e32 v5, v[6:7]
	v_cvt_f16_f32_e32 v5, v5
	s_branch .LBB14_472
.LBB14_468:
	s_mov_b64 s[0:1], -1
                                        ; implicit-def: $vgpr5
	s_branch .LBB14_490
.LBB14_469:
	s_mov_b64 s[0:1], -1
                                        ; implicit-def: $vgpr5
	s_branch .LBB14_478
.LBB14_470:
	s_mov_b64 s[0:1], -1
                                        ; implicit-def: $vgpr5
	s_branch .LBB14_475
.LBB14_471:
	s_mov_b64 s[0:1], -1
                                        ; implicit-def: $vgpr5
.LBB14_472:
	s_andn2_b64 vcc, exec, s[0:1]
	s_cbranch_vccnz .LBB14_474
; %bb.473:
	global_load_dword v5, v[0:1], off
	s_waitcnt vmcnt(0)
	v_cvt_f16_f32_e32 v5, v5
.LBB14_474:
	s_mov_b64 s[0:1], 0
.LBB14_475:
	s_andn2_b64 vcc, exec, s[0:1]
	s_cbranch_vccnz .LBB14_477
; %bb.476:
	global_load_dword v5, v[0:1], off
.LBB14_477:
	s_mov_b64 s[0:1], 0
.LBB14_478:
	s_andn2_b64 vcc, exec, s[0:1]
	s_cbranch_vccnz .LBB14_489
; %bb.479:
	v_cmp_gt_i16_e32 vcc, 6, v3
	s_cbranch_vccnz .LBB14_482
; %bb.480:
	v_cmp_lt_i16_e32 vcc, 6, v3
	s_cbranch_vccz .LBB14_483
; %bb.481:
	global_load_dwordx2 v[6:7], v[0:1], off
	s_mov_b64 s[0:1], 0
	s_waitcnt vmcnt(0)
	v_cvt_f32_f64_e32 v5, v[6:7]
	v_cvt_f16_f32_e32 v5, v5
	s_branch .LBB14_484
.LBB14_482:
	s_mov_b64 s[0:1], -1
                                        ; implicit-def: $vgpr5
	s_branch .LBB14_487
.LBB14_483:
	s_mov_b64 s[0:1], -1
                                        ; implicit-def: $vgpr5
.LBB14_484:
	s_andn2_b64 vcc, exec, s[0:1]
	s_cbranch_vccnz .LBB14_486
; %bb.485:
	global_load_dword v5, v[0:1], off
	s_waitcnt vmcnt(0)
	v_cvt_f16_f32_e32 v5, v5
.LBB14_486:
	s_mov_b64 s[0:1], 0
.LBB14_487:
	s_andn2_b64 vcc, exec, s[0:1]
	s_cbranch_vccnz .LBB14_489
; %bb.488:
	global_load_ushort v5, v[0:1], off
.LBB14_489:
	s_mov_b64 s[0:1], 0
.LBB14_490:
	s_andn2_b64 vcc, exec, s[0:1]
	s_cbranch_vccnz .LBB14_510
; %bb.491:
	v_cmp_gt_i16_e32 vcc, 2, v3
	s_cbranch_vccnz .LBB14_495
; %bb.492:
	v_cmp_gt_i16_e32 vcc, 3, v3
	s_cbranch_vccnz .LBB14_496
; %bb.493:
	v_cmp_lt_i16_e32 vcc, 3, v3
	s_cbranch_vccz .LBB14_497
; %bb.494:
	global_load_dwordx2 v[6:7], v[0:1], off
	s_mov_b64 s[0:1], 0
	s_waitcnt vmcnt(0)
	v_xor_b32_e32 v8, v6, v7
	v_ffbh_i32_e32 v5, v7
	v_ashrrev_i32_e32 v8, 31, v8
	v_add_u32_e32 v5, -1, v5
	v_add_u32_e32 v8, 32, v8
	v_min_u32_e32 v5, v5, v8
	v_lshlrev_b64 v[6:7], v5, v[6:7]
	v_min_u32_e32 v6, 1, v6
	v_or_b32_e32 v6, v7, v6
	v_cvt_f32_i32_e32 v6, v6
	v_sub_u32_e32 v5, 32, v5
	v_ldexp_f32 v5, v6, v5
	v_cvt_f16_f32_e32 v5, v5
	s_branch .LBB14_498
.LBB14_495:
	s_mov_b64 s[0:1], -1
                                        ; implicit-def: $vgpr5
	s_branch .LBB14_504
.LBB14_496:
	s_mov_b64 s[0:1], -1
                                        ; implicit-def: $vgpr5
	s_branch .LBB14_501
.LBB14_497:
	s_mov_b64 s[0:1], -1
                                        ; implicit-def: $vgpr5
.LBB14_498:
	s_andn2_b64 vcc, exec, s[0:1]
	s_cbranch_vccnz .LBB14_500
; %bb.499:
	global_load_dword v5, v[0:1], off
	s_waitcnt vmcnt(0)
	v_cvt_f32_i32_e32 v5, v5
	v_cvt_f16_f32_e32 v5, v5
.LBB14_500:
	s_mov_b64 s[0:1], 0
.LBB14_501:
	s_andn2_b64 vcc, exec, s[0:1]
	s_cbranch_vccnz .LBB14_503
; %bb.502:
	global_load_ushort v5, v[0:1], off
	s_waitcnt vmcnt(0)
	v_cvt_f16_i16_e32 v5, v5
.LBB14_503:
	s_mov_b64 s[0:1], 0
.LBB14_504:
	s_andn2_b64 vcc, exec, s[0:1]
	s_cbranch_vccnz .LBB14_510
; %bb.505:
	v_cmp_lt_i16_e32 vcc, 0, v3
	s_cbranch_vccz .LBB14_507
; %bb.506:
	global_load_sbyte v5, v[0:1], off
	s_mov_b64 s[0:1], 0
	s_waitcnt vmcnt(0)
	v_cvt_f16_i16_e32 v5, v5
	s_branch .LBB14_508
.LBB14_507:
	s_mov_b64 s[0:1], -1
                                        ; implicit-def: $vgpr5
.LBB14_508:
	s_andn2_b64 vcc, exec, s[0:1]
	s_cbranch_vccnz .LBB14_510
; %bb.509:
	global_load_ubyte v0, v[0:1], off
	s_waitcnt vmcnt(0)
	v_cvt_f16_u16_e32 v5, v0
.LBB14_510:
	s_branch .LBB14_266
.LBB14_511:
	s_mov_b64 s[26:27], 0
                                        ; implicit-def: $vgpr2
	s_mov_b64 s[0:1], s[6:7]
.LBB14_512:
	s_andn2_b64 s[22:23], s[6:7], exec
	s_and_b64 s[0:1], s[0:1], exec
	s_or_b64 s[22:23], s[22:23], s[0:1]
	s_andn2_b64 s[0:1], s[16:17], exec
	s_and_b64 s[20:21], s[20:21], exec
	s_or_b64 s[20:21], s[0:1], s[20:21]
	s_orn2_b64 s[0:1], s[26:27], exec
.LBB14_513:
	s_or_b64 exec, exec, s[24:25]
	s_mov_b64 s[26:27], 0
	s_mov_b64 s[28:29], 0
	;; [unrolled: 1-line block ×3, first 2 shown]
                                        ; implicit-def: $vgpr0_vgpr1
                                        ; implicit-def: $vgpr6
	s_and_saveexec_b64 s[24:25], s[0:1]
	s_cbranch_execz .LBB14_858
; %bb.514:
	v_cmp_gt_i32_e32 vcc, s33, v2
	s_mov_b64 s[36:37], -1
	s_mov_b64 s[0:1], s[20:21]
	s_mov_b64 s[30:31], s[22:23]
	s_and_saveexec_b64 s[26:27], vcc
	s_cbranch_execz .LBB14_772
; %bb.515:
	v_mul_lo_u32 v0, v2, s13
	v_ashrrev_i32_e32 v1, 31, v0
	s_waitcnt vmcnt(0)
	v_mov_b32_e32 v5, s11
	v_add_co_u32_e32 v0, vcc, s10, v0
	v_addc_co_u32_e32 v1, vcc, v5, v1, vcc
	v_cmp_gt_i16_e32 vcc, 11, v3
	s_cbranch_vccnz .LBB14_522
; %bb.516:
	v_cmp_lt_i16_e32 vcc, 25, v3
	s_cbranch_vccz .LBB14_523
; %bb.517:
	v_cmp_lt_i16_e32 vcc, 28, v3
	s_cbranch_vccz .LBB14_524
	;; [unrolled: 3-line block ×4, first 2 shown]
; %bb.520:
	v_cmp_eq_u16_e32 vcc, 46, v3
	s_mov_b64 s[30:31], 0
	s_cbranch_vccz .LBB14_531
; %bb.521:
	global_load_dword v5, v[0:1], off
	s_mov_b64 s[0:1], -1
	s_waitcnt vmcnt(0)
	v_lshlrev_b32_e32 v5, 16, v5
	v_cvt_f16_f32_e32 v5, v5
	s_branch .LBB14_532
.LBB14_522:
	s_mov_b64 s[30:31], -1
	s_mov_b64 s[0:1], 0
                                        ; implicit-def: $vgpr5
	s_mov_b64 s[28:29], s[20:21]
	s_branch .LBB14_597
.LBB14_523:
	s_mov_b64 s[30:31], -1
	s_mov_b64 s[0:1], 0
	s_mov_b64 s[28:29], s[20:21]
                                        ; implicit-def: $vgpr5
	s_branch .LBB14_561
.LBB14_524:
	s_mov_b64 s[30:31], -1
	s_mov_b64 s[0:1], 0
	s_mov_b64 s[28:29], s[20:21]
                                        ; implicit-def: $vgpr5
	s_branch .LBB14_542
.LBB14_525:
	s_mov_b64 s[30:31], -1
	s_mov_b64 s[0:1], 0
	s_mov_b64 s[28:29], s[20:21]
                                        ; implicit-def: $vgpr5
	s_branch .LBB14_537
.LBB14_526:
	s_or_saveexec_b64 s[28:29], s[28:29]
                                        ; implicit-def: $sgpr30
	s_xor_b64 exec, exec, s[28:29]
	s_cbranch_execz .LBB14_311
.LBB14_527:
	s_mov_b32 s30, 0x46000000
	v_add_f32_e64 v8, |v7|, s30
	v_and_b32_e32 v8, 0xff, v8
	v_cmp_ne_u32_e32 vcc, 0, v8
	s_andn2_b64 s[26:27], s[26:27], exec
	s_and_b64 s[34:35], vcc, exec
	s_mov_b32 s30, 0
	s_or_b64 s[26:27], s[26:27], s[34:35]
	s_or_b64 exec, exec, s[28:29]
	v_mov_b32_e32 v9, s30
	s_and_saveexec_b64 s[28:29], s[26:27]
	s_cbranch_execnz .LBB14_312
	s_branch .LBB14_313
.LBB14_528:
	s_mov_b64 s[30:31], -1
	s_mov_b64 s[0:1], 0
	s_mov_b64 s[28:29], s[20:21]
                                        ; implicit-def: $vgpr5
	s_branch .LBB14_532
.LBB14_529:
	s_or_saveexec_b64 s[28:29], s[28:29]
                                        ; implicit-def: $sgpr30
	s_xor_b64 exec, exec, s[28:29]
	s_cbranch_execz .LBB14_324
.LBB14_530:
	s_mov_b32 s30, 0x42800000
	v_add_f32_e64 v8, |v7|, s30
	v_and_b32_e32 v8, 0xff, v8
	v_cmp_ne_u32_e32 vcc, 0, v8
	s_andn2_b64 s[26:27], s[26:27], exec
	s_and_b64 s[34:35], vcc, exec
	s_mov_b32 s30, 0
	s_or_b64 s[26:27], s[26:27], s[34:35]
	s_or_b64 exec, exec, s[28:29]
	v_mov_b32_e32 v9, s30
	s_and_saveexec_b64 s[28:29], s[26:27]
	s_cbranch_execnz .LBB14_325
	s_branch .LBB14_326
.LBB14_531:
	s_mov_b64 s[28:29], -1
                                        ; implicit-def: $vgpr5
	s_mov_b64 s[0:1], 0
.LBB14_532:
	s_and_b64 vcc, exec, s[30:31]
	s_cbranch_vccz .LBB14_536
; %bb.533:
	v_cmp_eq_u16_e32 vcc, 44, v3
	s_cbranch_vccz .LBB14_535
; %bb.534:
	global_load_ubyte v5, v[0:1], off
	s_movk_i32 s28, 0xff
	v_mov_b32_e32 v7, 0x7e00
	s_mov_b64 s[0:1], -1
	s_waitcnt vmcnt(0)
	v_lshlrev_b32_e32 v6, 23, v5
	v_cvt_f16_f32_e32 v6, v6
	v_cmp_ne_u32_e32 vcc, s28, v5
	s_mov_b64 s[28:29], 0
	v_cndmask_b32_e32 v6, v7, v6, vcc
	v_cmp_ne_u32_e32 vcc, 0, v5
	v_cndmask_b32_e32 v5, 0, v6, vcc
	s_branch .LBB14_536
.LBB14_535:
	s_mov_b64 s[28:29], -1
                                        ; implicit-def: $vgpr5
.LBB14_536:
	s_mov_b64 s[30:31], 0
.LBB14_537:
	s_and_b64 vcc, exec, s[30:31]
	s_cbranch_vccz .LBB14_541
; %bb.538:
	v_cmp_eq_u16_e32 vcc, 29, v3
	s_cbranch_vccz .LBB14_540
; %bb.539:
	global_load_dwordx2 v[6:7], v[0:1], off
	s_mov_b64 s[0:1], -1
	s_mov_b64 s[28:29], 0
	s_mov_b64 s[30:31], 0
	s_waitcnt vmcnt(0)
	v_ffbh_u32_e32 v5, v7
	v_min_u32_e32 v5, 32, v5
	v_lshlrev_b64 v[6:7], v5, v[6:7]
	v_min_u32_e32 v6, 1, v6
	v_or_b32_e32 v6, v7, v6
	v_cvt_f32_u32_e32 v6, v6
	v_sub_u32_e32 v5, 32, v5
	v_ldexp_f32 v5, v6, v5
	v_cvt_f16_f32_e32 v5, v5
	s_branch .LBB14_542
.LBB14_540:
	s_mov_b64 s[28:29], -1
                                        ; implicit-def: $vgpr5
.LBB14_541:
	s_mov_b64 s[30:31], 0
.LBB14_542:
	s_and_b64 vcc, exec, s[30:31]
	s_cbranch_vccz .LBB14_560
; %bb.543:
	v_cmp_gt_i16_e32 vcc, 27, v3
	s_cbranch_vccnz .LBB14_546
; %bb.544:
	v_cmp_lt_i16_e32 vcc, 27, v3
	s_cbranch_vccz .LBB14_547
; %bb.545:
	global_load_dword v5, v[0:1], off
	s_mov_b64 s[0:1], 0
	s_waitcnt vmcnt(0)
	v_cvt_f32_u32_e32 v5, v5
	v_cvt_f16_f32_e32 v5, v5
	s_branch .LBB14_548
.LBB14_546:
	s_mov_b64 s[0:1], -1
                                        ; implicit-def: $vgpr5
	s_branch .LBB14_551
.LBB14_547:
	s_mov_b64 s[0:1], -1
                                        ; implicit-def: $vgpr5
.LBB14_548:
	s_andn2_b64 vcc, exec, s[0:1]
	s_cbranch_vccnz .LBB14_550
; %bb.549:
	global_load_ushort v5, v[0:1], off
	s_waitcnt vmcnt(0)
	v_cvt_f16_u16_e32 v5, v5
.LBB14_550:
	s_mov_b64 s[0:1], 0
.LBB14_551:
	s_andn2_b64 vcc, exec, s[0:1]
	s_cbranch_vccnz .LBB14_559
; %bb.552:
	global_load_ubyte v6, v[0:1], off
	s_movk_i32 s0, 0x7f
                                        ; implicit-def: $sgpr36
	s_waitcnt vmcnt(0)
	v_cmp_lt_i16_e32 vcc, s0, v6
	s_mov_b64 s[0:1], 0
	s_and_saveexec_b64 s[30:31], vcc
	s_xor_b64 s[30:31], exec, s[30:31]
	s_cbranch_execz .LBB14_573
; %bb.553:
	s_movk_i32 s0, 0x80
	v_cmp_eq_u16_e32 vcc, s0, v6
	s_mov_b64 s[0:1], -1
                                        ; implicit-def: $sgpr36
	s_and_saveexec_b64 s[34:35], vcc
; %bb.554:
	s_movk_i32 s36, 0x7e00
	s_xor_b64 s[0:1], exec, -1
; %bb.555:
	s_or_b64 exec, exec, s[34:35]
	s_and_b64 s[0:1], s[0:1], exec
	s_or_saveexec_b64 s[30:31], s[30:31]
	v_mov_b32_e32 v5, s36
	s_xor_b64 exec, exec, s[30:31]
	s_cbranch_execnz .LBB14_574
.LBB14_556:
	s_or_b64 exec, exec, s[30:31]
	s_and_saveexec_b64 s[30:31], s[0:1]
	s_cbranch_execz .LBB14_558
.LBB14_557:
	v_lshlrev_b32_e32 v5, 24, v6
	v_and_b32_e32 v6, 0xffff, v6
	v_and_b32_e32 v7, 7, v6
	v_ffbh_u32_e32 v9, v7
	v_min_u32_e32 v9, 32, v9
	v_subrev_u32_e32 v10, 28, v9
	v_bfe_u32 v8, v6, 3, 4
	v_lshlrev_b32_e32 v6, v10, v6
	v_sub_u32_e32 v9, 29, v9
	v_and_b32_e32 v6, 7, v6
	v_cmp_eq_u32_e32 vcc, 0, v8
	v_cndmask_b32_e32 v8, v8, v9, vcc
	v_cndmask_b32_e32 v6, v7, v6, vcc
	v_mov_b32_e32 v7, 0x3b800000
	v_lshlrev_b32_e32 v6, 20, v6
	v_and_b32_e32 v5, 0x80000000, v5
	v_lshl_add_u32 v7, v8, 23, v7
	v_or3_b32 v5, v5, v7, v6
	v_cvt_f16_f32_e32 v5, v5
.LBB14_558:
	s_or_b64 exec, exec, s[30:31]
.LBB14_559:
	s_mov_b64 s[0:1], -1
.LBB14_560:
	s_mov_b64 s[30:31], 0
.LBB14_561:
	s_and_b64 vcc, exec, s[30:31]
	s_cbranch_vccz .LBB14_596
; %bb.562:
	v_cmp_lt_i16_e32 vcc, 22, v3
	s_cbranch_vccz .LBB14_572
; %bb.563:
	v_cmp_gt_i16_e32 vcc, 24, v3
	s_cbranch_vccnz .LBB14_575
; %bb.564:
	v_cmp_lt_i16_e32 vcc, 24, v3
	s_cbranch_vccz .LBB14_576
; %bb.565:
	global_load_ubyte v6, v[0:1], off
	s_movk_i32 s0, 0x7f
                                        ; implicit-def: $sgpr36
	s_waitcnt vmcnt(0)
	v_cmp_lt_i16_e32 vcc, s0, v6
	s_mov_b64 s[0:1], 0
	s_and_saveexec_b64 s[30:31], vcc
	s_xor_b64 s[30:31], exec, s[30:31]
	s_cbranch_execz .LBB14_588
; %bb.566:
	s_movk_i32 s0, 0x80
	v_cmp_eq_u16_e32 vcc, s0, v6
	s_mov_b64 s[0:1], -1
                                        ; implicit-def: $sgpr36
	s_and_saveexec_b64 s[34:35], vcc
; %bb.567:
	s_movk_i32 s36, 0x7e00
	s_xor_b64 s[0:1], exec, -1
; %bb.568:
	s_or_b64 exec, exec, s[34:35]
	s_and_b64 s[0:1], s[0:1], exec
	s_or_saveexec_b64 s[30:31], s[30:31]
	v_mov_b32_e32 v5, s36
	s_xor_b64 exec, exec, s[30:31]
	s_cbranch_execnz .LBB14_589
.LBB14_569:
	s_or_b64 exec, exec, s[30:31]
	s_and_saveexec_b64 s[30:31], s[0:1]
	s_cbranch_execz .LBB14_571
.LBB14_570:
	v_lshlrev_b32_e32 v5, 24, v6
	v_and_b32_e32 v6, 0xffff, v6
	v_and_b32_e32 v7, 3, v6
	v_ffbh_u32_e32 v9, v7
	v_min_u32_e32 v9, 32, v9
	v_subrev_u32_e32 v10, 29, v9
	v_bfe_u32 v8, v6, 2, 5
	v_lshlrev_b32_e32 v6, v10, v6
	v_sub_u32_e32 v9, 30, v9
	v_and_b32_e32 v6, 3, v6
	v_cmp_eq_u32_e32 vcc, 0, v8
	v_cndmask_b32_e32 v8, v8, v9, vcc
	v_cndmask_b32_e32 v6, v7, v6, vcc
	v_mov_b32_e32 v7, 0x37800000
	v_lshlrev_b32_e32 v6, 21, v6
	v_and_b32_e32 v5, 0x80000000, v5
	v_lshl_add_u32 v7, v8, 23, v7
	v_or3_b32 v5, v5, v7, v6
	v_cvt_f16_f32_e32 v5, v5
.LBB14_571:
	s_or_b64 exec, exec, s[30:31]
	s_mov_b64 s[0:1], 0
	s_branch .LBB14_577
.LBB14_572:
	s_mov_b64 s[30:31], -1
                                        ; implicit-def: $vgpr5
	s_branch .LBB14_583
.LBB14_573:
	s_or_saveexec_b64 s[30:31], s[30:31]
	v_mov_b32_e32 v5, s36
	s_xor_b64 exec, exec, s[30:31]
	s_cbranch_execz .LBB14_556
.LBB14_574:
	v_cmp_ne_u16_e32 vcc, 0, v6
	s_andn2_b64 s[0:1], s[0:1], exec
	s_and_b64 s[34:35], vcc, exec
	s_or_b64 s[0:1], s[0:1], s[34:35]
	v_mov_b32_e32 v5, v6
	s_or_b64 exec, exec, s[30:31]
	s_and_saveexec_b64 s[30:31], s[0:1]
	s_cbranch_execnz .LBB14_557
	s_branch .LBB14_558
.LBB14_575:
	s_mov_b64 s[0:1], -1
                                        ; implicit-def: $vgpr5
	s_branch .LBB14_580
.LBB14_576:
	s_mov_b64 s[0:1], -1
                                        ; implicit-def: $vgpr5
.LBB14_577:
	s_and_b64 vcc, exec, s[0:1]
	s_cbranch_vccz .LBB14_579
; %bb.578:
	global_load_ubyte v5, v[0:1], off
	s_mov_b32 s0, 0x7f800000
	s_waitcnt vmcnt(0)
	v_lshlrev_b32_e32 v5, 24, v5
	v_and_b32_e32 v6, 0x7f000000, v5
	v_ffbh_u32_e32 v7, v6
	v_min_u32_e32 v7, 32, v7
	v_sub_u32_e64 v7, v7, 4 clamp
	v_lshlrev_b32_e32 v9, v7, v6
	v_lshlrev_b32_e32 v7, 23, v7
	v_lshrrev_b32_e32 v9, 4, v9
	v_add_u32_e32 v8, 0x1000000, v6
	v_sub_u32_e32 v7, v9, v7
	v_ashrrev_i32_e32 v8, 8, v8
	v_add_u32_e32 v7, 0x3c000000, v7
	v_and_or_b32 v7, v8, s0, v7
	v_cmp_ne_u32_e32 vcc, 0, v6
	v_cndmask_b32_e32 v6, 0, v7, vcc
	s_brev_b32 s0, 1
	v_and_or_b32 v5, v5, s0, v6
	v_cvt_f16_f32_e32 v5, v5
.LBB14_579:
	s_mov_b64 s[0:1], 0
.LBB14_580:
	s_andn2_b64 vcc, exec, s[0:1]
	s_cbranch_vccnz .LBB14_582
; %bb.581:
	global_load_ubyte v5, v[0:1], off
	s_movk_i32 s0, 0x7f00
	s_brev_b32 s1, 16
	s_waitcnt vmcnt(0)
	v_lshlrev_b16_e32 v6, 8, v5
	v_lshlrev_b32_e32 v5, 25, v5
	v_lshrrev_b32_e32 v7, 4, v5
	v_and_or_b32 v8, v6, s0, 0.5
	v_or_b32_e32 v7, 0x70000000, v7
	v_add_f32_e32 v8, -0.5, v8
	v_mul_f32_e32 v7, 0x7800000, v7
	v_cmp_gt_u32_e32 vcc, s1, v5
	v_bfe_i32 v6, v6, 0, 16
	v_cndmask_b32_e32 v5, v7, v8, vcc
	s_brev_b32 s0, 1
	v_and_or_b32 v5, v6, s0, v5
	v_cvt_f16_f32_e32 v5, v5
.LBB14_582:
	s_mov_b64 s[30:31], 0
	s_mov_b64 s[0:1], -1
.LBB14_583:
	s_andn2_b64 vcc, exec, s[30:31]
	s_cbranch_vccnz .LBB14_596
; %bb.584:
	v_cmp_lt_i16_e32 vcc, 14, v3
	s_cbranch_vccz .LBB14_587
; %bb.585:
	v_cmp_eq_u16_e32 vcc, 15, v3
	s_cbranch_vccz .LBB14_590
; %bb.586:
	global_load_ushort v5, v[0:1], off
	s_mov_b64 s[0:1], -1
	s_mov_b64 s[28:29], 0
	s_waitcnt vmcnt(0)
	v_lshlrev_b32_e32 v5, 16, v5
	v_cvt_f16_f32_e32 v5, v5
	s_branch .LBB14_591
.LBB14_587:
	s_mov_b64 s[30:31], -1
                                        ; implicit-def: $vgpr5
	s_branch .LBB14_592
.LBB14_588:
	s_or_saveexec_b64 s[30:31], s[30:31]
	v_mov_b32_e32 v5, s36
	s_xor_b64 exec, exec, s[30:31]
	s_cbranch_execz .LBB14_569
.LBB14_589:
	v_cmp_ne_u16_e32 vcc, 0, v6
	s_andn2_b64 s[0:1], s[0:1], exec
	s_and_b64 s[34:35], vcc, exec
	s_or_b64 s[0:1], s[0:1], s[34:35]
	v_mov_b32_e32 v5, v6
	s_or_b64 exec, exec, s[30:31]
	s_and_saveexec_b64 s[30:31], s[0:1]
	s_cbranch_execnz .LBB14_570
	s_branch .LBB14_571
.LBB14_590:
	s_mov_b64 s[28:29], -1
                                        ; implicit-def: $vgpr5
.LBB14_591:
	s_mov_b64 s[30:31], 0
.LBB14_592:
	s_and_b64 vcc, exec, s[30:31]
	s_cbranch_vccz .LBB14_596
; %bb.593:
	v_cmp_eq_u16_e32 vcc, 11, v3
	s_cbranch_vccz .LBB14_595
; %bb.594:
	global_load_ubyte v5, v[0:1], off
	v_mov_b32_e32 v6, 0x3c00
	s_mov_b64 s[0:1], -1
	s_mov_b64 s[28:29], 0
	s_waitcnt vmcnt(0)
	v_cmp_ne_u16_e32 vcc, 0, v5
	v_cndmask_b32_e32 v5, 0, v6, vcc
	s_branch .LBB14_596
.LBB14_595:
	s_mov_b64 s[28:29], -1
                                        ; implicit-def: $vgpr5
.LBB14_596:
	s_mov_b64 s[30:31], 0
.LBB14_597:
	s_and_b64 vcc, exec, s[30:31]
	s_cbranch_vccz .LBB14_646
; %bb.598:
	v_cmp_gt_i16_e32 vcc, 5, v3
	s_cbranch_vccnz .LBB14_603
; %bb.599:
	v_cmp_gt_i16_e32 vcc, 8, v3
	s_cbranch_vccnz .LBB14_604
	;; [unrolled: 3-line block ×3, first 2 shown]
; %bb.601:
	v_cmp_lt_i16_e32 vcc, 9, v3
	s_cbranch_vccz .LBB14_606
; %bb.602:
	global_load_dwordx2 v[6:7], v[0:1], off
	s_mov_b64 s[0:1], 0
	s_waitcnt vmcnt(0)
	v_cvt_f32_f64_e32 v5, v[6:7]
	v_cvt_f16_f32_e32 v5, v5
	s_branch .LBB14_607
.LBB14_603:
	s_mov_b64 s[0:1], -1
                                        ; implicit-def: $vgpr5
	s_branch .LBB14_625
.LBB14_604:
	s_mov_b64 s[0:1], -1
                                        ; implicit-def: $vgpr5
	s_branch .LBB14_613
.LBB14_605:
	s_mov_b64 s[0:1], -1
                                        ; implicit-def: $vgpr5
	s_branch .LBB14_610
.LBB14_606:
	s_mov_b64 s[0:1], -1
                                        ; implicit-def: $vgpr5
.LBB14_607:
	s_andn2_b64 vcc, exec, s[0:1]
	s_cbranch_vccnz .LBB14_609
; %bb.608:
	global_load_dword v5, v[0:1], off
	s_waitcnt vmcnt(0)
	v_cvt_f16_f32_e32 v5, v5
.LBB14_609:
	s_mov_b64 s[0:1], 0
.LBB14_610:
	s_andn2_b64 vcc, exec, s[0:1]
	s_cbranch_vccnz .LBB14_612
; %bb.611:
	global_load_dword v5, v[0:1], off
.LBB14_612:
	s_mov_b64 s[0:1], 0
.LBB14_613:
	s_andn2_b64 vcc, exec, s[0:1]
	s_cbranch_vccnz .LBB14_624
; %bb.614:
	v_cmp_gt_i16_e32 vcc, 6, v3
	s_cbranch_vccnz .LBB14_617
; %bb.615:
	v_cmp_lt_i16_e32 vcc, 6, v3
	s_cbranch_vccz .LBB14_618
; %bb.616:
	global_load_dwordx2 v[6:7], v[0:1], off
	s_mov_b64 s[0:1], 0
	s_waitcnt vmcnt(0)
	v_cvt_f32_f64_e32 v5, v[6:7]
	v_cvt_f16_f32_e32 v5, v5
	s_branch .LBB14_619
.LBB14_617:
	s_mov_b64 s[0:1], -1
                                        ; implicit-def: $vgpr5
	s_branch .LBB14_622
.LBB14_618:
	s_mov_b64 s[0:1], -1
                                        ; implicit-def: $vgpr5
.LBB14_619:
	s_andn2_b64 vcc, exec, s[0:1]
	s_cbranch_vccnz .LBB14_621
; %bb.620:
	global_load_dword v5, v[0:1], off
	s_waitcnt vmcnt(0)
	v_cvt_f16_f32_e32 v5, v5
.LBB14_621:
	s_mov_b64 s[0:1], 0
.LBB14_622:
	s_andn2_b64 vcc, exec, s[0:1]
	s_cbranch_vccnz .LBB14_624
; %bb.623:
	global_load_ushort v5, v[0:1], off
.LBB14_624:
	s_mov_b64 s[0:1], 0
.LBB14_625:
	s_andn2_b64 vcc, exec, s[0:1]
	s_cbranch_vccnz .LBB14_645
; %bb.626:
	v_cmp_gt_i16_e32 vcc, 2, v3
	s_cbranch_vccnz .LBB14_630
; %bb.627:
	v_cmp_gt_i16_e32 vcc, 3, v3
	s_cbranch_vccnz .LBB14_631
; %bb.628:
	v_cmp_lt_i16_e32 vcc, 3, v3
	s_cbranch_vccz .LBB14_632
; %bb.629:
	global_load_dwordx2 v[6:7], v[0:1], off
	s_mov_b64 s[0:1], 0
	s_waitcnt vmcnt(0)
	v_xor_b32_e32 v8, v6, v7
	v_ffbh_i32_e32 v5, v7
	v_ashrrev_i32_e32 v8, 31, v8
	v_add_u32_e32 v5, -1, v5
	v_add_u32_e32 v8, 32, v8
	v_min_u32_e32 v5, v5, v8
	v_lshlrev_b64 v[6:7], v5, v[6:7]
	v_min_u32_e32 v6, 1, v6
	v_or_b32_e32 v6, v7, v6
	v_cvt_f32_i32_e32 v6, v6
	v_sub_u32_e32 v5, 32, v5
	v_ldexp_f32 v5, v6, v5
	v_cvt_f16_f32_e32 v5, v5
	s_branch .LBB14_633
.LBB14_630:
	s_mov_b64 s[0:1], -1
                                        ; implicit-def: $vgpr5
	s_branch .LBB14_639
.LBB14_631:
	s_mov_b64 s[0:1], -1
                                        ; implicit-def: $vgpr5
	s_branch .LBB14_636
.LBB14_632:
	s_mov_b64 s[0:1], -1
                                        ; implicit-def: $vgpr5
.LBB14_633:
	s_andn2_b64 vcc, exec, s[0:1]
	s_cbranch_vccnz .LBB14_635
; %bb.634:
	global_load_dword v5, v[0:1], off
	s_waitcnt vmcnt(0)
	v_cvt_f32_i32_e32 v5, v5
	v_cvt_f16_f32_e32 v5, v5
.LBB14_635:
	s_mov_b64 s[0:1], 0
.LBB14_636:
	s_andn2_b64 vcc, exec, s[0:1]
	s_cbranch_vccnz .LBB14_638
; %bb.637:
	global_load_ushort v5, v[0:1], off
	s_waitcnt vmcnt(0)
	v_cvt_f16_i16_e32 v5, v5
.LBB14_638:
	s_mov_b64 s[0:1], 0
.LBB14_639:
	s_andn2_b64 vcc, exec, s[0:1]
	s_cbranch_vccnz .LBB14_645
; %bb.640:
	v_cmp_lt_i16_e32 vcc, 0, v3
	s_cbranch_vccz .LBB14_642
; %bb.641:
	global_load_sbyte v5, v[0:1], off
	s_mov_b64 s[0:1], 0
	s_waitcnt vmcnt(0)
	v_cvt_f16_i16_e32 v5, v5
	s_branch .LBB14_643
.LBB14_642:
	s_mov_b64 s[0:1], -1
                                        ; implicit-def: $vgpr5
.LBB14_643:
	s_andn2_b64 vcc, exec, s[0:1]
	s_cbranch_vccnz .LBB14_645
; %bb.644:
	global_load_ubyte v0, v[0:1], off
	s_waitcnt vmcnt(0)
	v_cvt_f16_u16_e32 v5, v0
.LBB14_645:
	s_mov_b64 s[0:1], -1
.LBB14_646:
	s_andn2_b64 vcc, exec, s[0:1]
	s_cbranch_vccnz .LBB14_654
; %bb.647:
	v_mul_lo_u32 v0, v2, s12
	v_ashrrev_i32_e32 v1, 31, v0
	v_mov_b32_e32 v7, s9
	v_add_co_u32_e32 v0, vcc, s8, v0
	v_addc_co_u32_e32 v1, vcc, v7, v1, vcc
	v_mov_b32_e32 v7, 11
	s_waitcnt vmcnt(0)
	v_and_b32_e32 v6, 0x7fff, v5
	v_cmp_lt_i16_sdwa s[0:1], s15, v7 src0_sel:BYTE_0 src1_sel:DWORD
	v_or_b32_e32 v5, v6, v4
	s_and_b64 vcc, exec, s[0:1]
	s_cbranch_vccnz .LBB14_655
; %bb.648:
	v_mov_b32_e32 v7, 25
	v_cmp_gt_i16_sdwa s[0:1], s15, v7 src0_sel:BYTE_0 src1_sel:DWORD
	s_and_b64 vcc, exec, s[0:1]
	s_cbranch_vccz .LBB14_656
; %bb.649:
	v_mov_b32_e32 v7, 28
	v_cmp_gt_i16_sdwa s[0:1], s15, v7 src0_sel:BYTE_0 src1_sel:DWORD
	s_and_b64 vcc, exec, s[0:1]
	s_cbranch_vccz .LBB14_657
	;; [unrolled: 5-line block ×4, first 2 shown]
; %bb.652:
	v_mov_b32_e32 v7, 46
	v_cmp_eq_u16_sdwa s[30:31], s15, v7 src0_sel:BYTE_0 src1_sel:DWORD
	s_mov_b64 s[34:35], 0
	s_mov_b64 s[0:1], -1
	s_and_b64 vcc, exec, s[30:31]
	s_mov_b64 s[30:31], 0
	s_cbranch_vccz .LBB14_660
; %bb.653:
	v_cvt_f32_f16_e32 v7, v5
	s_movk_i32 s0, 0x7fff
	v_mov_b32_e32 v8, 0x7fc0
	v_cmp_o_f16_e32 vcc, v5, v5
	v_bfe_u32 v9, v7, 16, 1
	v_add3_u32 v7, v7, v9, s0
	v_lshrrev_b32_e32 v7, 16, v7
	v_cndmask_b32_e32 v7, v8, v7, vcc
	global_store_dword v[0:1], v7, off
	s_mov_b64 s[30:31], -1
	s_mov_b64 s[0:1], 0
	s_branch .LBB14_660
.LBB14_654:
	s_mov_b64 s[34:35], 0
                                        ; implicit-def: $vgpr2
	s_mov_b64 s[0:1], s[22:23]
	s_branch .LBB14_771
.LBB14_655:
	s_mov_b64 s[34:35], -1
	s_mov_b64 s[30:31], 0
	s_mov_b64 s[0:1], s[22:23]
	s_branch .LBB14_729
.LBB14_656:
	s_mov_b64 s[34:35], -1
	s_mov_b64 s[30:31], 0
	s_mov_b64 s[0:1], s[22:23]
	s_branch .LBB14_687
.LBB14_657:
	s_mov_b64 s[34:35], -1
	s_mov_b64 s[30:31], 0
	s_mov_b64 s[0:1], s[22:23]
	s_branch .LBB14_670
.LBB14_658:
	s_mov_b64 s[34:35], -1
	s_mov_b64 s[30:31], 0
	s_mov_b64 s[0:1], s[22:23]
	s_branch .LBB14_666
.LBB14_659:
	s_mov_b64 s[34:35], -1
	s_mov_b64 s[30:31], 0
	s_mov_b64 s[0:1], s[22:23]
.LBB14_660:
	s_and_b64 vcc, exec, s[34:35]
	s_cbranch_vccz .LBB14_665
; %bb.661:
	v_mov_b32_e32 v7, 44
	v_cmp_eq_u16_sdwa s[34:35], s15, v7 src0_sel:BYTE_0 src1_sel:DWORD
	s_mov_b64 s[0:1], -1
	s_and_b64 vcc, exec, s[34:35]
	s_cbranch_vccz .LBB14_665
; %bb.662:
	v_cvt_f32_f16_e32 v7, v5
	s_movk_i32 s0, 0xff
	v_mov_b32_e32 v9, 0xff
	v_bfe_u32 v8, v7, 23, 8
	v_cmp_ne_u32_e32 vcc, s0, v8
	s_and_saveexec_b64 s[30:31], vcc
; %bb.663:
	s_mov_b32 s0, 0x3fffff
	v_lshrrev_b32_e32 v9, 23, v7
	v_and_b32_e32 v10, 0x400000, v7
	v_and_or_b32 v7, v7, s0, v8
	v_cmp_ne_u32_e32 vcc, 0, v10
	v_cmp_ne_u32_e64 s[0:1], 0, v7
	s_and_b64 s[0:1], vcc, s[0:1]
	v_cndmask_b32_e64 v7, 0, 1, s[0:1]
	v_add_u32_e32 v9, v9, v7
; %bb.664:
	s_or_b64 exec, exec, s[30:31]
	s_mov_b64 s[30:31], -1
	s_mov_b64 s[0:1], 0
	global_store_byte v[0:1], v9, off
.LBB14_665:
	s_mov_b64 s[34:35], 0
.LBB14_666:
	s_and_b64 vcc, exec, s[34:35]
	s_cbranch_vccz .LBB14_669
; %bb.667:
	v_mov_b32_e32 v7, 29
	v_cmp_eq_u16_sdwa s[34:35], s15, v7 src0_sel:BYTE_0 src1_sel:DWORD
	s_mov_b64 s[0:1], -1
	s_and_b64 vcc, exec, s[34:35]
	s_cbranch_vccz .LBB14_669
; %bb.668:
	v_cvt_f32_f16_e32 v7, v5
	v_mov_b32_e32 v9, 0
	s_mov_b64 s[30:31], -1
	s_mov_b64 s[0:1], 0
	v_cvt_u32_f32_e32 v8, v7
	s_mov_b64 s[34:35], 0
	global_store_dwordx2 v[0:1], v[8:9], off
	s_branch .LBB14_670
.LBB14_669:
	s_mov_b64 s[34:35], 0
.LBB14_670:
	s_and_b64 vcc, exec, s[34:35]
	s_cbranch_vccz .LBB14_686
; %bb.671:
	v_mov_b32_e32 v7, 27
	v_cmp_lt_i16_sdwa s[34:35], s15, v7 src0_sel:BYTE_0 src1_sel:DWORD
	s_mov_b64 s[30:31], -1
	s_and_b64 vcc, exec, s[34:35]
	s_cbranch_vccnz .LBB14_677
; %bb.672:
	v_cmp_gt_i16_sdwa s[34:35], s15, v7 src0_sel:BYTE_0 src1_sel:DWORD
	s_and_b64 vcc, exec, s[34:35]
	s_cbranch_vccz .LBB14_674
; %bb.673:
	v_cvt_f32_f16_e32 v7, v5
	s_mov_b64 s[30:31], 0
	v_cvt_u32_f32_e32 v7, v7
	global_store_dword v[0:1], v7, off
.LBB14_674:
	s_andn2_b64 vcc, exec, s[30:31]
	s_cbranch_vccnz .LBB14_676
; %bb.675:
	v_cvt_u16_f16_e32 v7, v5
	global_store_short v[0:1], v7, off
.LBB14_676:
	s_mov_b64 s[30:31], 0
.LBB14_677:
	s_andn2_b64 vcc, exec, s[30:31]
	s_cbranch_vccnz .LBB14_685
; %bb.678:
	v_cvt_f32_f16_e32 v7, v5
	s_mov_b32 s30, 0x43800000
	v_mov_b32_e32 v9, 0x80
	v_and_b32_e32 v8, 0x7fffffff, v7
	v_cmp_gt_u32_e32 vcc, s30, v8
	s_and_saveexec_b64 s[30:31], vcc
	s_cbranch_execz .LBB14_684
; %bb.679:
	s_mov_b32 s34, 0x3bffffff
	v_cmp_lt_u32_e32 vcc, s34, v8
	s_mov_b64 s[34:35], 0
                                        ; implicit-def: $vgpr8
	s_and_saveexec_b64 s[36:37], vcc
	s_xor_b64 s[36:37], exec, s[36:37]
	s_cbranch_execz .LBB14_785
; %bb.680:
	v_bfe_u32 v8, v7, 20, 1
	s_mov_b32 s38, 0x487ffff
	v_add3_u32 v8, v7, v8, s38
	s_mov_b64 s[34:35], exec
	v_lshrrev_b32_e32 v8, 20, v8
	s_or_saveexec_b64 s[36:37], s[36:37]
                                        ; implicit-def: $sgpr38
	s_xor_b64 exec, exec, s[36:37]
	s_cbranch_execnz .LBB14_786
.LBB14_681:
	s_or_b64 exec, exec, s[36:37]
	v_mov_b32_e32 v9, s38
	s_and_saveexec_b64 s[36:37], s[34:35]
.LBB14_682:
	v_lshrrev_b32_e32 v7, 24, v7
	s_movk_i32 s34, 0x80
	v_and_or_b32 v9, v7, s34, v8
.LBB14_683:
	s_or_b64 exec, exec, s[36:37]
.LBB14_684:
	s_or_b64 exec, exec, s[30:31]
	global_store_byte v[0:1], v9, off
.LBB14_685:
	s_mov_b64 s[30:31], -1
.LBB14_686:
	s_mov_b64 s[34:35], 0
.LBB14_687:
	s_and_b64 vcc, exec, s[34:35]
	s_cbranch_vccz .LBB14_728
; %bb.688:
	v_mov_b32_e32 v7, 22
	v_cmp_gt_i16_sdwa s[36:37], s15, v7 src0_sel:BYTE_0 src1_sel:DWORD
	s_mov_b64 s[34:35], -1
	s_and_b64 vcc, exec, s[36:37]
	s_cbranch_vccz .LBB14_720
; %bb.689:
	v_mov_b32_e32 v7, 24
	v_cmp_lt_i16_sdwa s[34:35], s15, v7 src0_sel:BYTE_0 src1_sel:DWORD
	s_mov_b64 s[30:31], -1
	s_and_b64 vcc, exec, s[34:35]
	s_cbranch_vccnz .LBB14_709
; %bb.690:
	v_cmp_gt_i16_sdwa s[34:35], s15, v7 src0_sel:BYTE_0 src1_sel:DWORD
	s_and_b64 vcc, exec, s[34:35]
	s_cbranch_vccz .LBB14_698
; %bb.691:
	v_cvt_f32_f16_e32 v7, v5
	s_mov_b32 s30, 0x47800000
	v_mov_b32_e32 v9, 0x80
	v_and_b32_e32 v8, 0x7fffffff, v7
	v_cmp_gt_u32_e32 vcc, s30, v8
	s_and_saveexec_b64 s[30:31], vcc
	s_cbranch_execz .LBB14_697
; %bb.692:
	s_mov_b32 s34, 0x37ffffff
	v_cmp_lt_u32_e32 vcc, s34, v8
	s_mov_b64 s[34:35], 0
                                        ; implicit-def: $vgpr8
	s_and_saveexec_b64 s[36:37], vcc
	s_xor_b64 s[36:37], exec, s[36:37]
	s_cbranch_execz .LBB14_788
; %bb.693:
	v_bfe_u32 v8, v7, 21, 1
	s_mov_b32 s38, 0x88fffff
	v_add3_u32 v8, v7, v8, s38
	s_mov_b64 s[34:35], exec
	v_lshrrev_b32_e32 v8, 21, v8
	s_or_saveexec_b64 s[36:37], s[36:37]
                                        ; implicit-def: $sgpr38
	s_xor_b64 exec, exec, s[36:37]
	s_cbranch_execnz .LBB14_789
.LBB14_694:
	s_or_b64 exec, exec, s[36:37]
	v_mov_b32_e32 v9, s38
	s_and_saveexec_b64 s[36:37], s[34:35]
.LBB14_695:
	v_lshrrev_b32_e32 v7, 24, v7
	s_movk_i32 s34, 0x80
	v_and_or_b32 v9, v7, s34, v8
.LBB14_696:
	s_or_b64 exec, exec, s[36:37]
.LBB14_697:
	s_or_b64 exec, exec, s[30:31]
	s_mov_b64 s[30:31], 0
	global_store_byte v[0:1], v9, off
.LBB14_698:
	s_and_b64 vcc, exec, s[30:31]
	s_cbranch_vccz .LBB14_708
; %bb.699:
	v_cvt_f32_f16_e32 v7, v5
	s_mov_b32 s30, 0x43f00000
                                        ; implicit-def: $vgpr8
	v_and_b32_e32 v9, 0x7fffffff, v7
	v_cmp_gt_u32_e32 vcc, s30, v9
	s_and_saveexec_b64 s[30:31], vcc
	s_xor_b64 s[30:31], exec, s[30:31]
	s_cbranch_execz .LBB14_705
; %bb.700:
	s_mov_b32 s34, 0x3c7fffff
	v_cmp_lt_u32_e32 vcc, s34, v9
                                        ; implicit-def: $vgpr8
	s_and_saveexec_b64 s[34:35], vcc
	s_xor_b64 s[34:35], exec, s[34:35]
; %bb.701:
	v_bfe_u32 v8, v7, 20, 1
	s_mov_b32 s36, 0x407ffff
	v_add3_u32 v8, v7, v8, s36
	v_lshrrev_b32_e32 v9, 20, v8
	v_and_b32_e32 v8, 0xff00000, v8
	s_mov_b32 s36, 0x7f00000
	v_mov_b32_e32 v10, 0x7e
	v_cmp_ne_u32_e32 vcc, s36, v8
	v_cndmask_b32_e32 v8, v10, v9, vcc
; %bb.702:
	s_andn2_saveexec_b64 s[34:35], s[34:35]
; %bb.703:
	s_mov_b32 s36, 0x46800000
	v_add_f32_e64 v8, |v7|, s36
; %bb.704:
	s_or_b64 exec, exec, s[34:35]
                                        ; implicit-def: $vgpr9
.LBB14_705:
	s_andn2_saveexec_b64 s[30:31], s[30:31]
; %bb.706:
	s_mov_b32 s34, 0x7f800000
	v_mov_b32_e32 v8, 0x7e
	v_mov_b32_e32 v10, 0x7f
	v_cmp_lt_u32_e32 vcc, s34, v9
	v_cndmask_b32_e32 v8, v8, v10, vcc
; %bb.707:
	s_or_b64 exec, exec, s[30:31]
	v_lshrrev_b32_e32 v7, 24, v7
	s_movk_i32 s30, 0x80
	v_and_or_b32 v7, v7, s30, v8
	global_store_byte v[0:1], v7, off
.LBB14_708:
	s_mov_b64 s[30:31], 0
.LBB14_709:
	s_andn2_b64 vcc, exec, s[30:31]
	s_cbranch_vccnz .LBB14_719
; %bb.710:
	v_cvt_f32_f16_e32 v7, v5
	s_mov_b32 s30, 0x47800000
                                        ; implicit-def: $vgpr8
	v_and_b32_e32 v9, 0x7fffffff, v7
	v_cmp_gt_u32_e32 vcc, s30, v9
	s_and_saveexec_b64 s[30:31], vcc
	s_xor_b64 s[30:31], exec, s[30:31]
	s_cbranch_execz .LBB14_716
; %bb.711:
	s_mov_b32 s34, 0x387fffff
	v_cmp_lt_u32_e32 vcc, s34, v9
                                        ; implicit-def: $vgpr8
	s_and_saveexec_b64 s[34:35], vcc
	s_xor_b64 s[34:35], exec, s[34:35]
; %bb.712:
	v_bfe_u32 v8, v7, 21, 1
	s_mov_b32 s36, 0x80fffff
	v_add3_u32 v8, v7, v8, s36
	v_lshrrev_b32_e32 v8, 21, v8
; %bb.713:
	s_andn2_saveexec_b64 s[34:35], s[34:35]
; %bb.714:
	s_mov_b32 s36, 0x43000000
	v_add_f32_e64 v8, |v7|, s36
; %bb.715:
	s_or_b64 exec, exec, s[34:35]
                                        ; implicit-def: $vgpr9
.LBB14_716:
	s_andn2_saveexec_b64 s[30:31], s[30:31]
; %bb.717:
	s_mov_b32 s34, 0x7f800000
	v_mov_b32_e32 v8, 0x7c
	v_mov_b32_e32 v10, 0x7f
	v_cmp_lt_u32_e32 vcc, s34, v9
	v_cndmask_b32_e32 v8, v8, v10, vcc
; %bb.718:
	s_or_b64 exec, exec, s[30:31]
	v_lshrrev_b32_e32 v7, 24, v7
	s_movk_i32 s30, 0x80
	v_and_or_b32 v7, v7, s30, v8
	global_store_byte v[0:1], v7, off
.LBB14_719:
	s_mov_b64 s[34:35], 0
	s_mov_b64 s[30:31], -1
.LBB14_720:
	s_andn2_b64 vcc, exec, s[34:35]
	s_cbranch_vccnz .LBB14_728
; %bb.721:
	v_mov_b32_e32 v7, 14
	v_cmp_gt_i16_sdwa s[36:37], s15, v7 src0_sel:BYTE_0 src1_sel:DWORD
	s_mov_b64 s[34:35], -1
	s_and_b64 vcc, exec, s[36:37]
	s_cbranch_vccz .LBB14_725
; %bb.722:
	v_mov_b32_e32 v7, 15
	v_cmp_eq_u16_sdwa s[34:35], s15, v7 src0_sel:BYTE_0 src1_sel:DWORD
	s_mov_b64 s[0:1], -1
	s_and_b64 vcc, exec, s[34:35]
	s_cbranch_vccz .LBB14_724
; %bb.723:
	v_cvt_f32_f16_e32 v7, v5
	s_movk_i32 s0, 0x7fff
	v_mov_b32_e32 v8, 0x7fc0
	v_cmp_o_f16_e32 vcc, v5, v5
	v_bfe_u32 v9, v7, 16, 1
	v_add3_u32 v7, v7, v9, s0
	v_lshrrev_b32_e32 v7, 16, v7
	v_cndmask_b32_e32 v7, v8, v7, vcc
	global_store_short v[0:1], v7, off
	s_mov_b64 s[30:31], -1
	s_mov_b64 s[0:1], 0
.LBB14_724:
	s_mov_b64 s[34:35], 0
.LBB14_725:
	s_and_b64 vcc, exec, s[34:35]
	s_cbranch_vccz .LBB14_728
; %bb.726:
	v_mov_b32_e32 v7, 11
	v_cmp_eq_u16_sdwa s[34:35], s15, v7 src0_sel:BYTE_0 src1_sel:DWORD
	s_mov_b64 s[0:1], -1
	s_and_b64 vcc, exec, s[34:35]
	s_cbranch_vccz .LBB14_728
; %bb.727:
	v_cmp_ne_u16_e32 vcc, 0, v6
	v_cndmask_b32_e64 v6, 0, 1, vcc
	s_mov_b64 s[30:31], -1
	s_mov_b64 s[0:1], 0
	global_store_byte v[0:1], v6, off
.LBB14_728:
	s_mov_b64 s[34:35], 0
.LBB14_729:
	s_and_b64 vcc, exec, s[34:35]
	s_cbranch_vccz .LBB14_768
; %bb.730:
	v_mov_b32_e32 v6, 5
	v_cmp_lt_i16_sdwa s[34:35], s15, v6 src0_sel:BYTE_0 src1_sel:DWORD
	s_mov_b64 s[30:31], -1
	s_and_b64 vcc, exec, s[34:35]
	s_cbranch_vccnz .LBB14_751
; %bb.731:
	v_mov_b32_e32 v6, 8
	v_cmp_lt_i16_sdwa s[34:35], s15, v6 src0_sel:BYTE_0 src1_sel:DWORD
	s_and_b64 vcc, exec, s[34:35]
	s_cbranch_vccnz .LBB14_741
; %bb.732:
	v_mov_b32_e32 v6, 9
	v_cmp_lt_i16_sdwa s[34:35], s15, v6 src0_sel:BYTE_0 src1_sel:DWORD
	s_and_b64 vcc, exec, s[34:35]
	s_cbranch_vccnz .LBB14_738
; %bb.733:
	v_cmp_gt_i16_sdwa s[34:35], s15, v6 src0_sel:BYTE_0 src1_sel:DWORD
	s_and_b64 vcc, exec, s[34:35]
	s_cbranch_vccz .LBB14_735
; %bb.734:
	v_cvt_f32_f16_e32 v6, v5
	v_mov_b32_e32 v8, 0
	v_mov_b32_e32 v9, v8
	s_mov_b64 s[30:31], 0
	v_cvt_f64_f32_e32 v[6:7], v6
	global_store_dwordx4 v[0:1], v[6:9], off
.LBB14_735:
	s_andn2_b64 vcc, exec, s[30:31]
	s_cbranch_vccnz .LBB14_737
; %bb.736:
	v_cvt_f32_f16_e32 v6, v5
	v_mov_b32_e32 v7, 0
	global_store_dwordx2 v[0:1], v[6:7], off
.LBB14_737:
	s_mov_b64 s[30:31], 0
.LBB14_738:
	s_andn2_b64 vcc, exec, s[30:31]
	s_cbranch_vccnz .LBB14_740
; %bb.739:
	v_and_b32_e32 v6, 0xffff, v5
	global_store_dword v[0:1], v6, off
.LBB14_740:
	s_mov_b64 s[30:31], 0
.LBB14_741:
	s_andn2_b64 vcc, exec, s[30:31]
	s_cbranch_vccnz .LBB14_750
; %bb.742:
	v_mov_b32_e32 v6, 6
	v_cmp_lt_i16_sdwa s[34:35], s15, v6 src0_sel:BYTE_0 src1_sel:DWORD
	s_mov_b64 s[30:31], -1
	s_and_b64 vcc, exec, s[34:35]
	s_cbranch_vccnz .LBB14_748
; %bb.743:
	v_cmp_gt_i16_sdwa s[34:35], s15, v6 src0_sel:BYTE_0 src1_sel:DWORD
	s_and_b64 vcc, exec, s[34:35]
	s_cbranch_vccz .LBB14_745
; %bb.744:
	v_cvt_f32_f16_e32 v6, v5
	s_mov_b64 s[30:31], 0
	v_cvt_f64_f32_e32 v[6:7], v6
	global_store_dwordx2 v[0:1], v[6:7], off
.LBB14_745:
	s_andn2_b64 vcc, exec, s[30:31]
	s_cbranch_vccnz .LBB14_747
; %bb.746:
	v_cvt_f32_f16_e32 v6, v5
	global_store_dword v[0:1], v6, off
.LBB14_747:
	s_mov_b64 s[30:31], 0
.LBB14_748:
	s_andn2_b64 vcc, exec, s[30:31]
	s_cbranch_vccnz .LBB14_750
; %bb.749:
	global_store_short v[0:1], v5, off
.LBB14_750:
	s_mov_b64 s[30:31], 0
.LBB14_751:
	s_andn2_b64 vcc, exec, s[30:31]
	s_cbranch_vccnz .LBB14_767
; %bb.752:
	v_mov_b32_e32 v6, 2
	v_cmp_lt_i16_sdwa s[34:35], s15, v6 src0_sel:BYTE_0 src1_sel:DWORD
	s_mov_b64 s[30:31], -1
	s_and_b64 vcc, exec, s[34:35]
	s_cbranch_vccnz .LBB14_762
; %bb.753:
	v_mov_b32_e32 v6, 3
	v_cmp_lt_i16_sdwa s[34:35], s15, v6 src0_sel:BYTE_0 src1_sel:DWORD
	s_and_b64 vcc, exec, s[34:35]
	s_cbranch_vccnz .LBB14_759
; %bb.754:
	v_cmp_gt_i16_sdwa s[34:35], s15, v6 src0_sel:BYTE_0 src1_sel:DWORD
	s_and_b64 vcc, exec, s[34:35]
	s_cbranch_vccz .LBB14_756
; %bb.755:
	v_cvt_f32_f16_e32 v6, v5
	s_mov_b64 s[30:31], 0
	v_cvt_i32_f32_e32 v6, v6
	v_ashrrev_i32_e32 v7, 31, v6
	global_store_dwordx2 v[0:1], v[6:7], off
.LBB14_756:
	s_andn2_b64 vcc, exec, s[30:31]
	s_cbranch_vccnz .LBB14_758
; %bb.757:
	v_cvt_f32_f16_e32 v6, v5
	v_cvt_i32_f32_e32 v6, v6
	global_store_dword v[0:1], v6, off
.LBB14_758:
	s_mov_b64 s[30:31], 0
.LBB14_759:
	s_andn2_b64 vcc, exec, s[30:31]
	s_cbranch_vccnz .LBB14_761
; %bb.760:
	v_cvt_i16_f16_e32 v6, v5
	global_store_short v[0:1], v6, off
.LBB14_761:
	s_mov_b64 s[30:31], 0
.LBB14_762:
	s_andn2_b64 vcc, exec, s[30:31]
	s_cbranch_vccnz .LBB14_767
; %bb.763:
	v_mov_b32_e32 v6, 0
	v_cmp_gt_i16_sdwa s[34:35], s15, v6 src0_sel:BYTE_0 src1_sel:DWORD
	s_mov_b64 s[30:31], -1
	s_and_b64 vcc, exec, s[34:35]
	s_cbranch_vccz .LBB14_765
; %bb.764:
	v_cvt_i16_f16_e32 v6, v5
	s_mov_b64 s[30:31], 0
	global_store_byte v[0:1], v6, off
.LBB14_765:
	s_andn2_b64 vcc, exec, s[30:31]
	s_cbranch_vccnz .LBB14_767
; %bb.766:
	v_cvt_f32_f16_e32 v5, v5
	v_cvt_i32_f32_e32 v5, v5
	global_store_byte v[0:1], v5, off
.LBB14_767:
	s_mov_b64 s[30:31], -1
.LBB14_768:
	s_andn2_b64 vcc, exec, s[30:31]
	s_cbranch_vccnz .LBB14_770
; %bb.769:
	v_add_u32_e32 v2, 0x80, v2
	s_mov_b64 s[34:35], -1
	s_branch .LBB14_771
.LBB14_770:
	s_mov_b64 s[34:35], 0
                                        ; implicit-def: $vgpr2
.LBB14_771:
	s_andn2_b64 s[30:31], s[22:23], exec
	s_and_b64 s[0:1], s[0:1], exec
	s_or_b64 s[30:31], s[30:31], s[0:1]
	s_andn2_b64 s[0:1], s[20:21], exec
	s_and_b64 s[28:29], s[28:29], exec
	s_or_b64 s[0:1], s[0:1], s[28:29]
	s_orn2_b64 s[36:37], s[34:35], exec
.LBB14_772:
	s_or_b64 exec, exec, s[26:27]
	s_mov_b64 s[34:35], 0
	s_mov_b64 s[28:29], 0
	;; [unrolled: 1-line block ×3, first 2 shown]
                                        ; implicit-def: $vgpr0_vgpr1
                                        ; implicit-def: $vgpr6
	s_and_saveexec_b64 s[26:27], s[36:37]
	s_cbranch_execz .LBB14_857
; %bb.773:
	v_cmp_gt_i32_e32 vcc, s33, v2
	s_mov_b64 s[36:37], 0
	s_mov_b64 s[40:41], s[0:1]
	;; [unrolled: 1-line block ×3, first 2 shown]
                                        ; implicit-def: $vgpr0_vgpr1
                                        ; implicit-def: $vgpr6
	s_and_saveexec_b64 s[28:29], vcc
	s_cbranch_execz .LBB14_856
; %bb.774:
	v_mul_lo_u32 v0, v2, s13
	v_ashrrev_i32_e32 v1, 31, v0
	s_waitcnt vmcnt(0)
	v_mov_b32_e32 v5, s11
	v_add_co_u32_e32 v0, vcc, s10, v0
	v_addc_co_u32_e32 v1, vcc, v5, v1, vcc
	v_cmp_gt_i16_e32 vcc, 11, v3
	s_cbranch_vccnz .LBB14_781
; %bb.775:
	v_cmp_lt_i16_e32 vcc, 25, v3
	s_cbranch_vccz .LBB14_782
; %bb.776:
	v_cmp_lt_i16_e32 vcc, 28, v3
	s_cbranch_vccz .LBB14_783
	;; [unrolled: 3-line block ×4, first 2 shown]
; %bb.779:
	v_cmp_eq_u16_e32 vcc, 46, v3
	s_mov_b64 s[40:41], 0
	s_cbranch_vccz .LBB14_790
; %bb.780:
	global_load_dword v5, v[0:1], off
	s_mov_b64 s[38:39], -1
	s_waitcnt vmcnt(0)
	v_lshlrev_b32_e32 v5, 16, v5
	v_cvt_f16_f32_e32 v6, v5
	s_branch .LBB14_792
.LBB14_781:
	s_mov_b64 s[40:41], -1
                                        ; implicit-def: $vgpr6
	s_mov_b64 s[34:35], s[0:1]
	s_branch .LBB14_855
.LBB14_782:
	s_mov_b64 s[40:41], -1
	s_mov_b64 s[34:35], s[0:1]
                                        ; implicit-def: $vgpr6
	s_branch .LBB14_821
.LBB14_783:
	s_mov_b64 s[40:41], -1
	s_mov_b64 s[34:35], s[0:1]
                                        ; implicit-def: $vgpr6
	s_branch .LBB14_802
.LBB14_784:
	s_mov_b64 s[40:41], -1
	s_mov_b64 s[34:35], s[0:1]
                                        ; implicit-def: $vgpr6
	s_branch .LBB14_797
.LBB14_785:
	s_or_saveexec_b64 s[36:37], s[36:37]
                                        ; implicit-def: $sgpr38
	s_xor_b64 exec, exec, s[36:37]
	s_cbranch_execz .LBB14_681
.LBB14_786:
	s_mov_b32 s38, 0x46000000
	v_add_f32_e64 v8, |v7|, s38
	v_and_b32_e32 v8, 0xff, v8
	v_cmp_ne_u32_e32 vcc, 0, v8
	s_andn2_b64 s[34:35], s[34:35], exec
	s_and_b64 s[40:41], vcc, exec
	s_mov_b32 s38, 0
	s_or_b64 s[34:35], s[34:35], s[40:41]
	s_or_b64 exec, exec, s[36:37]
	v_mov_b32_e32 v9, s38
	s_and_saveexec_b64 s[36:37], s[34:35]
	s_cbranch_execnz .LBB14_682
	s_branch .LBB14_683
.LBB14_787:
	s_mov_b64 s[40:41], -1
	s_mov_b64 s[34:35], s[0:1]
	s_branch .LBB14_791
.LBB14_788:
	s_or_saveexec_b64 s[36:37], s[36:37]
                                        ; implicit-def: $sgpr38
	s_xor_b64 exec, exec, s[36:37]
	s_cbranch_execz .LBB14_694
.LBB14_789:
	s_mov_b32 s38, 0x42800000
	v_add_f32_e64 v8, |v7|, s38
	v_and_b32_e32 v8, 0xff, v8
	v_cmp_ne_u32_e32 vcc, 0, v8
	s_andn2_b64 s[34:35], s[34:35], exec
	s_and_b64 s[40:41], vcc, exec
	s_mov_b32 s38, 0
	s_or_b64 s[34:35], s[34:35], s[40:41]
	s_or_b64 exec, exec, s[36:37]
	v_mov_b32_e32 v9, s38
	s_and_saveexec_b64 s[36:37], s[34:35]
	s_cbranch_execnz .LBB14_695
	s_branch .LBB14_696
.LBB14_790:
	s_mov_b64 s[34:35], -1
.LBB14_791:
                                        ; implicit-def: $vgpr6
.LBB14_792:
	s_and_b64 vcc, exec, s[40:41]
	s_cbranch_vccz .LBB14_796
; %bb.793:
	v_cmp_eq_u16_e32 vcc, 44, v3
	s_cbranch_vccz .LBB14_795
; %bb.794:
	global_load_ubyte v5, v[0:1], off
	s_movk_i32 s33, 0xff
	v_mov_b32_e32 v7, 0x7e00
	s_mov_b64 s[34:35], 0
	s_mov_b64 s[38:39], -1
	s_waitcnt vmcnt(0)
	v_lshlrev_b32_e32 v6, 23, v5
	v_cvt_f16_f32_e32 v6, v6
	v_cmp_ne_u32_e32 vcc, s33, v5
	v_cndmask_b32_e32 v6, v7, v6, vcc
	v_cmp_ne_u32_e32 vcc, 0, v5
	v_cndmask_b32_e32 v6, 0, v6, vcc
	s_branch .LBB14_796
.LBB14_795:
	s_mov_b64 s[34:35], -1
                                        ; implicit-def: $vgpr6
.LBB14_796:
	s_mov_b64 s[40:41], 0
.LBB14_797:
	s_and_b64 vcc, exec, s[40:41]
	s_cbranch_vccz .LBB14_801
; %bb.798:
	v_cmp_eq_u16_e32 vcc, 29, v3
	s_cbranch_vccz .LBB14_800
; %bb.799:
	global_load_dwordx2 v[6:7], v[0:1], off
	s_mov_b64 s[34:35], 0
	s_mov_b64 s[38:39], -1
	s_mov_b64 s[40:41], 0
	s_waitcnt vmcnt(0)
	v_ffbh_u32_e32 v5, v7
	v_min_u32_e32 v5, 32, v5
	v_lshlrev_b64 v[6:7], v5, v[6:7]
	v_min_u32_e32 v6, 1, v6
	v_or_b32_e32 v6, v7, v6
	v_cvt_f32_u32_e32 v6, v6
	v_sub_u32_e32 v5, 32, v5
	v_ldexp_f32 v5, v6, v5
	v_cvt_f16_f32_e32 v6, v5
	s_branch .LBB14_802
.LBB14_800:
	s_mov_b64 s[34:35], -1
                                        ; implicit-def: $vgpr6
.LBB14_801:
	s_mov_b64 s[40:41], 0
.LBB14_802:
	s_and_b64 vcc, exec, s[40:41]
	s_cbranch_vccz .LBB14_820
; %bb.803:
	v_cmp_gt_i16_e32 vcc, 27, v3
	s_cbranch_vccnz .LBB14_806
; %bb.804:
	v_cmp_lt_i16_e32 vcc, 27, v3
	s_cbranch_vccz .LBB14_807
; %bb.805:
	global_load_dword v5, v[0:1], off
	s_mov_b64 s[38:39], 0
	s_waitcnt vmcnt(0)
	v_cvt_f32_u32_e32 v5, v5
	v_cvt_f16_f32_e32 v6, v5
	s_branch .LBB14_808
.LBB14_806:
	s_mov_b64 s[38:39], -1
                                        ; implicit-def: $vgpr6
	s_branch .LBB14_811
.LBB14_807:
	s_mov_b64 s[38:39], -1
                                        ; implicit-def: $vgpr6
.LBB14_808:
	s_andn2_b64 vcc, exec, s[38:39]
	s_cbranch_vccnz .LBB14_810
; %bb.809:
	global_load_ushort v5, v[0:1], off
	s_waitcnt vmcnt(0)
	v_cvt_f16_u16_e32 v6, v5
.LBB14_810:
	s_mov_b64 s[38:39], 0
.LBB14_811:
	s_andn2_b64 vcc, exec, s[38:39]
	s_cbranch_vccnz .LBB14_819
; %bb.812:
	global_load_ubyte v5, v[0:1], off
	s_movk_i32 s33, 0x7f
	s_mov_b64 s[38:39], 0
	s_waitcnt vmcnt(0)
	v_cmp_lt_i16_e32 vcc, s33, v5
                                        ; implicit-def: $sgpr33
	s_and_saveexec_b64 s[40:41], vcc
	s_xor_b64 s[40:41], exec, s[40:41]
	s_cbranch_execz .LBB14_833
; %bb.813:
	s_movk_i32 s33, 0x80
	v_cmp_eq_u16_e32 vcc, s33, v5
	s_mov_b64 s[38:39], -1
                                        ; implicit-def: $sgpr33
	s_and_saveexec_b64 s[42:43], vcc
; %bb.814:
	s_movk_i32 s33, 0x7e00
	s_xor_b64 s[38:39], exec, -1
; %bb.815:
	s_or_b64 exec, exec, s[42:43]
	s_and_b64 s[38:39], s[38:39], exec
	s_or_saveexec_b64 s[40:41], s[40:41]
	v_mov_b32_e32 v6, s33
	s_xor_b64 exec, exec, s[40:41]
	s_cbranch_execnz .LBB14_834
.LBB14_816:
	s_or_b64 exec, exec, s[40:41]
	s_and_saveexec_b64 s[40:41], s[38:39]
	s_cbranch_execz .LBB14_818
.LBB14_817:
	v_lshlrev_b32_e32 v6, 24, v5
	v_and_b32_e32 v5, 0xffff, v5
	v_and_b32_e32 v7, 7, v5
	v_ffbh_u32_e32 v9, v7
	v_min_u32_e32 v9, 32, v9
	v_subrev_u32_e32 v10, 28, v9
	v_bfe_u32 v8, v5, 3, 4
	v_lshlrev_b32_e32 v5, v10, v5
	v_sub_u32_e32 v9, 29, v9
	v_and_b32_e32 v5, 7, v5
	v_cmp_eq_u32_e32 vcc, 0, v8
	v_cndmask_b32_e32 v8, v8, v9, vcc
	v_cndmask_b32_e32 v5, v7, v5, vcc
	v_mov_b32_e32 v7, 0x3b800000
	v_lshlrev_b32_e32 v5, 20, v5
	v_and_b32_e32 v6, 0x80000000, v6
	v_lshl_add_u32 v7, v8, 23, v7
	v_or3_b32 v5, v6, v7, v5
	v_cvt_f16_f32_e32 v6, v5
.LBB14_818:
	s_or_b64 exec, exec, s[40:41]
.LBB14_819:
	s_mov_b64 s[38:39], -1
.LBB14_820:
	s_mov_b64 s[40:41], 0
.LBB14_821:
	s_and_b64 vcc, exec, s[40:41]
	s_cbranch_vccz .LBB14_854
; %bb.822:
	v_cmp_lt_i16_e32 vcc, 22, v3
	s_cbranch_vccz .LBB14_832
; %bb.823:
	v_cmp_gt_i16_e32 vcc, 24, v3
	s_cbranch_vccnz .LBB14_835
; %bb.824:
	v_cmp_lt_i16_e32 vcc, 24, v3
	s_cbranch_vccz .LBB14_836
; %bb.825:
	global_load_ubyte v5, v[0:1], off
	s_movk_i32 s33, 0x7f
	s_waitcnt vmcnt(0)
	v_cmp_lt_i16_e32 vcc, s33, v5
                                        ; implicit-def: $sgpr33
	s_and_saveexec_b64 s[38:39], vcc
	s_xor_b64 s[38:39], exec, s[38:39]
	s_cbranch_execz .LBB14_848
; %bb.826:
	s_movk_i32 s33, 0x80
	v_cmp_eq_u16_e32 vcc, s33, v5
	s_mov_b64 s[36:37], -1
                                        ; implicit-def: $sgpr33
	s_and_saveexec_b64 s[40:41], vcc
; %bb.827:
	s_movk_i32 s33, 0x7e00
	s_xor_b64 s[36:37], exec, -1
; %bb.828:
	s_or_b64 exec, exec, s[40:41]
	s_and_b64 s[36:37], s[36:37], exec
	s_or_saveexec_b64 s[38:39], s[38:39]
	v_mov_b32_e32 v6, s33
	s_xor_b64 exec, exec, s[38:39]
	s_cbranch_execnz .LBB14_849
.LBB14_829:
	s_or_b64 exec, exec, s[38:39]
	s_and_saveexec_b64 s[38:39], s[36:37]
	s_cbranch_execz .LBB14_831
.LBB14_830:
	v_lshlrev_b32_e32 v6, 24, v5
	v_and_b32_e32 v5, 0xffff, v5
	v_and_b32_e32 v7, 3, v5
	v_ffbh_u32_e32 v9, v7
	v_min_u32_e32 v9, 32, v9
	v_subrev_u32_e32 v10, 29, v9
	v_bfe_u32 v8, v5, 2, 5
	v_lshlrev_b32_e32 v5, v10, v5
	v_sub_u32_e32 v9, 30, v9
	v_and_b32_e32 v5, 3, v5
	v_cmp_eq_u32_e32 vcc, 0, v8
	v_cndmask_b32_e32 v8, v8, v9, vcc
	v_cndmask_b32_e32 v5, v7, v5, vcc
	v_mov_b32_e32 v7, 0x37800000
	v_lshlrev_b32_e32 v5, 21, v5
	v_and_b32_e32 v6, 0x80000000, v6
	v_lshl_add_u32 v7, v8, 23, v7
	v_or3_b32 v5, v6, v7, v5
	v_cvt_f16_f32_e32 v6, v5
.LBB14_831:
	s_or_b64 exec, exec, s[38:39]
	s_mov_b64 s[36:37], 0
	s_branch .LBB14_837
.LBB14_832:
	s_mov_b64 s[36:37], -1
                                        ; implicit-def: $vgpr6
	s_branch .LBB14_843
.LBB14_833:
	s_or_saveexec_b64 s[40:41], s[40:41]
	v_mov_b32_e32 v6, s33
	s_xor_b64 exec, exec, s[40:41]
	s_cbranch_execz .LBB14_816
.LBB14_834:
	v_cmp_ne_u16_e32 vcc, 0, v5
	s_andn2_b64 s[38:39], s[38:39], exec
	s_and_b64 s[42:43], vcc, exec
	s_or_b64 s[38:39], s[38:39], s[42:43]
	v_mov_b32_e32 v6, v5
	s_or_b64 exec, exec, s[40:41]
	s_and_saveexec_b64 s[40:41], s[38:39]
	s_cbranch_execnz .LBB14_817
	s_branch .LBB14_818
.LBB14_835:
	s_mov_b64 s[36:37], -1
                                        ; implicit-def: $vgpr6
	s_branch .LBB14_840
.LBB14_836:
	s_mov_b64 s[36:37], -1
                                        ; implicit-def: $vgpr6
.LBB14_837:
	s_and_b64 vcc, exec, s[36:37]
	s_cbranch_vccz .LBB14_839
; %bb.838:
	global_load_ubyte v5, v[0:1], off
	s_mov_b32 s33, 0x7f800000
	s_waitcnt vmcnt(0)
	v_lshlrev_b32_e32 v5, 24, v5
	v_and_b32_e32 v6, 0x7f000000, v5
	v_ffbh_u32_e32 v7, v6
	v_min_u32_e32 v7, 32, v7
	v_sub_u32_e64 v7, v7, 4 clamp
	v_lshlrev_b32_e32 v9, v7, v6
	v_lshlrev_b32_e32 v7, 23, v7
	v_lshrrev_b32_e32 v9, 4, v9
	v_add_u32_e32 v8, 0x1000000, v6
	v_sub_u32_e32 v7, v9, v7
	v_ashrrev_i32_e32 v8, 8, v8
	v_add_u32_e32 v7, 0x3c000000, v7
	v_and_or_b32 v7, v8, s33, v7
	v_cmp_ne_u32_e32 vcc, 0, v6
	v_cndmask_b32_e32 v6, 0, v7, vcc
	s_brev_b32 s33, 1
	v_and_or_b32 v5, v5, s33, v6
	v_cvt_f16_f32_e32 v6, v5
.LBB14_839:
	s_mov_b64 s[36:37], 0
.LBB14_840:
	s_andn2_b64 vcc, exec, s[36:37]
	s_cbranch_vccnz .LBB14_842
; %bb.841:
	global_load_ubyte v5, v[0:1], off
	s_movk_i32 s33, 0x7f00
	s_brev_b32 s36, 16
	s_waitcnt vmcnt(0)
	v_lshlrev_b16_e32 v6, 8, v5
	v_lshlrev_b32_e32 v5, 25, v5
	v_lshrrev_b32_e32 v7, 4, v5
	v_and_or_b32 v8, v6, s33, 0.5
	v_or_b32_e32 v7, 0x70000000, v7
	v_add_f32_e32 v8, -0.5, v8
	v_mul_f32_e32 v7, 0x7800000, v7
	v_cmp_gt_u32_e32 vcc, s36, v5
	v_bfe_i32 v6, v6, 0, 16
	v_cndmask_b32_e32 v5, v7, v8, vcc
	s_brev_b32 s33, 1
	v_and_or_b32 v5, v6, s33, v5
	v_cvt_f16_f32_e32 v6, v5
.LBB14_842:
	s_mov_b64 s[36:37], 0
	s_mov_b64 s[38:39], -1
.LBB14_843:
	s_andn2_b64 vcc, exec, s[36:37]
	s_mov_b64 s[36:37], 0
	s_cbranch_vccnz .LBB14_854
; %bb.844:
	v_cmp_lt_i16_e32 vcc, 14, v3
	s_cbranch_vccz .LBB14_847
; %bb.845:
	v_cmp_eq_u16_e32 vcc, 15, v3
	s_cbranch_vccz .LBB14_850
; %bb.846:
	global_load_ushort v5, v[0:1], off
	s_mov_b64 s[34:35], 0
	s_mov_b64 s[38:39], -1
	s_waitcnt vmcnt(0)
	v_lshlrev_b32_e32 v5, 16, v5
	v_cvt_f16_f32_e32 v6, v5
	s_branch .LBB14_851
.LBB14_847:
	s_mov_b64 s[40:41], -1
                                        ; implicit-def: $vgpr6
	s_branch .LBB14_852
.LBB14_848:
	s_or_saveexec_b64 s[38:39], s[38:39]
	v_mov_b32_e32 v6, s33
	s_xor_b64 exec, exec, s[38:39]
	s_cbranch_execz .LBB14_829
.LBB14_849:
	v_cmp_ne_u16_e32 vcc, 0, v5
	s_andn2_b64 s[36:37], s[36:37], exec
	s_and_b64 s[40:41], vcc, exec
	s_or_b64 s[36:37], s[36:37], s[40:41]
	v_mov_b32_e32 v6, v5
	s_or_b64 exec, exec, s[38:39]
	s_and_saveexec_b64 s[38:39], s[36:37]
	s_cbranch_execnz .LBB14_830
	s_branch .LBB14_831
.LBB14_850:
	s_mov_b64 s[34:35], -1
                                        ; implicit-def: $vgpr6
.LBB14_851:
	s_mov_b64 s[40:41], 0
.LBB14_852:
	s_and_b64 vcc, exec, s[40:41]
	s_cbranch_vccz .LBB14_854
; %bb.853:
	v_cmp_ne_u16_e32 vcc, 11, v3
	s_andn2_b64 s[34:35], s[34:35], exec
	s_and_b64 s[40:41], vcc, exec
	s_mov_b64 s[36:37], -1
	s_or_b64 s[34:35], s[34:35], s[40:41]
                                        ; implicit-def: $vgpr6
.LBB14_854:
	s_mov_b64 s[40:41], 0
.LBB14_855:
	s_and_b64 s[42:43], s[40:41], exec
	s_andn2_b64 s[40:41], s[0:1], exec
	s_and_b64 s[34:35], s[34:35], exec
	s_and_b64 s[38:39], s[38:39], exec
	;; [unrolled: 1-line block ×3, first 2 shown]
	s_or_b64 s[40:41], s[40:41], s[34:35]
.LBB14_856:
	s_or_b64 exec, exec, s[28:29]
	s_and_b64 s[34:35], s[36:37], exec
	s_andn2_b64 s[0:1], s[0:1], exec
	s_and_b64 s[36:37], s[40:41], exec
	s_and_b64 s[38:39], s[38:39], exec
	;; [unrolled: 1-line block ×3, first 2 shown]
	s_or_b64 s[0:1], s[0:1], s[36:37]
.LBB14_857:
	s_or_b64 exec, exec, s[26:27]
	s_andn2_b64 s[22:23], s[22:23], exec
	s_and_b64 s[26:27], s[30:31], exec
	s_andn2_b64 s[20:21], s[20:21], exec
	s_and_b64 s[0:1], s[0:1], exec
	s_or_b64 s[22:23], s[22:23], s[26:27]
	s_and_b64 s[30:31], s[38:39], exec
	s_and_b64 s[28:29], s[28:29], exec
	;; [unrolled: 1-line block ×3, first 2 shown]
	s_or_b64 s[20:21], s[20:21], s[0:1]
.LBB14_858:
	s_or_b64 exec, exec, s[24:25]
	s_andn2_b64 s[0:1], s[6:7], exec
	s_and_b64 s[6:7], s[22:23], exec
	s_andn2_b64 s[16:17], s[16:17], exec
	s_and_b64 s[20:21], s[20:21], exec
	s_or_b64 s[6:7], s[0:1], s[6:7]
	s_and_b64 s[0:1], s[30:31], exec
	s_and_b64 s[24:25], s[28:29], exec
	;; [unrolled: 1-line block ×3, first 2 shown]
	s_or_b64 s[16:17], s[16:17], s[20:21]
	s_or_b64 exec, exec, s[18:19]
	s_mov_b64 s[18:19], 0
	s_and_saveexec_b64 s[20:21], s[16:17]
	s_cbranch_execz .LBB14_262
.LBB14_859:
	s_mov_b64 s[18:19], exec
	s_andn2_b64 s[22:23], s[22:23], exec
	s_trap 2
                                        ; implicit-def: $vgpr6
	s_or_b64 exec, exec, s[20:21]
	s_and_saveexec_b64 s[16:17], s[22:23]
	s_xor_b64 s[16:17], exec, s[16:17]
	s_cbranch_execnz .LBB14_263
.LBB14_860:
	s_or_b64 exec, exec, s[16:17]
	s_and_saveexec_b64 s[16:17], s[24:25]
	s_cbranch_execz .LBB14_906
.LBB14_861:
	v_cmp_gt_i16_e32 vcc, 5, v3
	s_cbranch_vccnz .LBB14_866
; %bb.862:
	v_cmp_gt_i16_e32 vcc, 8, v3
	s_cbranch_vccnz .LBB14_867
; %bb.863:
	;; [unrolled: 3-line block ×3, first 2 shown]
	v_cmp_lt_i16_e32 vcc, 9, v3
	s_cbranch_vccz .LBB14_869
; %bb.865:
	global_load_dwordx2 v[6:7], v[0:1], off
	s_mov_b64 s[20:21], 0
	s_waitcnt vmcnt(0)
	v_cvt_f32_f64_e32 v5, v[6:7]
	v_cvt_f16_f32_e32 v6, v5
	s_branch .LBB14_870
.LBB14_866:
                                        ; implicit-def: $vgpr6
	s_branch .LBB14_887
.LBB14_867:
                                        ; implicit-def: $vgpr6
	s_branch .LBB14_876
.LBB14_868:
	s_mov_b64 s[20:21], -1
                                        ; implicit-def: $vgpr6
	s_branch .LBB14_873
.LBB14_869:
	s_mov_b64 s[20:21], -1
                                        ; implicit-def: $vgpr6
.LBB14_870:
	s_andn2_b64 vcc, exec, s[20:21]
	s_cbranch_vccnz .LBB14_872
; %bb.871:
	global_load_dword v5, v[0:1], off
	s_waitcnt vmcnt(0)
	v_cvt_f16_f32_e32 v6, v5
.LBB14_872:
	s_mov_b64 s[20:21], 0
.LBB14_873:
	s_andn2_b64 vcc, exec, s[20:21]
	s_cbranch_vccnz .LBB14_875
; %bb.874:
	global_load_dword v6, v[0:1], off
.LBB14_875:
	s_cbranch_execnz .LBB14_886
.LBB14_876:
	v_cmp_gt_i16_e32 vcc, 6, v3
	s_cbranch_vccnz .LBB14_879
; %bb.877:
	v_cmp_lt_i16_e32 vcc, 6, v3
	s_cbranch_vccz .LBB14_880
; %bb.878:
	global_load_dwordx2 v[6:7], v[0:1], off
	s_mov_b64 s[20:21], 0
	s_waitcnt vmcnt(0)
	v_cvt_f32_f64_e32 v5, v[6:7]
	v_cvt_f16_f32_e32 v6, v5
	s_branch .LBB14_881
.LBB14_879:
	s_mov_b64 s[20:21], -1
                                        ; implicit-def: $vgpr6
	s_branch .LBB14_884
.LBB14_880:
	s_mov_b64 s[20:21], -1
                                        ; implicit-def: $vgpr6
.LBB14_881:
	s_andn2_b64 vcc, exec, s[20:21]
	s_cbranch_vccnz .LBB14_883
; %bb.882:
	global_load_dword v5, v[0:1], off
	s_waitcnt vmcnt(0)
	v_cvt_f16_f32_e32 v6, v5
.LBB14_883:
	s_mov_b64 s[20:21], 0
.LBB14_884:
	s_andn2_b64 vcc, exec, s[20:21]
	s_cbranch_vccnz .LBB14_886
; %bb.885:
	global_load_ushort v6, v[0:1], off
.LBB14_886:
	s_cbranch_execnz .LBB14_905
.LBB14_887:
	v_cmp_gt_i16_e32 vcc, 2, v3
	s_cbranch_vccnz .LBB14_891
; %bb.888:
	v_cmp_gt_i16_e32 vcc, 3, v3
	s_cbranch_vccnz .LBB14_892
; %bb.889:
	v_cmp_lt_i16_e32 vcc, 3, v3
	s_cbranch_vccz .LBB14_893
; %bb.890:
	global_load_dwordx2 v[6:7], v[0:1], off
	s_mov_b64 s[20:21], 0
	s_waitcnt vmcnt(0)
	v_xor_b32_e32 v8, v6, v7
	v_ffbh_i32_e32 v5, v7
	v_ashrrev_i32_e32 v8, 31, v8
	v_add_u32_e32 v5, -1, v5
	v_add_u32_e32 v8, 32, v8
	v_min_u32_e32 v5, v5, v8
	v_lshlrev_b64 v[6:7], v5, v[6:7]
	v_min_u32_e32 v6, 1, v6
	v_or_b32_e32 v6, v7, v6
	v_cvt_f32_i32_e32 v6, v6
	v_sub_u32_e32 v5, 32, v5
	v_ldexp_f32 v5, v6, v5
	v_cvt_f16_f32_e32 v6, v5
	s_branch .LBB14_894
.LBB14_891:
                                        ; implicit-def: $vgpr6
	s_branch .LBB14_900
.LBB14_892:
	s_mov_b64 s[20:21], -1
                                        ; implicit-def: $vgpr6
	s_branch .LBB14_897
.LBB14_893:
	s_mov_b64 s[20:21], -1
                                        ; implicit-def: $vgpr6
.LBB14_894:
	s_andn2_b64 vcc, exec, s[20:21]
	s_cbranch_vccnz .LBB14_896
; %bb.895:
	global_load_dword v5, v[0:1], off
	s_waitcnt vmcnt(0)
	v_cvt_f32_i32_e32 v5, v5
	v_cvt_f16_f32_e32 v6, v5
.LBB14_896:
	s_mov_b64 s[20:21], 0
.LBB14_897:
	s_andn2_b64 vcc, exec, s[20:21]
	s_cbranch_vccnz .LBB14_899
; %bb.898:
	global_load_ushort v5, v[0:1], off
	s_waitcnt vmcnt(0)
	v_cvt_f16_i16_e32 v6, v5
.LBB14_899:
	s_cbranch_execnz .LBB14_905
.LBB14_900:
	v_cmp_lt_i16_e32 vcc, 0, v3
	s_cbranch_vccz .LBB14_902
; %bb.901:
	global_load_sbyte v3, v[0:1], off
	s_mov_b64 s[20:21], 0
	s_waitcnt vmcnt(0)
	v_cvt_f16_i16_e32 v6, v3
	s_branch .LBB14_903
.LBB14_902:
	s_mov_b64 s[20:21], -1
                                        ; implicit-def: $vgpr6
.LBB14_903:
	s_andn2_b64 vcc, exec, s[20:21]
	s_cbranch_vccnz .LBB14_905
; %bb.904:
	global_load_ubyte v0, v[0:1], off
	s_waitcnt vmcnt(0)
	v_cvt_f16_u16_e32 v6, v0
.LBB14_905:
	s_or_b64 s[0:1], s[0:1], exec
.LBB14_906:
	s_or_b64 exec, exec, s[16:17]
	s_mov_b64 s[22:23], 0
	s_mov_b64 s[20:21], 0
                                        ; implicit-def: $vgpr5
                                        ; implicit-def: $vgpr0_vgpr1
                                        ; implicit-def: $vgpr3
                                        ; implicit-def: $vgpr7
	s_and_saveexec_b64 s[16:17], s[0:1]
	s_cbranch_execz .LBB14_924
; %bb.907:
	v_mul_lo_u32 v0, v2, s12
	v_ashrrev_i32_e32 v1, 31, v0
	v_mov_b32_e32 v2, s9
	v_add_co_u32_e32 v0, vcc, s8, v0
	v_addc_co_u32_e32 v1, vcc, v2, v1, vcc
	v_mov_b32_e32 v2, 0xff
	s_waitcnt vmcnt(0)
	v_and_b32_e32 v5, s15, v2
	v_and_b32_e32 v7, 0x7fff, v6
	v_cmp_gt_i16_e32 vcc, 11, v5
	v_or_b32_e32 v3, v7, v4
	s_cbranch_vccnz .LBB14_927
; %bb.908:
	v_cmp_lt_i16_e32 vcc, 25, v5
	s_mov_b64 s[22:23], -1
	s_mov_b64 s[0:1], s[6:7]
	s_cbranch_vccz .LBB14_945
; %bb.909:
	v_cmp_lt_i16_e32 vcc, 28, v5
	s_mov_b64 s[20:21], -1
	s_mov_b64 s[0:1], s[6:7]
	s_cbranch_vccz .LBB14_929
; %bb.910:
	v_cmp_lt_i16_e32 vcc, 43, v5
	s_mov_b64 s[0:1], s[6:7]
	s_cbranch_vccz .LBB14_921
; %bb.911:
	v_cmp_lt_i16_e32 vcc, 45, v5
	s_mov_b64 s[0:1], s[6:7]
	s_cbranch_vccz .LBB14_915
; %bb.912:
	v_cmp_eq_u16_e32 vcc, 46, v5
	s_mov_b64 s[0:1], -1
	s_cbranch_vccz .LBB14_914
; %bb.913:
	v_cvt_f32_f16_e32 v2, v3
	s_movk_i32 s0, 0x7fff
	v_mov_b32_e32 v4, 0x7fc0
	v_cmp_o_f16_e32 vcc, v3, v3
	v_bfe_u32 v6, v2, 16, 1
	v_add3_u32 v2, v2, v6, s0
	v_lshrrev_b32_e32 v2, 16, v2
	v_cndmask_b32_e32 v2, v4, v2, vcc
	global_store_dword v[0:1], v2, off
	s_mov_b64 s[0:1], 0
.LBB14_914:
	s_mov_b64 s[20:21], 0
.LBB14_915:
	s_and_b64 vcc, exec, s[20:21]
	s_cbranch_vccz .LBB14_920
; %bb.916:
	v_cmp_eq_u16_e32 vcc, 44, v5
	s_mov_b64 s[0:1], -1
	s_cbranch_vccz .LBB14_920
; %bb.917:
	v_cvt_f32_f16_e32 v2, v3
	s_movk_i32 s0, 0xff
	v_mov_b32_e32 v6, 0xff
	v_bfe_u32 v4, v2, 23, 8
	v_cmp_ne_u32_e32 vcc, s0, v4
	s_and_saveexec_b64 s[20:21], vcc
; %bb.918:
	s_mov_b32 s0, 0x3fffff
	v_lshrrev_b32_e32 v6, 23, v2
	v_and_b32_e32 v8, 0x400000, v2
	v_and_or_b32 v2, v2, s0, v4
	v_cmp_ne_u32_e32 vcc, 0, v8
	v_cmp_ne_u32_e64 s[0:1], 0, v2
	s_and_b64 s[0:1], vcc, s[0:1]
	v_cndmask_b32_e64 v2, 0, 1, s[0:1]
	v_add_u32_e32 v6, v6, v2
; %bb.919:
	s_or_b64 exec, exec, s[20:21]
	s_mov_b64 s[0:1], 0
	global_store_byte v[0:1], v6, off
.LBB14_920:
	s_mov_b64 s[20:21], 0
.LBB14_921:
	s_and_b64 vcc, exec, s[20:21]
	s_cbranch_vccz .LBB14_928
; %bb.922:
	v_cmp_eq_u16_e32 vcc, 29, v5
	s_mov_b64 s[0:1], -1
	s_cbranch_vccz .LBB14_928
; %bb.923:
	v_cvt_f32_f16_e32 v2, v3
	v_mov_b32_e32 v9, 0
	s_mov_b64 s[0:1], 0
	s_mov_b64 s[20:21], 0
	v_cvt_u32_f32_e32 v8, v2
	global_store_dwordx2 v[0:1], v[8:9], off
	s_branch .LBB14_929
.LBB14_924:
	s_or_b64 exec, exec, s[16:17]
	s_and_saveexec_b64 s[0:1], s[6:7]
	s_cbranch_execnz .LBB14_987
.LBB14_925:
	s_or_b64 exec, exec, s[0:1]
	s_and_saveexec_b64 s[0:1], s[22:23]
	s_xor_b64 s[0:1], exec, s[0:1]
	s_cbranch_execz .LBB14_988
.LBB14_926:
	v_cmp_ne_u16_e32 vcc, 0, v7
	v_cndmask_b32_e64 v2, 0, 1, vcc
	global_store_byte v[0:1], v2, off
	s_or_b64 exec, exec, s[0:1]
	s_and_saveexec_b64 s[0:1], s[20:21]
	s_xor_b64 s[0:1], exec, s[0:1]
	s_cbranch_execz .LBB14_1026
	s_branch .LBB14_989
.LBB14_927:
	s_mov_b64 s[20:21], -1
	s_mov_b64 s[0:1], s[6:7]
	s_branch .LBB14_986
.LBB14_928:
	s_mov_b64 s[20:21], 0
.LBB14_929:
	s_and_b64 vcc, exec, s[20:21]
	s_cbranch_vccz .LBB14_944
; %bb.930:
	v_cmp_gt_i16_e32 vcc, 27, v5
	s_mov_b64 s[20:21], -1
	s_cbranch_vccnz .LBB14_936
; %bb.931:
	v_cmp_lt_i16_e32 vcc, 27, v5
	s_cbranch_vccz .LBB14_933
; %bb.932:
	v_cvt_f32_f16_e32 v2, v3
	s_mov_b64 s[20:21], 0
	v_cvt_u32_f32_e32 v2, v2
	global_store_dword v[0:1], v2, off
.LBB14_933:
	s_andn2_b64 vcc, exec, s[20:21]
	s_cbranch_vccnz .LBB14_935
; %bb.934:
	v_cvt_u16_f16_e32 v2, v3
	global_store_short v[0:1], v2, off
.LBB14_935:
	s_mov_b64 s[20:21], 0
.LBB14_936:
	s_andn2_b64 vcc, exec, s[20:21]
	s_cbranch_vccnz .LBB14_944
; %bb.937:
	v_cvt_f32_f16_e32 v2, v3
	s_mov_b32 s20, 0x43800000
	v_mov_b32_e32 v6, 0x80
	v_and_b32_e32 v4, 0x7fffffff, v2
	v_cmp_gt_u32_e32 vcc, s20, v4
	s_and_saveexec_b64 s[20:21], vcc
	s_cbranch_execz .LBB14_943
; %bb.938:
	s_mov_b32 s22, 0x3bffffff
	v_cmp_lt_u32_e32 vcc, s22, v4
	s_mov_b64 s[22:23], 0
                                        ; implicit-def: $vgpr4
	s_and_saveexec_b64 s[24:25], vcc
	s_xor_b64 s[24:25], exec, s[24:25]
	s_cbranch_execz .LBB14_1041
; %bb.939:
	v_bfe_u32 v4, v2, 20, 1
	s_mov_b32 s26, 0x487ffff
	v_add3_u32 v4, v2, v4, s26
	s_mov_b64 s[22:23], exec
	v_lshrrev_b32_e32 v4, 20, v4
	s_or_saveexec_b64 s[24:25], s[24:25]
                                        ; implicit-def: $sgpr26
	s_xor_b64 exec, exec, s[24:25]
	s_cbranch_execnz .LBB14_1042
.LBB14_940:
	s_or_b64 exec, exec, s[24:25]
	v_mov_b32_e32 v6, s26
	s_and_saveexec_b64 s[24:25], s[22:23]
.LBB14_941:
	v_lshrrev_b32_e32 v2, 24, v2
	s_movk_i32 s22, 0x80
	v_and_or_b32 v6, v2, s22, v4
.LBB14_942:
	s_or_b64 exec, exec, s[24:25]
.LBB14_943:
	s_or_b64 exec, exec, s[20:21]
	global_store_byte v[0:1], v6, off
.LBB14_944:
	s_mov_b64 s[22:23], 0
.LBB14_945:
	s_mov_b64 s[20:21], 0
	s_and_b64 vcc, exec, s[22:23]
	s_cbranch_vccz .LBB14_985
; %bb.946:
	v_cmp_lt_i16_e32 vcc, 22, v5
	s_mov_b64 s[22:23], -1
	s_cbranch_vccz .LBB14_978
; %bb.947:
	v_cmp_gt_i16_e32 vcc, 24, v5
	s_cbranch_vccnz .LBB14_967
; %bb.948:
	v_cmp_lt_i16_e32 vcc, 24, v5
	s_cbranch_vccz .LBB14_956
; %bb.949:
	v_cvt_f32_f16_e32 v2, v3
	s_mov_b32 s22, 0x47800000
	v_mov_b32_e32 v6, 0x80
	v_and_b32_e32 v4, 0x7fffffff, v2
	v_cmp_gt_u32_e32 vcc, s22, v4
	s_and_saveexec_b64 s[22:23], vcc
	s_cbranch_execz .LBB14_955
; %bb.950:
	s_mov_b32 s24, 0x37ffffff
	v_cmp_lt_u32_e32 vcc, s24, v4
	s_mov_b64 s[24:25], 0
                                        ; implicit-def: $vgpr4
	s_and_saveexec_b64 s[26:27], vcc
	s_xor_b64 s[26:27], exec, s[26:27]
	s_cbranch_execz .LBB14_1166
; %bb.951:
	v_bfe_u32 v4, v2, 21, 1
	s_mov_b32 s28, 0x88fffff
	v_add3_u32 v4, v2, v4, s28
	s_mov_b64 s[24:25], exec
	v_lshrrev_b32_e32 v4, 21, v4
	s_or_saveexec_b64 s[26:27], s[26:27]
                                        ; implicit-def: $sgpr28
	s_xor_b64 exec, exec, s[26:27]
	s_cbranch_execnz .LBB14_1167
.LBB14_952:
	s_or_b64 exec, exec, s[26:27]
	v_mov_b32_e32 v6, s28
	s_and_saveexec_b64 s[26:27], s[24:25]
.LBB14_953:
	v_lshrrev_b32_e32 v2, 24, v2
	s_movk_i32 s24, 0x80
	v_and_or_b32 v6, v2, s24, v4
.LBB14_954:
	s_or_b64 exec, exec, s[26:27]
.LBB14_955:
	s_or_b64 exec, exec, s[22:23]
	s_mov_b64 s[22:23], 0
	global_store_byte v[0:1], v6, off
.LBB14_956:
	s_and_b64 vcc, exec, s[22:23]
	s_cbranch_vccz .LBB14_966
; %bb.957:
	v_cvt_f32_f16_e32 v2, v3
	s_mov_b32 s22, 0x43f00000
                                        ; implicit-def: $vgpr4
	v_and_b32_e32 v6, 0x7fffffff, v2
	v_cmp_gt_u32_e32 vcc, s22, v6
	s_and_saveexec_b64 s[22:23], vcc
	s_xor_b64 s[22:23], exec, s[22:23]
	s_cbranch_execz .LBB14_963
; %bb.958:
	s_mov_b32 s24, 0x3c7fffff
	v_cmp_lt_u32_e32 vcc, s24, v6
                                        ; implicit-def: $vgpr4
	s_and_saveexec_b64 s[24:25], vcc
	s_xor_b64 s[24:25], exec, s[24:25]
; %bb.959:
	v_bfe_u32 v4, v2, 20, 1
	s_mov_b32 s26, 0x407ffff
	v_add3_u32 v4, v2, v4, s26
	v_lshrrev_b32_e32 v6, 20, v4
	v_and_b32_e32 v4, 0xff00000, v4
	s_mov_b32 s26, 0x7f00000
	v_mov_b32_e32 v8, 0x7e
	v_cmp_ne_u32_e32 vcc, s26, v4
	v_cndmask_b32_e32 v4, v8, v6, vcc
; %bb.960:
	s_andn2_saveexec_b64 s[24:25], s[24:25]
; %bb.961:
	s_mov_b32 s26, 0x46800000
	v_add_f32_e64 v4, |v2|, s26
; %bb.962:
	s_or_b64 exec, exec, s[24:25]
                                        ; implicit-def: $vgpr6
.LBB14_963:
	s_andn2_saveexec_b64 s[22:23], s[22:23]
; %bb.964:
	s_mov_b32 s24, 0x7f800000
	v_mov_b32_e32 v4, 0x7e
	v_mov_b32_e32 v8, 0x7f
	v_cmp_lt_u32_e32 vcc, s24, v6
	v_cndmask_b32_e32 v4, v4, v8, vcc
; %bb.965:
	s_or_b64 exec, exec, s[22:23]
	v_lshrrev_b32_e32 v2, 24, v2
	s_movk_i32 s22, 0x80
	v_and_or_b32 v2, v2, s22, v4
	global_store_byte v[0:1], v2, off
.LBB14_966:
	s_mov_b64 s[22:23], 0
.LBB14_967:
	s_andn2_b64 vcc, exec, s[22:23]
	s_cbranch_vccnz .LBB14_977
; %bb.968:
	v_cvt_f32_f16_e32 v2, v3
	s_mov_b32 s22, 0x47800000
                                        ; implicit-def: $vgpr4
	v_and_b32_e32 v6, 0x7fffffff, v2
	v_cmp_gt_u32_e32 vcc, s22, v6
	s_and_saveexec_b64 s[22:23], vcc
	s_xor_b64 s[22:23], exec, s[22:23]
	s_cbranch_execz .LBB14_974
; %bb.969:
	s_mov_b32 s24, 0x387fffff
	v_cmp_lt_u32_e32 vcc, s24, v6
                                        ; implicit-def: $vgpr4
	s_and_saveexec_b64 s[24:25], vcc
	s_xor_b64 s[24:25], exec, s[24:25]
; %bb.970:
	v_bfe_u32 v4, v2, 21, 1
	s_mov_b32 s26, 0x80fffff
	v_add3_u32 v4, v2, v4, s26
	v_lshrrev_b32_e32 v4, 21, v4
; %bb.971:
	s_andn2_saveexec_b64 s[24:25], s[24:25]
; %bb.972:
	s_mov_b32 s26, 0x43000000
	v_add_f32_e64 v4, |v2|, s26
; %bb.973:
	s_or_b64 exec, exec, s[24:25]
                                        ; implicit-def: $vgpr6
.LBB14_974:
	s_andn2_saveexec_b64 s[22:23], s[22:23]
; %bb.975:
	s_mov_b32 s24, 0x7f800000
	v_mov_b32_e32 v4, 0x7c
	v_mov_b32_e32 v8, 0x7f
	v_cmp_lt_u32_e32 vcc, s24, v6
	v_cndmask_b32_e32 v4, v4, v8, vcc
; %bb.976:
	s_or_b64 exec, exec, s[22:23]
	v_lshrrev_b32_e32 v2, 24, v2
	s_movk_i32 s22, 0x80
	v_and_or_b32 v2, v2, s22, v4
	global_store_byte v[0:1], v2, off
.LBB14_977:
	s_mov_b64 s[22:23], 0
.LBB14_978:
	s_andn2_b64 vcc, exec, s[22:23]
	s_mov_b64 s[22:23], 0
	s_cbranch_vccnz .LBB14_986
; %bb.979:
	v_cmp_lt_i16_e32 vcc, 14, v5
	s_mov_b64 s[24:25], -1
	s_cbranch_vccz .LBB14_983
; %bb.980:
	v_cmp_eq_u16_e32 vcc, 15, v5
	s_mov_b64 s[0:1], -1
	s_cbranch_vccz .LBB14_982
; %bb.981:
	v_cvt_f32_f16_e32 v2, v3
	s_movk_i32 s0, 0x7fff
	v_mov_b32_e32 v4, 0x7fc0
	v_cmp_o_f16_e32 vcc, v3, v3
	v_bfe_u32 v6, v2, 16, 1
	v_add3_u32 v2, v2, v6, s0
	v_lshrrev_b32_e32 v2, 16, v2
	v_cndmask_b32_e32 v2, v4, v2, vcc
	global_store_short v[0:1], v2, off
	s_mov_b64 s[0:1], 0
.LBB14_982:
	s_mov_b64 s[24:25], 0
.LBB14_983:
	s_and_b64 vcc, exec, s[24:25]
	s_cbranch_vccz .LBB14_986
; %bb.984:
	v_cmp_ne_u16_e32 vcc, 11, v5
	s_andn2_b64 s[0:1], s[0:1], exec
	s_and_b64 s[24:25], vcc, exec
	s_mov_b64 s[22:23], -1
	s_or_b64 s[0:1], s[0:1], s[24:25]
	s_branch .LBB14_986
.LBB14_985:
	s_mov_b64 s[22:23], 0
.LBB14_986:
	s_andn2_b64 s[6:7], s[6:7], exec
	s_and_b64 s[0:1], s[0:1], exec
	s_and_b64 s[20:21], s[20:21], exec
	;; [unrolled: 1-line block ×3, first 2 shown]
	s_or_b64 s[6:7], s[6:7], s[0:1]
	s_or_b64 exec, exec, s[16:17]
	s_and_saveexec_b64 s[0:1], s[6:7]
	s_cbranch_execz .LBB14_925
.LBB14_987:
	s_or_b64 s[18:19], s[18:19], exec
	s_andn2_b64 s[22:23], s[22:23], exec
	s_trap 2
	s_or_b64 exec, exec, s[0:1]
	s_and_saveexec_b64 s[0:1], s[22:23]
	s_xor_b64 s[0:1], exec, s[0:1]
	s_cbranch_execnz .LBB14_926
.LBB14_988:
	s_or_b64 exec, exec, s[0:1]
	s_and_saveexec_b64 s[0:1], s[20:21]
	s_xor_b64 s[0:1], exec, s[0:1]
	s_cbranch_execz .LBB14_1026
.LBB14_989:
	s_waitcnt vmcnt(0)
	v_cmp_gt_i16_e32 vcc, 5, v5
	s_mov_b64 s[6:7], -1
	s_cbranch_vccnz .LBB14_1010
; %bb.990:
	v_cmp_gt_i16_e32 vcc, 8, v5
	s_cbranch_vccnz .LBB14_1000
; %bb.991:
	v_cmp_gt_i16_e32 vcc, 9, v5
	s_cbranch_vccnz .LBB14_997
; %bb.992:
	v_cmp_lt_i16_e32 vcc, 9, v5
	s_cbranch_vccz .LBB14_994
; %bb.993:
	v_cvt_f32_f16_e32 v2, v3
	v_mov_b32_e32 v8, 0
	v_mov_b32_e32 v9, v8
	s_mov_b64 s[6:7], 0
	v_cvt_f64_f32_e32 v[6:7], v2
	global_store_dwordx4 v[0:1], v[6:9], off
.LBB14_994:
	s_andn2_b64 vcc, exec, s[6:7]
	s_cbranch_vccnz .LBB14_996
; %bb.995:
	v_cvt_f32_f16_e32 v6, v3
	v_mov_b32_e32 v7, 0
	global_store_dwordx2 v[0:1], v[6:7], off
.LBB14_996:
	s_mov_b64 s[6:7], 0
.LBB14_997:
	s_andn2_b64 vcc, exec, s[6:7]
	s_cbranch_vccnz .LBB14_999
; %bb.998:
	v_and_b32_e32 v2, 0xffff, v3
	global_store_dword v[0:1], v2, off
.LBB14_999:
	s_mov_b64 s[6:7], 0
.LBB14_1000:
	s_andn2_b64 vcc, exec, s[6:7]
	s_cbranch_vccnz .LBB14_1009
; %bb.1001:
	v_cmp_gt_i16_e32 vcc, 6, v5
	s_mov_b64 s[6:7], -1
	s_cbranch_vccnz .LBB14_1007
; %bb.1002:
	v_cmp_lt_i16_e32 vcc, 6, v5
	s_cbranch_vccz .LBB14_1004
; %bb.1003:
	v_cvt_f32_f16_e32 v2, v3
	s_mov_b64 s[6:7], 0
	v_cvt_f64_f32_e32 v[6:7], v2
	global_store_dwordx2 v[0:1], v[6:7], off
.LBB14_1004:
	s_andn2_b64 vcc, exec, s[6:7]
	s_cbranch_vccnz .LBB14_1006
; %bb.1005:
	v_cvt_f32_f16_e32 v2, v3
	global_store_dword v[0:1], v2, off
.LBB14_1006:
	s_mov_b64 s[6:7], 0
.LBB14_1007:
	s_andn2_b64 vcc, exec, s[6:7]
	s_cbranch_vccnz .LBB14_1009
; %bb.1008:
	global_store_short v[0:1], v3, off
.LBB14_1009:
	s_mov_b64 s[6:7], 0
.LBB14_1010:
	s_andn2_b64 vcc, exec, s[6:7]
	s_cbranch_vccnz .LBB14_1026
; %bb.1011:
	v_cmp_gt_i16_e32 vcc, 2, v5
	s_mov_b64 s[6:7], -1
	s_cbranch_vccnz .LBB14_1021
; %bb.1012:
	v_cmp_gt_i16_e32 vcc, 3, v5
	s_cbranch_vccnz .LBB14_1018
; %bb.1013:
	v_cmp_lt_i16_e32 vcc, 3, v5
	s_cbranch_vccz .LBB14_1015
; %bb.1014:
	v_cvt_f32_f16_e32 v2, v3
	s_mov_b64 s[6:7], 0
	v_cvt_i32_f32_e32 v6, v2
	v_ashrrev_i32_e32 v7, 31, v6
	global_store_dwordx2 v[0:1], v[6:7], off
.LBB14_1015:
	s_andn2_b64 vcc, exec, s[6:7]
	s_cbranch_vccnz .LBB14_1017
; %bb.1016:
	v_cvt_f32_f16_e32 v2, v3
	v_cvt_i32_f32_e32 v2, v2
	global_store_dword v[0:1], v2, off
.LBB14_1017:
	s_mov_b64 s[6:7], 0
.LBB14_1018:
	s_andn2_b64 vcc, exec, s[6:7]
	s_cbranch_vccnz .LBB14_1020
; %bb.1019:
	v_cvt_i16_f16_e32 v2, v3
	global_store_short v[0:1], v2, off
.LBB14_1020:
	s_mov_b64 s[6:7], 0
.LBB14_1021:
	s_andn2_b64 vcc, exec, s[6:7]
	s_cbranch_vccnz .LBB14_1026
; %bb.1022:
	v_cmp_lt_i16_e32 vcc, 0, v5
	s_mov_b64 s[6:7], -1
	s_cbranch_vccz .LBB14_1024
; %bb.1023:
	v_cvt_i16_f16_e32 v2, v3
	s_mov_b64 s[6:7], 0
	global_store_byte v[0:1], v2, off
.LBB14_1024:
	s_andn2_b64 vcc, exec, s[6:7]
	s_cbranch_vccnz .LBB14_1026
; %bb.1025:
	v_cvt_f32_f16_e32 v2, v3
	v_cvt_i32_f32_e32 v2, v2
	global_store_byte v[0:1], v2, off
.LBB14_1026:
	s_or_b64 exec, exec, s[0:1]
	s_and_b64 s[6:7], s[18:19], exec
                                        ; implicit-def: $vgpr2
                                        ; implicit-def: $vgpr3
.LBB14_1027:
	s_or_saveexec_b64 s[4:5], s[4:5]
	s_mov_b64 s[0:1], 0
                                        ; implicit-def: $vgpr5
                                        ; implicit-def: $vgpr0_vgpr1
                                        ; implicit-def: $vgpr4
                                        ; implicit-def: $vgpr6
	s_xor_b64 exec, exec, s[4:5]
	s_cbranch_execz .LBB14_1995
; %bb.1028:
	s_waitcnt vmcnt(0)
	v_mul_lo_u32 v5, s13, v2
	v_ashrrev_i32_e32 v1, 31, v5
	v_mov_b32_e32 v4, s11
	v_add_co_u32_e32 v0, vcc, s10, v5
	v_addc_co_u32_e32 v1, vcc, v4, v1, vcc
	v_cmp_gt_i16_e64 s[0:1], 11, v3
	s_and_b64 vcc, exec, s[0:1]
	s_cbranch_vccnz .LBB14_1035
; %bb.1029:
	v_cmp_lt_i16_e32 vcc, 25, v3
	s_mov_b64 s[18:19], 0
	s_cbranch_vccz .LBB14_1037
; %bb.1030:
	v_cmp_lt_i16_e32 vcc, 28, v3
	s_cbranch_vccz .LBB14_1038
; %bb.1031:
	v_cmp_lt_i16_e32 vcc, 43, v3
	;; [unrolled: 3-line block ×3, first 2 shown]
	s_cbranch_vccz .LBB14_1040
; %bb.1033:
	v_cmp_eq_u16_e32 vcc, 46, v3
	s_mov_b64 s[16:17], 0
	s_cbranch_vccz .LBB14_1043
; %bb.1034:
	global_load_dword v4, v[0:1], off
	s_mov_b64 s[20:21], -1
	s_waitcnt vmcnt(0)
	v_lshlrev_b32_e32 v4, 16, v4
	v_cvt_f16_f32_e32 v4, v4
	s_branch .LBB14_1044
.LBB14_1035:
	s_mov_b64 s[20:21], 0
                                        ; implicit-def: $vgpr4
	s_mov_b64 s[16:17], s[6:7]
	s_cbranch_execnz .LBB14_1107
.LBB14_1036:
	s_andn2_b64 vcc, exec, s[20:21]
	s_cbranch_vccz .LBB14_1152
	s_branch .LBB14_1993
.LBB14_1037:
	s_mov_b64 s[20:21], 0
                                        ; implicit-def: $vgpr4
	s_cbranch_execnz .LBB14_1072
	s_branch .LBB14_1103
.LBB14_1038:
	s_mov_b64 s[16:17], -1
	s_mov_b64 s[20:21], 0
                                        ; implicit-def: $vgpr4
	s_branch .LBB14_1053
.LBB14_1039:
	s_mov_b64 s[20:21], 0
                                        ; implicit-def: $vgpr4
	s_cbranch_execnz .LBB14_1049
	s_branch .LBB14_1052
.LBB14_1040:
	s_mov_b64 s[16:17], -1
	s_mov_b64 s[20:21], 0
                                        ; implicit-def: $vgpr4
	s_branch .LBB14_1044
.LBB14_1041:
	s_or_saveexec_b64 s[24:25], s[24:25]
                                        ; implicit-def: $sgpr26
	s_xor_b64 exec, exec, s[24:25]
	s_cbranch_execz .LBB14_940
.LBB14_1042:
	s_mov_b32 s26, 0x46000000
	v_add_f32_e64 v4, |v2|, s26
	v_and_b32_e32 v4, 0xff, v4
	v_cmp_ne_u32_e32 vcc, 0, v4
	s_andn2_b64 s[22:23], s[22:23], exec
	s_and_b64 s[28:29], vcc, exec
	s_mov_b32 s26, 0
	s_or_b64 s[22:23], s[22:23], s[28:29]
	s_or_b64 exec, exec, s[24:25]
	v_mov_b32_e32 v6, s26
	s_and_saveexec_b64 s[24:25], s[22:23]
	s_cbranch_execnz .LBB14_941
	s_branch .LBB14_942
.LBB14_1043:
	s_mov_b64 s[2:3], -1
                                        ; implicit-def: $vgpr4
	s_mov_b64 s[20:21], 0
.LBB14_1044:
	s_and_b64 vcc, exec, s[16:17]
	s_cbranch_vccz .LBB14_1047
; %bb.1045:
	v_cmp_eq_u16_e32 vcc, 44, v3
	s_cbranch_vccz .LBB14_1048
; %bb.1046:
	global_load_ubyte v4, v[0:1], off
	s_movk_i32 s16, 0xff
	v_mov_b32_e32 v7, 0x7e00
	s_mov_b64 s[2:3], 0
	s_mov_b64 s[20:21], -1
	s_waitcnt vmcnt(0)
	v_lshlrev_b32_e32 v6, 23, v4
	v_cvt_f16_f32_e32 v6, v6
	v_cmp_ne_u32_e32 vcc, s16, v4
	v_cndmask_b32_e32 v6, v7, v6, vcc
	v_cmp_ne_u32_e32 vcc, 0, v4
	v_cndmask_b32_e32 v4, 0, v6, vcc
.LBB14_1047:
	s_branch .LBB14_1052
.LBB14_1048:
	s_mov_b64 s[2:3], -1
                                        ; implicit-def: $vgpr4
	s_branch .LBB14_1052
.LBB14_1049:
	v_cmp_eq_u16_e32 vcc, 29, v3
	s_cbranch_vccz .LBB14_1051
; %bb.1050:
	global_load_dwordx2 v[6:7], v[0:1], off
	s_mov_b64 s[2:3], 0
	s_mov_b64 s[20:21], -1
	s_mov_b64 s[16:17], 0
	s_waitcnt vmcnt(0)
	v_ffbh_u32_e32 v4, v7
	v_min_u32_e32 v4, 32, v4
	v_lshlrev_b64 v[6:7], v4, v[6:7]
	v_min_u32_e32 v6, 1, v6
	v_or_b32_e32 v6, v7, v6
	v_cvt_f32_u32_e32 v6, v6
	v_sub_u32_e32 v4, 32, v4
	v_ldexp_f32 v4, v6, v4
	v_cvt_f16_f32_e32 v4, v4
	s_branch .LBB14_1053
.LBB14_1051:
	s_mov_b64 s[2:3], -1
                                        ; implicit-def: $vgpr4
.LBB14_1052:
	s_mov_b64 s[16:17], 0
.LBB14_1053:
	s_and_b64 vcc, exec, s[16:17]
	s_cbranch_vccz .LBB14_1071
; %bb.1054:
	v_cmp_gt_i16_e32 vcc, 27, v3
	s_cbranch_vccnz .LBB14_1057
; %bb.1055:
	v_cmp_lt_i16_e32 vcc, 27, v3
	s_cbranch_vccz .LBB14_1058
; %bb.1056:
	global_load_dword v4, v[0:1], off
	s_mov_b64 s[16:17], 0
	s_waitcnt vmcnt(0)
	v_cvt_f32_u32_e32 v4, v4
	v_cvt_f16_f32_e32 v4, v4
	s_branch .LBB14_1059
.LBB14_1057:
	s_mov_b64 s[16:17], -1
                                        ; implicit-def: $vgpr4
	s_branch .LBB14_1062
.LBB14_1058:
	s_mov_b64 s[16:17], -1
                                        ; implicit-def: $vgpr4
.LBB14_1059:
	s_andn2_b64 vcc, exec, s[16:17]
	s_cbranch_vccnz .LBB14_1061
; %bb.1060:
	global_load_ushort v4, v[0:1], off
	s_waitcnt vmcnt(0)
	v_cvt_f16_u16_e32 v4, v4
.LBB14_1061:
	s_mov_b64 s[16:17], 0
.LBB14_1062:
	s_andn2_b64 vcc, exec, s[16:17]
	s_cbranch_vccnz .LBB14_1070
; %bb.1063:
	global_load_ubyte v6, v[0:1], off
	s_movk_i32 s16, 0x7f
                                        ; implicit-def: $sgpr24
	s_waitcnt vmcnt(0)
	v_cmp_lt_i16_e32 vcc, s16, v6
	s_mov_b64 s[16:17], 0
	s_and_saveexec_b64 s[20:21], vcc
	s_xor_b64 s[20:21], exec, s[20:21]
	s_cbranch_execz .LBB14_1083
; %bb.1064:
	s_movk_i32 s16, 0x80
	v_cmp_eq_u16_e32 vcc, s16, v6
	s_mov_b64 s[16:17], -1
                                        ; implicit-def: $sgpr24
	s_and_saveexec_b64 s[22:23], vcc
; %bb.1065:
	s_movk_i32 s24, 0x7e00
	s_xor_b64 s[16:17], exec, -1
; %bb.1066:
	s_or_b64 exec, exec, s[22:23]
	s_and_b64 s[16:17], s[16:17], exec
	s_or_saveexec_b64 s[20:21], s[20:21]
	v_mov_b32_e32 v4, s24
	s_xor_b64 exec, exec, s[20:21]
	s_cbranch_execnz .LBB14_1084
.LBB14_1067:
	s_or_b64 exec, exec, s[20:21]
	s_and_saveexec_b64 s[20:21], s[16:17]
	s_cbranch_execz .LBB14_1069
.LBB14_1068:
	v_lshlrev_b32_e32 v4, 24, v6
	v_and_b32_e32 v6, 0xffff, v6
	v_and_b32_e32 v7, 7, v6
	v_ffbh_u32_e32 v9, v7
	v_min_u32_e32 v9, 32, v9
	v_subrev_u32_e32 v10, 28, v9
	v_bfe_u32 v8, v6, 3, 4
	v_lshlrev_b32_e32 v6, v10, v6
	v_sub_u32_e32 v9, 29, v9
	v_and_b32_e32 v6, 7, v6
	v_cmp_eq_u32_e32 vcc, 0, v8
	v_cndmask_b32_e32 v8, v8, v9, vcc
	v_cndmask_b32_e32 v6, v7, v6, vcc
	v_mov_b32_e32 v7, 0x3b800000
	v_lshlrev_b32_e32 v6, 20, v6
	v_and_b32_e32 v4, 0x80000000, v4
	v_lshl_add_u32 v7, v8, 23, v7
	v_or3_b32 v4, v4, v7, v6
	v_cvt_f16_f32_e32 v4, v4
.LBB14_1069:
	s_or_b64 exec, exec, s[20:21]
.LBB14_1070:
	s_mov_b64 s[20:21], -1
.LBB14_1071:
	s_branch .LBB14_1103
.LBB14_1072:
	v_cmp_lt_i16_e32 vcc, 22, v3
	s_cbranch_vccz .LBB14_1082
; %bb.1073:
	v_cmp_gt_i16_e32 vcc, 24, v3
	s_cbranch_vccnz .LBB14_1085
; %bb.1074:
	v_cmp_lt_i16_e32 vcc, 24, v3
	s_cbranch_vccz .LBB14_1086
; %bb.1075:
	global_load_ubyte v6, v[0:1], off
	s_movk_i32 s16, 0x7f
                                        ; implicit-def: $sgpr22
	s_waitcnt vmcnt(0)
	v_cmp_lt_i16_e32 vcc, s16, v6
	s_mov_b64 s[16:17], 0
	s_and_saveexec_b64 s[18:19], vcc
	s_xor_b64 s[18:19], exec, s[18:19]
	s_cbranch_execz .LBB14_1097
; %bb.1076:
	s_movk_i32 s16, 0x80
	v_cmp_eq_u16_e32 vcc, s16, v6
	s_mov_b64 s[16:17], -1
                                        ; implicit-def: $sgpr22
	s_and_saveexec_b64 s[20:21], vcc
; %bb.1077:
	s_movk_i32 s22, 0x7e00
	s_xor_b64 s[16:17], exec, -1
; %bb.1078:
	s_or_b64 exec, exec, s[20:21]
	s_and_b64 s[16:17], s[16:17], exec
	s_or_saveexec_b64 s[18:19], s[18:19]
	v_mov_b32_e32 v4, s22
	s_xor_b64 exec, exec, s[18:19]
	s_cbranch_execnz .LBB14_1098
.LBB14_1079:
	s_or_b64 exec, exec, s[18:19]
	s_and_saveexec_b64 s[18:19], s[16:17]
	s_cbranch_execz .LBB14_1081
.LBB14_1080:
	v_lshlrev_b32_e32 v4, 24, v6
	v_and_b32_e32 v6, 0xffff, v6
	v_and_b32_e32 v7, 3, v6
	v_ffbh_u32_e32 v9, v7
	v_min_u32_e32 v9, 32, v9
	v_subrev_u32_e32 v10, 29, v9
	v_bfe_u32 v8, v6, 2, 5
	v_lshlrev_b32_e32 v6, v10, v6
	v_sub_u32_e32 v9, 30, v9
	v_and_b32_e32 v6, 3, v6
	v_cmp_eq_u32_e32 vcc, 0, v8
	v_cndmask_b32_e32 v8, v8, v9, vcc
	v_cndmask_b32_e32 v6, v7, v6, vcc
	v_mov_b32_e32 v7, 0x37800000
	v_lshlrev_b32_e32 v6, 21, v6
	v_and_b32_e32 v4, 0x80000000, v4
	v_lshl_add_u32 v7, v8, 23, v7
	v_or3_b32 v4, v4, v7, v6
	v_cvt_f16_f32_e32 v4, v4
.LBB14_1081:
	s_or_b64 exec, exec, s[18:19]
	s_mov_b64 s[16:17], 0
	s_branch .LBB14_1087
.LBB14_1082:
                                        ; implicit-def: $vgpr4
	s_mov_b64 s[18:19], 0
	s_branch .LBB14_1093
.LBB14_1083:
	s_or_saveexec_b64 s[20:21], s[20:21]
	v_mov_b32_e32 v4, s24
	s_xor_b64 exec, exec, s[20:21]
	s_cbranch_execz .LBB14_1067
.LBB14_1084:
	v_cmp_ne_u16_e32 vcc, 0, v6
	s_andn2_b64 s[16:17], s[16:17], exec
	s_and_b64 s[22:23], vcc, exec
	s_or_b64 s[16:17], s[16:17], s[22:23]
	v_mov_b32_e32 v4, v6
	s_or_b64 exec, exec, s[20:21]
	s_and_saveexec_b64 s[20:21], s[16:17]
	s_cbranch_execnz .LBB14_1068
	s_branch .LBB14_1069
.LBB14_1085:
	s_mov_b64 s[16:17], -1
                                        ; implicit-def: $vgpr4
	s_branch .LBB14_1090
.LBB14_1086:
	s_mov_b64 s[16:17], -1
                                        ; implicit-def: $vgpr4
.LBB14_1087:
	s_and_b64 vcc, exec, s[16:17]
	s_cbranch_vccz .LBB14_1089
; %bb.1088:
	global_load_ubyte v4, v[0:1], off
	s_mov_b32 s16, 0x7f800000
	s_waitcnt vmcnt(0)
	v_lshlrev_b32_e32 v4, 24, v4
	v_and_b32_e32 v6, 0x7f000000, v4
	v_ffbh_u32_e32 v7, v6
	v_min_u32_e32 v7, 32, v7
	v_sub_u32_e64 v7, v7, 4 clamp
	v_lshlrev_b32_e32 v9, v7, v6
	v_lshlrev_b32_e32 v7, 23, v7
	v_lshrrev_b32_e32 v9, 4, v9
	v_add_u32_e32 v8, 0x1000000, v6
	v_sub_u32_e32 v7, v9, v7
	v_ashrrev_i32_e32 v8, 8, v8
	v_add_u32_e32 v7, 0x3c000000, v7
	v_and_or_b32 v7, v8, s16, v7
	v_cmp_ne_u32_e32 vcc, 0, v6
	v_cndmask_b32_e32 v6, 0, v7, vcc
	s_brev_b32 s16, 1
	v_and_or_b32 v4, v4, s16, v6
	v_cvt_f16_f32_e32 v4, v4
.LBB14_1089:
	s_mov_b64 s[16:17], 0
.LBB14_1090:
	s_andn2_b64 vcc, exec, s[16:17]
	s_cbranch_vccnz .LBB14_1092
; %bb.1091:
	global_load_ubyte v4, v[0:1], off
	s_movk_i32 s16, 0x7f00
	s_brev_b32 s17, 16
	s_waitcnt vmcnt(0)
	v_lshlrev_b16_e32 v6, 8, v4
	v_lshlrev_b32_e32 v4, 25, v4
	v_lshrrev_b32_e32 v7, 4, v4
	v_and_or_b32 v8, v6, s16, 0.5
	v_or_b32_e32 v7, 0x70000000, v7
	v_add_f32_e32 v8, -0.5, v8
	v_mul_f32_e32 v7, 0x7800000, v7
	v_cmp_gt_u32_e32 vcc, s17, v4
	v_bfe_i32 v6, v6, 0, 16
	v_cndmask_b32_e32 v4, v7, v8, vcc
	s_brev_b32 s16, 1
	v_and_or_b32 v4, v6, s16, v4
	v_cvt_f16_f32_e32 v4, v4
.LBB14_1092:
	s_mov_b64 s[20:21], -1
	s_mov_b64 s[18:19], 0
	s_cbranch_execnz .LBB14_1103
.LBB14_1093:
	v_cmp_lt_i16_e32 vcc, 14, v3
	s_cbranch_vccz .LBB14_1096
; %bb.1094:
	v_cmp_eq_u16_e32 vcc, 15, v3
	s_cbranch_vccz .LBB14_1099
; %bb.1095:
	global_load_ushort v4, v[0:1], off
	s_mov_b64 s[2:3], 0
	s_mov_b64 s[20:21], -1
	s_waitcnt vmcnt(0)
	v_lshlrev_b32_e32 v4, 16, v4
	v_cvt_f16_f32_e32 v4, v4
	s_branch .LBB14_1100
.LBB14_1096:
	s_mov_b64 s[16:17], -1
                                        ; implicit-def: $vgpr4
	s_branch .LBB14_1101
.LBB14_1097:
	s_or_saveexec_b64 s[18:19], s[18:19]
	v_mov_b32_e32 v4, s22
	s_xor_b64 exec, exec, s[18:19]
	s_cbranch_execz .LBB14_1079
.LBB14_1098:
	v_cmp_ne_u16_e32 vcc, 0, v6
	s_andn2_b64 s[16:17], s[16:17], exec
	s_and_b64 s[20:21], vcc, exec
	s_or_b64 s[16:17], s[16:17], s[20:21]
	v_mov_b32_e32 v4, v6
	s_or_b64 exec, exec, s[18:19]
	s_and_saveexec_b64 s[18:19], s[16:17]
	s_cbranch_execnz .LBB14_1080
	s_branch .LBB14_1081
.LBB14_1099:
	s_mov_b64 s[2:3], -1
                                        ; implicit-def: $vgpr4
.LBB14_1100:
	s_mov_b64 s[16:17], 0
.LBB14_1101:
	s_and_b64 vcc, exec, s[16:17]
	s_cbranch_vccz .LBB14_1103
; %bb.1102:
	v_cmp_ne_u16_e64 s[2:3], 11, v3
	s_mov_b64 s[18:19], -1
                                        ; implicit-def: $vgpr4
.LBB14_1103:
	s_and_b64 vcc, exec, s[2:3]
	s_mov_b64 s[16:17], s[6:7]
	s_cbranch_vccnz .LBB14_1164
; %bb.1104:
	s_andn2_b64 vcc, exec, s[18:19]
	s_cbranch_vccnz .LBB14_1106
.LBB14_1105:
	global_load_ubyte v4, v[0:1], off
	v_mov_b32_e32 v6, 0x3c00
	s_mov_b64 s[20:21], -1
	s_waitcnt vmcnt(0)
	v_cmp_ne_u16_e32 vcc, 0, v4
	v_cndmask_b32_e32 v4, 0, v6, vcc
.LBB14_1106:
	s_branch .LBB14_1036
.LBB14_1107:
	v_cmp_gt_i16_e32 vcc, 5, v3
	s_cbranch_vccnz .LBB14_1112
; %bb.1108:
	v_cmp_gt_i16_e32 vcc, 8, v3
	s_cbranch_vccnz .LBB14_1113
; %bb.1109:
	;; [unrolled: 3-line block ×3, first 2 shown]
	v_cmp_lt_i16_e32 vcc, 9, v3
	s_cbranch_vccz .LBB14_1115
; %bb.1111:
	global_load_dwordx2 v[6:7], v[0:1], off
	s_mov_b64 s[2:3], 0
	s_waitcnt vmcnt(0)
	v_cvt_f32_f64_e32 v4, v[6:7]
	v_cvt_f16_f32_e32 v4, v4
	s_branch .LBB14_1116
.LBB14_1112:
                                        ; implicit-def: $vgpr4
	s_branch .LBB14_1133
.LBB14_1113:
                                        ; implicit-def: $vgpr4
	s_branch .LBB14_1122
.LBB14_1114:
	s_mov_b64 s[2:3], -1
                                        ; implicit-def: $vgpr4
	s_branch .LBB14_1119
.LBB14_1115:
	s_mov_b64 s[2:3], -1
                                        ; implicit-def: $vgpr4
.LBB14_1116:
	s_andn2_b64 vcc, exec, s[2:3]
	s_cbranch_vccnz .LBB14_1118
; %bb.1117:
	global_load_dword v4, v[0:1], off
	s_waitcnt vmcnt(0)
	v_cvt_f16_f32_e32 v4, v4
.LBB14_1118:
	s_mov_b64 s[2:3], 0
.LBB14_1119:
	s_andn2_b64 vcc, exec, s[2:3]
	s_cbranch_vccnz .LBB14_1121
; %bb.1120:
	global_load_dword v4, v[0:1], off
.LBB14_1121:
	s_cbranch_execnz .LBB14_1132
.LBB14_1122:
	v_cmp_gt_i16_e32 vcc, 6, v3
	s_cbranch_vccnz .LBB14_1125
; %bb.1123:
	v_cmp_lt_i16_e32 vcc, 6, v3
	s_cbranch_vccz .LBB14_1126
; %bb.1124:
	global_load_dwordx2 v[6:7], v[0:1], off
	s_mov_b64 s[2:3], 0
	s_waitcnt vmcnt(0)
	v_cvt_f32_f64_e32 v4, v[6:7]
	v_cvt_f16_f32_e32 v4, v4
	s_branch .LBB14_1127
.LBB14_1125:
	s_mov_b64 s[2:3], -1
                                        ; implicit-def: $vgpr4
	s_branch .LBB14_1130
.LBB14_1126:
	s_mov_b64 s[2:3], -1
                                        ; implicit-def: $vgpr4
.LBB14_1127:
	s_andn2_b64 vcc, exec, s[2:3]
	s_cbranch_vccnz .LBB14_1129
; %bb.1128:
	global_load_dword v4, v[0:1], off
	s_waitcnt vmcnt(0)
	v_cvt_f16_f32_e32 v4, v4
.LBB14_1129:
	s_mov_b64 s[2:3], 0
.LBB14_1130:
	s_andn2_b64 vcc, exec, s[2:3]
	s_cbranch_vccnz .LBB14_1132
; %bb.1131:
	global_load_ushort v4, v[0:1], off
.LBB14_1132:
	s_cbranch_execnz .LBB14_1151
.LBB14_1133:
	v_cmp_gt_i16_e32 vcc, 2, v3
	s_cbranch_vccnz .LBB14_1137
; %bb.1134:
	v_cmp_gt_i16_e32 vcc, 3, v3
	s_cbranch_vccnz .LBB14_1138
; %bb.1135:
	v_cmp_lt_i16_e32 vcc, 3, v3
	s_cbranch_vccz .LBB14_1139
; %bb.1136:
	global_load_dwordx2 v[6:7], v[0:1], off
	s_mov_b64 s[2:3], 0
	s_waitcnt vmcnt(0)
	v_xor_b32_e32 v8, v6, v7
	v_ffbh_i32_e32 v4, v7
	v_ashrrev_i32_e32 v8, 31, v8
	v_add_u32_e32 v4, -1, v4
	v_add_u32_e32 v8, 32, v8
	v_min_u32_e32 v4, v4, v8
	v_lshlrev_b64 v[6:7], v4, v[6:7]
	v_min_u32_e32 v6, 1, v6
	v_or_b32_e32 v6, v7, v6
	v_cvt_f32_i32_e32 v6, v6
	v_sub_u32_e32 v4, 32, v4
	v_ldexp_f32 v4, v6, v4
	v_cvt_f16_f32_e32 v4, v4
	s_branch .LBB14_1140
.LBB14_1137:
                                        ; implicit-def: $vgpr4
	s_branch .LBB14_1146
.LBB14_1138:
	s_mov_b64 s[2:3], -1
                                        ; implicit-def: $vgpr4
	s_branch .LBB14_1143
.LBB14_1139:
	s_mov_b64 s[2:3], -1
                                        ; implicit-def: $vgpr4
.LBB14_1140:
	s_andn2_b64 vcc, exec, s[2:3]
	s_cbranch_vccnz .LBB14_1142
; %bb.1141:
	global_load_dword v4, v[0:1], off
	s_waitcnt vmcnt(0)
	v_cvt_f32_i32_e32 v4, v4
	v_cvt_f16_f32_e32 v4, v4
.LBB14_1142:
	s_mov_b64 s[2:3], 0
.LBB14_1143:
	s_andn2_b64 vcc, exec, s[2:3]
	s_cbranch_vccnz .LBB14_1145
; %bb.1144:
	global_load_ushort v4, v[0:1], off
	s_waitcnt vmcnt(0)
	v_cvt_f16_i16_e32 v4, v4
.LBB14_1145:
	s_cbranch_execnz .LBB14_1151
.LBB14_1146:
	v_cmp_lt_i16_e32 vcc, 0, v3
	s_cbranch_vccz .LBB14_1148
; %bb.1147:
	global_load_sbyte v4, v[0:1], off
	s_mov_b64 s[2:3], 0
	s_waitcnt vmcnt(0)
	v_cvt_f16_i16_e32 v4, v4
	s_branch .LBB14_1149
.LBB14_1148:
	s_mov_b64 s[2:3], -1
                                        ; implicit-def: $vgpr4
.LBB14_1149:
	s_andn2_b64 vcc, exec, s[2:3]
	s_cbranch_vccnz .LBB14_1151
; %bb.1150:
	global_load_ubyte v0, v[0:1], off
	s_waitcnt vmcnt(0)
	v_cvt_f16_u16_e32 v4, v0
.LBB14_1151:
.LBB14_1152:
	s_lshl_b32 s13, s13, 7
	v_add_u32_e32 v6, s13, v5
	v_ashrrev_i32_e32 v1, 31, v6
	v_mov_b32_e32 v5, s11
	v_add_co_u32_e32 v0, vcc, s10, v6
	v_addc_co_u32_e32 v1, vcc, v5, v1, vcc
	s_and_b64 vcc, exec, s[0:1]
	s_cbranch_vccnz .LBB14_1159
; %bb.1153:
	v_cmp_lt_i16_e32 vcc, 25, v3
	s_mov_b64 s[18:19], 0
	s_cbranch_vccz .LBB14_1161
; %bb.1154:
	v_cmp_lt_i16_e32 vcc, 28, v3
	s_cbranch_vccz .LBB14_1162
; %bb.1155:
	v_cmp_lt_i16_e32 vcc, 43, v3
	;; [unrolled: 3-line block ×3, first 2 shown]
	s_cbranch_vccz .LBB14_1165
; %bb.1157:
	v_cmp_eq_u16_e32 vcc, 46, v3
	s_mov_b64 s[22:23], 0
	s_cbranch_vccz .LBB14_1168
; %bb.1158:
	global_load_dword v5, v[0:1], off
	s_mov_b64 s[2:3], 0
	s_mov_b64 s[20:21], -1
	s_waitcnt vmcnt(0)
	v_lshlrev_b32_e32 v5, 16, v5
	v_cvt_f16_f32_e32 v5, v5
	s_branch .LBB14_1169
.LBB14_1159:
	s_mov_b64 s[20:21], 0
                                        ; implicit-def: $vgpr5
	s_cbranch_execnz .LBB14_1234
.LBB14_1160:
	s_andn2_b64 vcc, exec, s[20:21]
	s_cbranch_vccnz .LBB14_1993
	s_branch .LBB14_1281
.LBB14_1161:
	s_mov_b64 s[20:21], 0
	s_mov_b64 s[2:3], 0
                                        ; implicit-def: $vgpr5
	s_cbranch_execnz .LBB14_1198
	s_branch .LBB14_1230
.LBB14_1162:
	s_mov_b64 s[22:23], -1
	s_mov_b64 s[20:21], 0
	s_mov_b64 s[2:3], 0
                                        ; implicit-def: $vgpr5
	s_branch .LBB14_1179
.LBB14_1163:
	s_mov_b64 s[22:23], -1
	s_mov_b64 s[20:21], 0
	s_mov_b64 s[2:3], 0
                                        ; implicit-def: $vgpr5
	s_branch .LBB14_1174
.LBB14_1164:
	s_or_b64 s[16:17], s[6:7], exec
	s_trap 2
                                        ; implicit-def: $vgpr4
	s_cbranch_execz .LBB14_1105
	s_branch .LBB14_1106
.LBB14_1165:
	s_mov_b64 s[22:23], -1
	s_mov_b64 s[20:21], 0
	s_mov_b64 s[2:3], 0
                                        ; implicit-def: $vgpr5
	s_branch .LBB14_1169
.LBB14_1166:
	s_or_saveexec_b64 s[26:27], s[26:27]
                                        ; implicit-def: $sgpr28
	s_xor_b64 exec, exec, s[26:27]
	s_cbranch_execz .LBB14_952
.LBB14_1167:
	s_mov_b32 s28, 0x42800000
	v_add_f32_e64 v4, |v2|, s28
	v_and_b32_e32 v4, 0xff, v4
	v_cmp_ne_u32_e32 vcc, 0, v4
	s_andn2_b64 s[24:25], s[24:25], exec
	s_and_b64 s[30:31], vcc, exec
	s_mov_b32 s28, 0
	s_or_b64 s[24:25], s[24:25], s[30:31]
	s_or_b64 exec, exec, s[26:27]
	v_mov_b32_e32 v6, s28
	s_and_saveexec_b64 s[26:27], s[24:25]
	s_cbranch_execnz .LBB14_953
	s_branch .LBB14_954
.LBB14_1168:
	s_mov_b64 s[2:3], -1
                                        ; implicit-def: $vgpr5
	s_mov_b64 s[20:21], 0
.LBB14_1169:
	s_and_b64 vcc, exec, s[22:23]
	s_cbranch_vccz .LBB14_1173
; %bb.1170:
	v_cmp_eq_u16_e32 vcc, 44, v3
	s_cbranch_vccz .LBB14_1172
; %bb.1171:
	global_load_ubyte v5, v[0:1], off
	s_movk_i32 s20, 0xff
	v_mov_b32_e32 v8, 0x7e00
	s_mov_b64 s[2:3], 0
	s_waitcnt vmcnt(0)
	v_lshlrev_b32_e32 v7, 23, v5
	v_cvt_f16_f32_e32 v7, v7
	v_cmp_ne_u32_e32 vcc, s20, v5
	s_mov_b64 s[20:21], -1
	v_cndmask_b32_e32 v7, v8, v7, vcc
	v_cmp_ne_u32_e32 vcc, 0, v5
	v_cndmask_b32_e32 v5, 0, v7, vcc
	s_branch .LBB14_1173
.LBB14_1172:
	s_mov_b64 s[2:3], -1
                                        ; implicit-def: $vgpr5
.LBB14_1173:
	s_mov_b64 s[22:23], 0
.LBB14_1174:
	s_and_b64 vcc, exec, s[22:23]
	s_cbranch_vccz .LBB14_1178
; %bb.1175:
	v_cmp_eq_u16_e32 vcc, 29, v3
	s_cbranch_vccz .LBB14_1177
; %bb.1176:
	global_load_dwordx2 v[8:9], v[0:1], off
	s_mov_b64 s[2:3], 0
	s_mov_b64 s[20:21], -1
	s_mov_b64 s[22:23], 0
	s_waitcnt vmcnt(0)
	v_ffbh_u32_e32 v5, v9
	v_min_u32_e32 v5, 32, v5
	v_lshlrev_b64 v[8:9], v5, v[8:9]
	v_min_u32_e32 v7, 1, v8
	v_or_b32_e32 v7, v9, v7
	v_cvt_f32_u32_e32 v7, v7
	v_sub_u32_e32 v5, 32, v5
	v_ldexp_f32 v5, v7, v5
	v_cvt_f16_f32_e32 v5, v5
	s_branch .LBB14_1179
.LBB14_1177:
	s_mov_b64 s[2:3], -1
                                        ; implicit-def: $vgpr5
.LBB14_1178:
	s_mov_b64 s[22:23], 0
.LBB14_1179:
	s_and_b64 vcc, exec, s[22:23]
	s_cbranch_vccz .LBB14_1197
; %bb.1180:
	v_cmp_gt_i16_e32 vcc, 27, v3
	s_cbranch_vccnz .LBB14_1183
; %bb.1181:
	v_cmp_lt_i16_e32 vcc, 27, v3
	s_cbranch_vccz .LBB14_1184
; %bb.1182:
	global_load_dword v5, v[0:1], off
	s_mov_b64 s[20:21], 0
	s_waitcnt vmcnt(0)
	v_cvt_f32_u32_e32 v5, v5
	v_cvt_f16_f32_e32 v5, v5
	s_branch .LBB14_1185
.LBB14_1183:
	s_mov_b64 s[20:21], -1
                                        ; implicit-def: $vgpr5
	s_branch .LBB14_1188
.LBB14_1184:
	s_mov_b64 s[20:21], -1
                                        ; implicit-def: $vgpr5
.LBB14_1185:
	s_andn2_b64 vcc, exec, s[20:21]
	s_cbranch_vccnz .LBB14_1187
; %bb.1186:
	global_load_ushort v5, v[0:1], off
	s_waitcnt vmcnt(0)
	v_cvt_f16_u16_e32 v5, v5
.LBB14_1187:
	s_mov_b64 s[20:21], 0
.LBB14_1188:
	s_andn2_b64 vcc, exec, s[20:21]
	s_cbranch_vccnz .LBB14_1196
; %bb.1189:
	global_load_ubyte v7, v[0:1], off
	s_movk_i32 s20, 0x7f
                                        ; implicit-def: $sgpr26
	s_waitcnt vmcnt(0)
	v_cmp_lt_i16_e32 vcc, s20, v7
	s_mov_b64 s[20:21], 0
	s_and_saveexec_b64 s[22:23], vcc
	s_xor_b64 s[22:23], exec, s[22:23]
	s_cbranch_execz .LBB14_1209
; %bb.1190:
	s_movk_i32 s20, 0x80
	v_cmp_eq_u16_e32 vcc, s20, v7
	s_mov_b64 s[20:21], -1
                                        ; implicit-def: $sgpr26
	s_and_saveexec_b64 s[24:25], vcc
; %bb.1191:
	s_movk_i32 s26, 0x7e00
	s_xor_b64 s[20:21], exec, -1
; %bb.1192:
	s_or_b64 exec, exec, s[24:25]
	s_and_b64 s[20:21], s[20:21], exec
	s_or_saveexec_b64 s[22:23], s[22:23]
	v_mov_b32_e32 v5, s26
	s_xor_b64 exec, exec, s[22:23]
	s_cbranch_execnz .LBB14_1210
.LBB14_1193:
	s_or_b64 exec, exec, s[22:23]
	s_and_saveexec_b64 s[22:23], s[20:21]
	s_cbranch_execz .LBB14_1195
.LBB14_1194:
	v_lshlrev_b32_e32 v5, 24, v7
	v_and_b32_e32 v7, 0xffff, v7
	v_and_b32_e32 v8, 7, v7
	v_ffbh_u32_e32 v10, v8
	v_min_u32_e32 v10, 32, v10
	v_subrev_u32_e32 v11, 28, v10
	v_bfe_u32 v9, v7, 3, 4
	v_lshlrev_b32_e32 v7, v11, v7
	v_sub_u32_e32 v10, 29, v10
	v_and_b32_e32 v7, 7, v7
	v_cmp_eq_u32_e32 vcc, 0, v9
	v_cndmask_b32_e32 v9, v9, v10, vcc
	v_cndmask_b32_e32 v7, v8, v7, vcc
	v_mov_b32_e32 v8, 0x3b800000
	v_lshlrev_b32_e32 v7, 20, v7
	v_and_b32_e32 v5, 0x80000000, v5
	v_lshl_add_u32 v8, v9, 23, v8
	v_or3_b32 v5, v5, v8, v7
	v_cvt_f16_f32_e32 v5, v5
.LBB14_1195:
	s_or_b64 exec, exec, s[22:23]
.LBB14_1196:
	s_mov_b64 s[20:21], -1
.LBB14_1197:
	s_branch .LBB14_1230
.LBB14_1198:
	v_cmp_lt_i16_e32 vcc, 22, v3
	s_cbranch_vccz .LBB14_1208
; %bb.1199:
	v_cmp_gt_i16_e32 vcc, 24, v3
	s_cbranch_vccnz .LBB14_1211
; %bb.1200:
	v_cmp_lt_i16_e32 vcc, 24, v3
	s_cbranch_vccz .LBB14_1212
; %bb.1201:
	global_load_ubyte v7, v[0:1], off
	s_movk_i32 s18, 0x7f
                                        ; implicit-def: $sgpr24
	s_waitcnt vmcnt(0)
	v_cmp_lt_i16_e32 vcc, s18, v7
	s_mov_b64 s[18:19], 0
	s_and_saveexec_b64 s[20:21], vcc
	s_xor_b64 s[20:21], exec, s[20:21]
	s_cbranch_execz .LBB14_1224
; %bb.1202:
	s_movk_i32 s18, 0x80
	v_cmp_eq_u16_e32 vcc, s18, v7
	s_mov_b64 s[18:19], -1
                                        ; implicit-def: $sgpr24
	s_and_saveexec_b64 s[22:23], vcc
; %bb.1203:
	s_movk_i32 s24, 0x7e00
	s_xor_b64 s[18:19], exec, -1
; %bb.1204:
	s_or_b64 exec, exec, s[22:23]
	s_and_b64 s[18:19], s[18:19], exec
	s_or_saveexec_b64 s[20:21], s[20:21]
	v_mov_b32_e32 v5, s24
	s_xor_b64 exec, exec, s[20:21]
	s_cbranch_execnz .LBB14_1225
.LBB14_1205:
	s_or_b64 exec, exec, s[20:21]
	s_and_saveexec_b64 s[20:21], s[18:19]
	s_cbranch_execz .LBB14_1207
.LBB14_1206:
	v_lshlrev_b32_e32 v5, 24, v7
	v_and_b32_e32 v7, 0xffff, v7
	v_and_b32_e32 v8, 3, v7
	v_ffbh_u32_e32 v10, v8
	v_min_u32_e32 v10, 32, v10
	v_subrev_u32_e32 v11, 29, v10
	v_bfe_u32 v9, v7, 2, 5
	v_lshlrev_b32_e32 v7, v11, v7
	v_sub_u32_e32 v10, 30, v10
	v_and_b32_e32 v7, 3, v7
	v_cmp_eq_u32_e32 vcc, 0, v9
	v_cndmask_b32_e32 v9, v9, v10, vcc
	v_cndmask_b32_e32 v7, v8, v7, vcc
	v_mov_b32_e32 v8, 0x37800000
	v_lshlrev_b32_e32 v7, 21, v7
	v_and_b32_e32 v5, 0x80000000, v5
	v_lshl_add_u32 v8, v9, 23, v8
	v_or3_b32 v5, v5, v8, v7
	v_cvt_f16_f32_e32 v5, v5
.LBB14_1207:
	s_or_b64 exec, exec, s[20:21]
	s_mov_b64 s[18:19], 0
	s_branch .LBB14_1213
.LBB14_1208:
	s_mov_b64 s[18:19], -1
                                        ; implicit-def: $vgpr5
	s_branch .LBB14_1219
.LBB14_1209:
	s_or_saveexec_b64 s[22:23], s[22:23]
	v_mov_b32_e32 v5, s26
	s_xor_b64 exec, exec, s[22:23]
	s_cbranch_execz .LBB14_1193
.LBB14_1210:
	v_cmp_ne_u16_e32 vcc, 0, v7
	s_andn2_b64 s[20:21], s[20:21], exec
	s_and_b64 s[24:25], vcc, exec
	s_or_b64 s[20:21], s[20:21], s[24:25]
	v_mov_b32_e32 v5, v7
	s_or_b64 exec, exec, s[22:23]
	s_and_saveexec_b64 s[22:23], s[20:21]
	s_cbranch_execnz .LBB14_1194
	s_branch .LBB14_1195
.LBB14_1211:
	s_mov_b64 s[18:19], -1
                                        ; implicit-def: $vgpr5
	s_branch .LBB14_1216
.LBB14_1212:
	s_mov_b64 s[18:19], -1
                                        ; implicit-def: $vgpr5
.LBB14_1213:
	s_and_b64 vcc, exec, s[18:19]
	s_cbranch_vccz .LBB14_1215
; %bb.1214:
	global_load_ubyte v5, v[0:1], off
	s_mov_b32 s18, 0x7f800000
	s_waitcnt vmcnt(0)
	v_lshlrev_b32_e32 v5, 24, v5
	v_and_b32_e32 v7, 0x7f000000, v5
	v_ffbh_u32_e32 v8, v7
	v_min_u32_e32 v8, 32, v8
	v_sub_u32_e64 v8, v8, 4 clamp
	v_lshlrev_b32_e32 v10, v8, v7
	v_lshlrev_b32_e32 v8, 23, v8
	v_lshrrev_b32_e32 v10, 4, v10
	v_add_u32_e32 v9, 0x1000000, v7
	v_sub_u32_e32 v8, v10, v8
	v_ashrrev_i32_e32 v9, 8, v9
	v_add_u32_e32 v8, 0x3c000000, v8
	v_and_or_b32 v8, v9, s18, v8
	v_cmp_ne_u32_e32 vcc, 0, v7
	v_cndmask_b32_e32 v7, 0, v8, vcc
	s_brev_b32 s18, 1
	v_and_or_b32 v5, v5, s18, v7
	v_cvt_f16_f32_e32 v5, v5
.LBB14_1215:
	s_mov_b64 s[18:19], 0
.LBB14_1216:
	s_andn2_b64 vcc, exec, s[18:19]
	s_cbranch_vccnz .LBB14_1218
; %bb.1217:
	global_load_ubyte v5, v[0:1], off
	s_movk_i32 s18, 0x7f00
	s_brev_b32 s19, 16
	s_waitcnt vmcnt(0)
	v_lshlrev_b16_e32 v7, 8, v5
	v_lshlrev_b32_e32 v5, 25, v5
	v_lshrrev_b32_e32 v8, 4, v5
	v_and_or_b32 v9, v7, s18, 0.5
	v_or_b32_e32 v8, 0x70000000, v8
	v_add_f32_e32 v9, -0.5, v9
	v_mul_f32_e32 v8, 0x7800000, v8
	v_cmp_gt_u32_e32 vcc, s19, v5
	v_bfe_i32 v7, v7, 0, 16
	v_cndmask_b32_e32 v5, v8, v9, vcc
	s_brev_b32 s18, 1
	v_and_or_b32 v5, v7, s18, v5
	v_cvt_f16_f32_e32 v5, v5
.LBB14_1218:
	s_mov_b64 s[18:19], 0
	s_mov_b64 s[20:21], -1
.LBB14_1219:
	s_andn2_b64 vcc, exec, s[18:19]
	s_mov_b64 s[18:19], 0
	s_cbranch_vccnz .LBB14_1230
; %bb.1220:
	v_cmp_lt_i16_e32 vcc, 14, v3
	s_cbranch_vccz .LBB14_1223
; %bb.1221:
	v_cmp_eq_u16_e32 vcc, 15, v3
	s_cbranch_vccz .LBB14_1226
; %bb.1222:
	global_load_ushort v5, v[0:1], off
	s_mov_b64 s[2:3], 0
	s_mov_b64 s[20:21], -1
	s_waitcnt vmcnt(0)
	v_lshlrev_b32_e32 v5, 16, v5
	v_cvt_f16_f32_e32 v5, v5
	s_branch .LBB14_1227
.LBB14_1223:
	s_mov_b64 s[22:23], -1
                                        ; implicit-def: $vgpr5
	s_branch .LBB14_1228
.LBB14_1224:
	s_or_saveexec_b64 s[20:21], s[20:21]
	v_mov_b32_e32 v5, s24
	s_xor_b64 exec, exec, s[20:21]
	s_cbranch_execz .LBB14_1205
.LBB14_1225:
	v_cmp_ne_u16_e32 vcc, 0, v7
	s_andn2_b64 s[18:19], s[18:19], exec
	s_and_b64 s[22:23], vcc, exec
	s_or_b64 s[18:19], s[18:19], s[22:23]
	v_mov_b32_e32 v5, v7
	s_or_b64 exec, exec, s[20:21]
	s_and_saveexec_b64 s[20:21], s[18:19]
	s_cbranch_execnz .LBB14_1206
	s_branch .LBB14_1207
.LBB14_1226:
	s_mov_b64 s[2:3], -1
                                        ; implicit-def: $vgpr5
.LBB14_1227:
	s_mov_b64 s[22:23], 0
.LBB14_1228:
	s_and_b64 vcc, exec, s[22:23]
	s_cbranch_vccz .LBB14_1230
; %bb.1229:
	v_cmp_ne_u16_e64 s[2:3], 11, v3
	s_mov_b64 s[18:19], -1
                                        ; implicit-def: $vgpr5
.LBB14_1230:
	s_and_b64 vcc, exec, s[2:3]
	s_cbranch_vccnz .LBB14_1293
; %bb.1231:
	s_andn2_b64 vcc, exec, s[18:19]
	s_cbranch_vccnz .LBB14_1233
.LBB14_1232:
	global_load_ubyte v5, v[0:1], off
	v_mov_b32_e32 v7, 0x3c00
	s_mov_b64 s[20:21], -1
	s_waitcnt vmcnt(0)
	v_cmp_ne_u16_e32 vcc, 0, v5
	v_cndmask_b32_e32 v5, 0, v7, vcc
.LBB14_1233:
	s_branch .LBB14_1160
.LBB14_1234:
	v_cmp_gt_i16_e32 vcc, 5, v3
	s_cbranch_vccnz .LBB14_1239
; %bb.1235:
	v_cmp_gt_i16_e32 vcc, 8, v3
	s_cbranch_vccnz .LBB14_1240
; %bb.1236:
	;; [unrolled: 3-line block ×3, first 2 shown]
	v_cmp_lt_i16_e32 vcc, 9, v3
	s_cbranch_vccz .LBB14_1242
; %bb.1238:
	global_load_dwordx2 v[8:9], v[0:1], off
	s_mov_b64 s[2:3], 0
	s_waitcnt vmcnt(0)
	v_cvt_f32_f64_e32 v5, v[8:9]
	v_cvt_f16_f32_e32 v5, v5
	s_branch .LBB14_1243
.LBB14_1239:
                                        ; implicit-def: $vgpr5
	s_branch .LBB14_1261
.LBB14_1240:
	s_mov_b64 s[2:3], -1
                                        ; implicit-def: $vgpr5
	s_branch .LBB14_1249
.LBB14_1241:
	s_mov_b64 s[2:3], -1
                                        ; implicit-def: $vgpr5
	s_branch .LBB14_1246
.LBB14_1242:
	s_mov_b64 s[2:3], -1
                                        ; implicit-def: $vgpr5
.LBB14_1243:
	s_andn2_b64 vcc, exec, s[2:3]
	s_cbranch_vccnz .LBB14_1245
; %bb.1244:
	global_load_dword v5, v[0:1], off
	s_waitcnt vmcnt(0)
	v_cvt_f16_f32_e32 v5, v5
.LBB14_1245:
	s_mov_b64 s[2:3], 0
.LBB14_1246:
	s_andn2_b64 vcc, exec, s[2:3]
	s_cbranch_vccnz .LBB14_1248
; %bb.1247:
	global_load_dword v5, v[0:1], off
.LBB14_1248:
	s_mov_b64 s[2:3], 0
.LBB14_1249:
	s_andn2_b64 vcc, exec, s[2:3]
	s_cbranch_vccnz .LBB14_1260
; %bb.1250:
	v_cmp_gt_i16_e32 vcc, 6, v3
	s_cbranch_vccnz .LBB14_1253
; %bb.1251:
	v_cmp_lt_i16_e32 vcc, 6, v3
	s_cbranch_vccz .LBB14_1254
; %bb.1252:
	global_load_dwordx2 v[8:9], v[0:1], off
	s_mov_b64 s[2:3], 0
	s_waitcnt vmcnt(0)
	v_cvt_f32_f64_e32 v5, v[8:9]
	v_cvt_f16_f32_e32 v5, v5
	s_branch .LBB14_1255
.LBB14_1253:
	s_mov_b64 s[2:3], -1
                                        ; implicit-def: $vgpr5
	s_branch .LBB14_1258
.LBB14_1254:
	s_mov_b64 s[2:3], -1
                                        ; implicit-def: $vgpr5
.LBB14_1255:
	s_andn2_b64 vcc, exec, s[2:3]
	s_cbranch_vccnz .LBB14_1257
; %bb.1256:
	global_load_dword v5, v[0:1], off
	s_waitcnt vmcnt(0)
	v_cvt_f16_f32_e32 v5, v5
.LBB14_1257:
	s_mov_b64 s[2:3], 0
.LBB14_1258:
	s_andn2_b64 vcc, exec, s[2:3]
	s_cbranch_vccnz .LBB14_1260
; %bb.1259:
	global_load_ushort v5, v[0:1], off
.LBB14_1260:
	s_cbranch_execnz .LBB14_1280
.LBB14_1261:
	v_cmp_gt_i16_e32 vcc, 2, v3
	s_cbranch_vccnz .LBB14_1265
; %bb.1262:
	v_cmp_gt_i16_e32 vcc, 3, v3
	s_cbranch_vccnz .LBB14_1266
; %bb.1263:
	v_cmp_lt_i16_e32 vcc, 3, v3
	s_cbranch_vccz .LBB14_1267
; %bb.1264:
	global_load_dwordx2 v[8:9], v[0:1], off
	s_mov_b64 s[2:3], 0
	s_waitcnt vmcnt(0)
	v_xor_b32_e32 v7, v8, v9
	v_ffbh_i32_e32 v5, v9
	v_ashrrev_i32_e32 v7, 31, v7
	v_add_u32_e32 v5, -1, v5
	v_add_u32_e32 v7, 32, v7
	v_min_u32_e32 v5, v5, v7
	v_lshlrev_b64 v[8:9], v5, v[8:9]
	v_min_u32_e32 v7, 1, v8
	v_or_b32_e32 v7, v9, v7
	v_cvt_f32_i32_e32 v7, v7
	v_sub_u32_e32 v5, 32, v5
	v_ldexp_f32 v5, v7, v5
	v_cvt_f16_f32_e32 v5, v5
	s_branch .LBB14_1268
.LBB14_1265:
	s_mov_b64 s[2:3], -1
                                        ; implicit-def: $vgpr5
	s_branch .LBB14_1274
.LBB14_1266:
	s_mov_b64 s[2:3], -1
                                        ; implicit-def: $vgpr5
	s_branch .LBB14_1271
.LBB14_1267:
	s_mov_b64 s[2:3], -1
                                        ; implicit-def: $vgpr5
.LBB14_1268:
	s_andn2_b64 vcc, exec, s[2:3]
	s_cbranch_vccnz .LBB14_1270
; %bb.1269:
	global_load_dword v5, v[0:1], off
	s_waitcnt vmcnt(0)
	v_cvt_f32_i32_e32 v5, v5
	v_cvt_f16_f32_e32 v5, v5
.LBB14_1270:
	s_mov_b64 s[2:3], 0
.LBB14_1271:
	s_andn2_b64 vcc, exec, s[2:3]
	s_cbranch_vccnz .LBB14_1273
; %bb.1272:
	global_load_ushort v5, v[0:1], off
	s_waitcnt vmcnt(0)
	v_cvt_f16_i16_e32 v5, v5
.LBB14_1273:
	s_mov_b64 s[2:3], 0
.LBB14_1274:
	s_andn2_b64 vcc, exec, s[2:3]
	s_cbranch_vccnz .LBB14_1280
; %bb.1275:
	v_cmp_lt_i16_e32 vcc, 0, v3
	s_cbranch_vccz .LBB14_1277
; %bb.1276:
	global_load_sbyte v5, v[0:1], off
	s_mov_b64 s[2:3], 0
	s_waitcnt vmcnt(0)
	v_cvt_f16_i16_e32 v5, v5
	s_branch .LBB14_1278
.LBB14_1277:
	s_mov_b64 s[2:3], -1
                                        ; implicit-def: $vgpr5
.LBB14_1278:
	s_andn2_b64 vcc, exec, s[2:3]
	s_cbranch_vccnz .LBB14_1280
; %bb.1279:
	global_load_ubyte v0, v[0:1], off
	s_waitcnt vmcnt(0)
	v_cvt_f16_u16_e32 v5, v0
.LBB14_1280:
.LBB14_1281:
	v_add_u32_e32 v7, s13, v6
	v_ashrrev_i32_e32 v1, 31, v7
	v_mov_b32_e32 v6, s11
	v_add_co_u32_e32 v0, vcc, s10, v7
	v_addc_co_u32_e32 v1, vcc, v6, v1, vcc
	s_and_b64 vcc, exec, s[0:1]
	s_cbranch_vccnz .LBB14_1288
; %bb.1282:
	v_cmp_lt_i16_e32 vcc, 25, v3
	s_mov_b64 s[18:19], 0
	s_cbranch_vccz .LBB14_1290
; %bb.1283:
	v_cmp_lt_i16_e32 vcc, 28, v3
	s_cbranch_vccz .LBB14_1291
; %bb.1284:
	v_cmp_lt_i16_e32 vcc, 43, v3
	;; [unrolled: 3-line block ×3, first 2 shown]
	s_cbranch_vccz .LBB14_1294
; %bb.1286:
	v_cmp_eq_u16_e32 vcc, 46, v3
	s_mov_b64 s[22:23], 0
	s_cbranch_vccz .LBB14_1295
; %bb.1287:
	global_load_dword v6, v[0:1], off
	s_mov_b64 s[2:3], 0
	s_mov_b64 s[20:21], -1
	s_waitcnt vmcnt(0)
	v_lshlrev_b32_e32 v6, 16, v6
	v_cvt_f16_f32_e32 v6, v6
	s_branch .LBB14_1296
.LBB14_1288:
	s_mov_b64 s[20:21], 0
                                        ; implicit-def: $vgpr6
	s_cbranch_execnz .LBB14_1362
.LBB14_1289:
	s_andn2_b64 vcc, exec, s[20:21]
	s_cbranch_vccnz .LBB14_1993
	s_branch .LBB14_1410
.LBB14_1290:
	s_mov_b64 s[22:23], -1
	s_mov_b64 s[20:21], 0
	s_mov_b64 s[2:3], 0
                                        ; implicit-def: $vgpr6
	s_branch .LBB14_1325
.LBB14_1291:
	s_mov_b64 s[22:23], -1
	s_mov_b64 s[20:21], 0
	s_mov_b64 s[2:3], 0
                                        ; implicit-def: $vgpr6
	s_branch .LBB14_1306
.LBB14_1292:
	s_mov_b64 s[22:23], -1
	s_mov_b64 s[20:21], 0
	s_mov_b64 s[2:3], 0
                                        ; implicit-def: $vgpr6
	s_branch .LBB14_1301
.LBB14_1293:
	s_trap 2
	s_or_b64 s[16:17], s[16:17], exec
                                        ; implicit-def: $vgpr5
	s_cbranch_execz .LBB14_1232
	s_branch .LBB14_1233
.LBB14_1294:
	s_mov_b64 s[22:23], -1
	s_mov_b64 s[20:21], 0
	s_mov_b64 s[2:3], 0
                                        ; implicit-def: $vgpr6
	s_branch .LBB14_1296
.LBB14_1295:
	s_mov_b64 s[2:3], -1
                                        ; implicit-def: $vgpr6
	s_mov_b64 s[20:21], 0
.LBB14_1296:
	s_and_b64 vcc, exec, s[22:23]
	s_cbranch_vccz .LBB14_1300
; %bb.1297:
	v_cmp_eq_u16_e32 vcc, 44, v3
	s_cbranch_vccz .LBB14_1299
; %bb.1298:
	global_load_ubyte v6, v[0:1], off
	s_movk_i32 s20, 0xff
	v_mov_b32_e32 v9, 0x7e00
	s_mov_b64 s[2:3], 0
	s_waitcnt vmcnt(0)
	v_lshlrev_b32_e32 v8, 23, v6
	v_cvt_f16_f32_e32 v8, v8
	v_cmp_ne_u32_e32 vcc, s20, v6
	s_mov_b64 s[20:21], -1
	v_cndmask_b32_e32 v8, v9, v8, vcc
	v_cmp_ne_u32_e32 vcc, 0, v6
	v_cndmask_b32_e32 v6, 0, v8, vcc
	s_branch .LBB14_1300
.LBB14_1299:
	s_mov_b64 s[2:3], -1
                                        ; implicit-def: $vgpr6
.LBB14_1300:
	s_mov_b64 s[22:23], 0
.LBB14_1301:
	s_and_b64 vcc, exec, s[22:23]
	s_cbranch_vccz .LBB14_1305
; %bb.1302:
	v_cmp_eq_u16_e32 vcc, 29, v3
	s_cbranch_vccz .LBB14_1304
; %bb.1303:
	global_load_dwordx2 v[8:9], v[0:1], off
	s_mov_b64 s[2:3], 0
	s_mov_b64 s[20:21], -1
	s_mov_b64 s[22:23], 0
	s_waitcnt vmcnt(0)
	v_ffbh_u32_e32 v6, v9
	v_min_u32_e32 v6, 32, v6
	v_lshlrev_b64 v[8:9], v6, v[8:9]
	v_min_u32_e32 v8, 1, v8
	v_or_b32_e32 v8, v9, v8
	v_cvt_f32_u32_e32 v8, v8
	v_sub_u32_e32 v6, 32, v6
	v_ldexp_f32 v6, v8, v6
	v_cvt_f16_f32_e32 v6, v6
	s_branch .LBB14_1306
.LBB14_1304:
	s_mov_b64 s[2:3], -1
                                        ; implicit-def: $vgpr6
.LBB14_1305:
	s_mov_b64 s[22:23], 0
.LBB14_1306:
	s_and_b64 vcc, exec, s[22:23]
	s_cbranch_vccz .LBB14_1324
; %bb.1307:
	v_cmp_gt_i16_e32 vcc, 27, v3
	s_cbranch_vccnz .LBB14_1310
; %bb.1308:
	v_cmp_lt_i16_e32 vcc, 27, v3
	s_cbranch_vccz .LBB14_1311
; %bb.1309:
	global_load_dword v6, v[0:1], off
	s_mov_b64 s[20:21], 0
	s_waitcnt vmcnt(0)
	v_cvt_f32_u32_e32 v6, v6
	v_cvt_f16_f32_e32 v6, v6
	s_branch .LBB14_1312
.LBB14_1310:
	s_mov_b64 s[20:21], -1
                                        ; implicit-def: $vgpr6
	s_branch .LBB14_1315
.LBB14_1311:
	s_mov_b64 s[20:21], -1
                                        ; implicit-def: $vgpr6
.LBB14_1312:
	s_andn2_b64 vcc, exec, s[20:21]
	s_cbranch_vccnz .LBB14_1314
; %bb.1313:
	global_load_ushort v6, v[0:1], off
	s_waitcnt vmcnt(0)
	v_cvt_f16_u16_e32 v6, v6
.LBB14_1314:
	s_mov_b64 s[20:21], 0
.LBB14_1315:
	s_andn2_b64 vcc, exec, s[20:21]
	s_cbranch_vccnz .LBB14_1323
; %bb.1316:
	global_load_ubyte v8, v[0:1], off
	s_movk_i32 s20, 0x7f
                                        ; implicit-def: $sgpr26
	s_waitcnt vmcnt(0)
	v_cmp_lt_i16_e32 vcc, s20, v8
	s_mov_b64 s[20:21], 0
	s_and_saveexec_b64 s[22:23], vcc
	s_xor_b64 s[22:23], exec, s[22:23]
	s_cbranch_execz .LBB14_1337
; %bb.1317:
	s_movk_i32 s20, 0x80
	v_cmp_eq_u16_e32 vcc, s20, v8
	s_mov_b64 s[20:21], -1
                                        ; implicit-def: $sgpr26
	s_and_saveexec_b64 s[24:25], vcc
; %bb.1318:
	s_movk_i32 s26, 0x7e00
	s_xor_b64 s[20:21], exec, -1
; %bb.1319:
	s_or_b64 exec, exec, s[24:25]
	s_and_b64 s[20:21], s[20:21], exec
	s_or_saveexec_b64 s[22:23], s[22:23]
	v_mov_b32_e32 v6, s26
	s_xor_b64 exec, exec, s[22:23]
	s_cbranch_execnz .LBB14_1338
.LBB14_1320:
	s_or_b64 exec, exec, s[22:23]
	s_and_saveexec_b64 s[22:23], s[20:21]
	s_cbranch_execz .LBB14_1322
.LBB14_1321:
	v_lshlrev_b32_e32 v6, 24, v8
	v_and_b32_e32 v8, 0xffff, v8
	v_and_b32_e32 v9, 7, v8
	v_ffbh_u32_e32 v11, v9
	v_min_u32_e32 v11, 32, v11
	v_subrev_u32_e32 v12, 28, v11
	v_bfe_u32 v10, v8, 3, 4
	v_lshlrev_b32_e32 v8, v12, v8
	v_sub_u32_e32 v11, 29, v11
	v_and_b32_e32 v8, 7, v8
	v_cmp_eq_u32_e32 vcc, 0, v10
	v_cndmask_b32_e32 v10, v10, v11, vcc
	v_cndmask_b32_e32 v8, v9, v8, vcc
	v_mov_b32_e32 v9, 0x3b800000
	v_lshlrev_b32_e32 v8, 20, v8
	v_and_b32_e32 v6, 0x80000000, v6
	v_lshl_add_u32 v9, v10, 23, v9
	v_or3_b32 v6, v6, v9, v8
	v_cvt_f16_f32_e32 v6, v6
.LBB14_1322:
	s_or_b64 exec, exec, s[22:23]
.LBB14_1323:
	s_mov_b64 s[20:21], -1
.LBB14_1324:
	s_mov_b64 s[22:23], 0
.LBB14_1325:
	s_and_b64 vcc, exec, s[22:23]
	s_cbranch_vccz .LBB14_1358
; %bb.1326:
	v_cmp_lt_i16_e32 vcc, 22, v3
	s_cbranch_vccz .LBB14_1336
; %bb.1327:
	v_cmp_gt_i16_e32 vcc, 24, v3
	s_cbranch_vccnz .LBB14_1339
; %bb.1328:
	v_cmp_lt_i16_e32 vcc, 24, v3
	s_cbranch_vccz .LBB14_1340
; %bb.1329:
	global_load_ubyte v8, v[0:1], off
	s_movk_i32 s18, 0x7f
                                        ; implicit-def: $sgpr24
	s_waitcnt vmcnt(0)
	v_cmp_lt_i16_e32 vcc, s18, v8
	s_mov_b64 s[18:19], 0
	s_and_saveexec_b64 s[20:21], vcc
	s_xor_b64 s[20:21], exec, s[20:21]
	s_cbranch_execz .LBB14_1352
; %bb.1330:
	s_movk_i32 s18, 0x80
	v_cmp_eq_u16_e32 vcc, s18, v8
	s_mov_b64 s[18:19], -1
                                        ; implicit-def: $sgpr24
	s_and_saveexec_b64 s[22:23], vcc
; %bb.1331:
	s_movk_i32 s24, 0x7e00
	s_xor_b64 s[18:19], exec, -1
; %bb.1332:
	s_or_b64 exec, exec, s[22:23]
	s_and_b64 s[18:19], s[18:19], exec
	s_or_saveexec_b64 s[20:21], s[20:21]
	v_mov_b32_e32 v6, s24
	s_xor_b64 exec, exec, s[20:21]
	s_cbranch_execnz .LBB14_1353
.LBB14_1333:
	s_or_b64 exec, exec, s[20:21]
	s_and_saveexec_b64 s[20:21], s[18:19]
	s_cbranch_execz .LBB14_1335
.LBB14_1334:
	v_lshlrev_b32_e32 v6, 24, v8
	v_and_b32_e32 v8, 0xffff, v8
	v_and_b32_e32 v9, 3, v8
	v_ffbh_u32_e32 v11, v9
	v_min_u32_e32 v11, 32, v11
	v_subrev_u32_e32 v12, 29, v11
	v_bfe_u32 v10, v8, 2, 5
	v_lshlrev_b32_e32 v8, v12, v8
	v_sub_u32_e32 v11, 30, v11
	v_and_b32_e32 v8, 3, v8
	v_cmp_eq_u32_e32 vcc, 0, v10
	v_cndmask_b32_e32 v10, v10, v11, vcc
	v_cndmask_b32_e32 v8, v9, v8, vcc
	v_mov_b32_e32 v9, 0x37800000
	v_lshlrev_b32_e32 v8, 21, v8
	v_and_b32_e32 v6, 0x80000000, v6
	v_lshl_add_u32 v9, v10, 23, v9
	v_or3_b32 v6, v6, v9, v8
	v_cvt_f16_f32_e32 v6, v6
.LBB14_1335:
	s_or_b64 exec, exec, s[20:21]
	s_mov_b64 s[18:19], 0
	s_branch .LBB14_1341
.LBB14_1336:
	s_mov_b64 s[18:19], -1
                                        ; implicit-def: $vgpr6
	s_branch .LBB14_1347
.LBB14_1337:
	s_or_saveexec_b64 s[22:23], s[22:23]
	v_mov_b32_e32 v6, s26
	s_xor_b64 exec, exec, s[22:23]
	s_cbranch_execz .LBB14_1320
.LBB14_1338:
	v_cmp_ne_u16_e32 vcc, 0, v8
	s_andn2_b64 s[20:21], s[20:21], exec
	s_and_b64 s[24:25], vcc, exec
	s_or_b64 s[20:21], s[20:21], s[24:25]
	v_mov_b32_e32 v6, v8
	s_or_b64 exec, exec, s[22:23]
	s_and_saveexec_b64 s[22:23], s[20:21]
	s_cbranch_execnz .LBB14_1321
	s_branch .LBB14_1322
.LBB14_1339:
	s_mov_b64 s[18:19], -1
                                        ; implicit-def: $vgpr6
	s_branch .LBB14_1344
.LBB14_1340:
	s_mov_b64 s[18:19], -1
                                        ; implicit-def: $vgpr6
.LBB14_1341:
	s_and_b64 vcc, exec, s[18:19]
	s_cbranch_vccz .LBB14_1343
; %bb.1342:
	global_load_ubyte v6, v[0:1], off
	s_mov_b32 s18, 0x7f800000
	s_waitcnt vmcnt(0)
	v_lshlrev_b32_e32 v6, 24, v6
	v_and_b32_e32 v8, 0x7f000000, v6
	v_ffbh_u32_e32 v9, v8
	v_min_u32_e32 v9, 32, v9
	v_sub_u32_e64 v9, v9, 4 clamp
	v_lshlrev_b32_e32 v11, v9, v8
	v_lshlrev_b32_e32 v9, 23, v9
	v_lshrrev_b32_e32 v11, 4, v11
	v_add_u32_e32 v10, 0x1000000, v8
	v_sub_u32_e32 v9, v11, v9
	v_ashrrev_i32_e32 v10, 8, v10
	v_add_u32_e32 v9, 0x3c000000, v9
	v_and_or_b32 v9, v10, s18, v9
	v_cmp_ne_u32_e32 vcc, 0, v8
	v_cndmask_b32_e32 v8, 0, v9, vcc
	s_brev_b32 s18, 1
	v_and_or_b32 v6, v6, s18, v8
	v_cvt_f16_f32_e32 v6, v6
.LBB14_1343:
	s_mov_b64 s[18:19], 0
.LBB14_1344:
	s_andn2_b64 vcc, exec, s[18:19]
	s_cbranch_vccnz .LBB14_1346
; %bb.1345:
	global_load_ubyte v6, v[0:1], off
	s_movk_i32 s18, 0x7f00
	s_brev_b32 s19, 16
	s_waitcnt vmcnt(0)
	v_lshlrev_b16_e32 v8, 8, v6
	v_lshlrev_b32_e32 v6, 25, v6
	v_lshrrev_b32_e32 v9, 4, v6
	v_and_or_b32 v10, v8, s18, 0.5
	v_or_b32_e32 v9, 0x70000000, v9
	v_add_f32_e32 v10, -0.5, v10
	v_mul_f32_e32 v9, 0x7800000, v9
	v_cmp_gt_u32_e32 vcc, s19, v6
	v_bfe_i32 v8, v8, 0, 16
	v_cndmask_b32_e32 v6, v9, v10, vcc
	s_brev_b32 s18, 1
	v_and_or_b32 v6, v8, s18, v6
	v_cvt_f16_f32_e32 v6, v6
.LBB14_1346:
	s_mov_b64 s[18:19], 0
	s_mov_b64 s[20:21], -1
.LBB14_1347:
	s_andn2_b64 vcc, exec, s[18:19]
	s_mov_b64 s[18:19], 0
	s_cbranch_vccnz .LBB14_1358
; %bb.1348:
	v_cmp_lt_i16_e32 vcc, 14, v3
	s_cbranch_vccz .LBB14_1351
; %bb.1349:
	v_cmp_eq_u16_e32 vcc, 15, v3
	s_cbranch_vccz .LBB14_1354
; %bb.1350:
	global_load_ushort v6, v[0:1], off
	s_mov_b64 s[2:3], 0
	s_mov_b64 s[20:21], -1
	s_waitcnt vmcnt(0)
	v_lshlrev_b32_e32 v6, 16, v6
	v_cvt_f16_f32_e32 v6, v6
	s_branch .LBB14_1355
.LBB14_1351:
	s_mov_b64 s[22:23], -1
                                        ; implicit-def: $vgpr6
	s_branch .LBB14_1356
.LBB14_1352:
	s_or_saveexec_b64 s[20:21], s[20:21]
	v_mov_b32_e32 v6, s24
	s_xor_b64 exec, exec, s[20:21]
	s_cbranch_execz .LBB14_1333
.LBB14_1353:
	v_cmp_ne_u16_e32 vcc, 0, v8
	s_andn2_b64 s[18:19], s[18:19], exec
	s_and_b64 s[22:23], vcc, exec
	s_or_b64 s[18:19], s[18:19], s[22:23]
	v_mov_b32_e32 v6, v8
	s_or_b64 exec, exec, s[20:21]
	s_and_saveexec_b64 s[20:21], s[18:19]
	s_cbranch_execnz .LBB14_1334
	s_branch .LBB14_1335
.LBB14_1354:
	s_mov_b64 s[2:3], -1
                                        ; implicit-def: $vgpr6
.LBB14_1355:
	s_mov_b64 s[22:23], 0
.LBB14_1356:
	s_and_b64 vcc, exec, s[22:23]
	s_cbranch_vccz .LBB14_1358
; %bb.1357:
	v_cmp_ne_u16_e64 s[2:3], 11, v3
	s_mov_b64 s[18:19], -1
                                        ; implicit-def: $vgpr6
.LBB14_1358:
	s_and_b64 vcc, exec, s[2:3]
	s_cbranch_vccnz .LBB14_1421
; %bb.1359:
	s_andn2_b64 vcc, exec, s[18:19]
	s_cbranch_vccnz .LBB14_1361
.LBB14_1360:
	global_load_ubyte v6, v[0:1], off
	v_mov_b32_e32 v8, 0x3c00
	s_mov_b64 s[20:21], -1
	s_waitcnt vmcnt(0)
	v_cmp_ne_u16_e32 vcc, 0, v6
	v_cndmask_b32_e32 v6, 0, v8, vcc
.LBB14_1361:
	s_branch .LBB14_1289
.LBB14_1362:
	v_cmp_gt_i16_e32 vcc, 5, v3
	s_cbranch_vccnz .LBB14_1367
; %bb.1363:
	v_cmp_gt_i16_e32 vcc, 8, v3
	s_cbranch_vccnz .LBB14_1368
; %bb.1364:
	;; [unrolled: 3-line block ×3, first 2 shown]
	v_cmp_lt_i16_e32 vcc, 9, v3
	s_cbranch_vccz .LBB14_1370
; %bb.1366:
	global_load_dwordx2 v[8:9], v[0:1], off
	s_mov_b64 s[2:3], 0
	s_waitcnt vmcnt(0)
	v_cvt_f32_f64_e32 v6, v[8:9]
	v_cvt_f16_f32_e32 v6, v6
	s_branch .LBB14_1371
.LBB14_1367:
	s_mov_b64 s[2:3], -1
                                        ; implicit-def: $vgpr6
	s_branch .LBB14_1389
.LBB14_1368:
	s_mov_b64 s[2:3], -1
                                        ; implicit-def: $vgpr6
	s_branch .LBB14_1377
.LBB14_1369:
	s_mov_b64 s[2:3], -1
                                        ; implicit-def: $vgpr6
	s_branch .LBB14_1374
.LBB14_1370:
	s_mov_b64 s[2:3], -1
                                        ; implicit-def: $vgpr6
.LBB14_1371:
	s_andn2_b64 vcc, exec, s[2:3]
	s_cbranch_vccnz .LBB14_1373
; %bb.1372:
	global_load_dword v6, v[0:1], off
	s_waitcnt vmcnt(0)
	v_cvt_f16_f32_e32 v6, v6
.LBB14_1373:
	s_mov_b64 s[2:3], 0
.LBB14_1374:
	s_andn2_b64 vcc, exec, s[2:3]
	s_cbranch_vccnz .LBB14_1376
; %bb.1375:
	global_load_dword v6, v[0:1], off
.LBB14_1376:
	s_mov_b64 s[2:3], 0
.LBB14_1377:
	s_andn2_b64 vcc, exec, s[2:3]
	s_cbranch_vccnz .LBB14_1388
; %bb.1378:
	v_cmp_gt_i16_e32 vcc, 6, v3
	s_cbranch_vccnz .LBB14_1381
; %bb.1379:
	v_cmp_lt_i16_e32 vcc, 6, v3
	s_cbranch_vccz .LBB14_1382
; %bb.1380:
	global_load_dwordx2 v[8:9], v[0:1], off
	s_mov_b64 s[2:3], 0
	s_waitcnt vmcnt(0)
	v_cvt_f32_f64_e32 v6, v[8:9]
	v_cvt_f16_f32_e32 v6, v6
	s_branch .LBB14_1383
.LBB14_1381:
	s_mov_b64 s[2:3], -1
                                        ; implicit-def: $vgpr6
	s_branch .LBB14_1386
.LBB14_1382:
	s_mov_b64 s[2:3], -1
                                        ; implicit-def: $vgpr6
.LBB14_1383:
	s_andn2_b64 vcc, exec, s[2:3]
	s_cbranch_vccnz .LBB14_1385
; %bb.1384:
	global_load_dword v6, v[0:1], off
	s_waitcnt vmcnt(0)
	v_cvt_f16_f32_e32 v6, v6
.LBB14_1385:
	s_mov_b64 s[2:3], 0
.LBB14_1386:
	s_andn2_b64 vcc, exec, s[2:3]
	s_cbranch_vccnz .LBB14_1388
; %bb.1387:
	global_load_ushort v6, v[0:1], off
.LBB14_1388:
	s_mov_b64 s[2:3], 0
.LBB14_1389:
	s_andn2_b64 vcc, exec, s[2:3]
	s_cbranch_vccnz .LBB14_1409
; %bb.1390:
	v_cmp_gt_i16_e32 vcc, 2, v3
	s_cbranch_vccnz .LBB14_1394
; %bb.1391:
	v_cmp_gt_i16_e32 vcc, 3, v3
	s_cbranch_vccnz .LBB14_1395
; %bb.1392:
	v_cmp_lt_i16_e32 vcc, 3, v3
	s_cbranch_vccz .LBB14_1396
; %bb.1393:
	global_load_dwordx2 v[8:9], v[0:1], off
	s_mov_b64 s[2:3], 0
	s_waitcnt vmcnt(0)
	v_xor_b32_e32 v10, v8, v9
	v_ffbh_i32_e32 v6, v9
	v_ashrrev_i32_e32 v10, 31, v10
	v_add_u32_e32 v6, -1, v6
	v_add_u32_e32 v10, 32, v10
	v_min_u32_e32 v6, v6, v10
	v_lshlrev_b64 v[8:9], v6, v[8:9]
	v_min_u32_e32 v8, 1, v8
	v_or_b32_e32 v8, v9, v8
	v_cvt_f32_i32_e32 v8, v8
	v_sub_u32_e32 v6, 32, v6
	v_ldexp_f32 v6, v8, v6
	v_cvt_f16_f32_e32 v6, v6
	s_branch .LBB14_1397
.LBB14_1394:
	s_mov_b64 s[2:3], -1
                                        ; implicit-def: $vgpr6
	s_branch .LBB14_1403
.LBB14_1395:
	s_mov_b64 s[2:3], -1
                                        ; implicit-def: $vgpr6
	s_branch .LBB14_1400
.LBB14_1396:
	s_mov_b64 s[2:3], -1
                                        ; implicit-def: $vgpr6
.LBB14_1397:
	s_andn2_b64 vcc, exec, s[2:3]
	s_cbranch_vccnz .LBB14_1399
; %bb.1398:
	global_load_dword v6, v[0:1], off
	s_waitcnt vmcnt(0)
	v_cvt_f32_i32_e32 v6, v6
	v_cvt_f16_f32_e32 v6, v6
.LBB14_1399:
	s_mov_b64 s[2:3], 0
.LBB14_1400:
	s_andn2_b64 vcc, exec, s[2:3]
	s_cbranch_vccnz .LBB14_1402
; %bb.1401:
	global_load_ushort v6, v[0:1], off
	s_waitcnt vmcnt(0)
	v_cvt_f16_i16_e32 v6, v6
.LBB14_1402:
	s_mov_b64 s[2:3], 0
.LBB14_1403:
	s_andn2_b64 vcc, exec, s[2:3]
	s_cbranch_vccnz .LBB14_1409
; %bb.1404:
	v_cmp_lt_i16_e32 vcc, 0, v3
	s_cbranch_vccz .LBB14_1406
; %bb.1405:
	global_load_sbyte v6, v[0:1], off
	s_mov_b64 s[2:3], 0
	s_waitcnt vmcnt(0)
	v_cvt_f16_i16_e32 v6, v6
	s_branch .LBB14_1407
.LBB14_1406:
	s_mov_b64 s[2:3], -1
                                        ; implicit-def: $vgpr6
.LBB14_1407:
	s_andn2_b64 vcc, exec, s[2:3]
	s_cbranch_vccnz .LBB14_1409
; %bb.1408:
	global_load_ubyte v0, v[0:1], off
	s_waitcnt vmcnt(0)
	v_cvt_f16_u16_e32 v6, v0
.LBB14_1409:
.LBB14_1410:
	v_add_u32_e32 v0, s13, v7
	v_ashrrev_i32_e32 v1, 31, v0
	v_mov_b32_e32 v7, s11
	v_add_co_u32_e32 v0, vcc, s10, v0
	v_addc_co_u32_e32 v1, vcc, v7, v1, vcc
	s_and_b64 vcc, exec, s[0:1]
	s_cbranch_vccnz .LBB14_1417
; %bb.1411:
	v_cmp_lt_i16_e32 vcc, 25, v3
	s_mov_b64 s[2:3], 0
	s_cbranch_vccz .LBB14_1418
; %bb.1412:
	v_cmp_lt_i16_e32 vcc, 28, v3
	s_cbranch_vccz .LBB14_1419
; %bb.1413:
	v_cmp_lt_i16_e32 vcc, 43, v3
	s_cbranch_vccz .LBB14_1420
; %bb.1414:
	v_cmp_lt_i16_e32 vcc, 45, v3
	s_cbranch_vccz .LBB14_1422
; %bb.1415:
	v_cmp_eq_u16_e32 vcc, 46, v3
	s_mov_b64 s[18:19], 0
	s_cbranch_vccz .LBB14_1423
; %bb.1416:
	global_load_dword v7, v[0:1], off
	s_mov_b64 s[0:1], 0
	s_mov_b64 s[10:11], -1
	s_waitcnt vmcnt(0)
	v_lshlrev_b32_e32 v7, 16, v7
	v_cvt_f16_f32_e32 v7, v7
	s_branch .LBB14_1424
.LBB14_1417:
	s_mov_b64 s[0:1], -1
	s_mov_b64 s[10:11], 0
                                        ; implicit-def: $vgpr7
	s_branch .LBB14_1490
.LBB14_1418:
	s_mov_b64 s[18:19], -1
	s_mov_b64 s[10:11], 0
	s_mov_b64 s[0:1], 0
                                        ; implicit-def: $vgpr7
	s_branch .LBB14_1453
.LBB14_1419:
	s_mov_b64 s[18:19], -1
	s_mov_b64 s[10:11], 0
	s_mov_b64 s[0:1], 0
                                        ; implicit-def: $vgpr7
	s_branch .LBB14_1434
.LBB14_1420:
	s_mov_b64 s[18:19], -1
	s_mov_b64 s[10:11], 0
	s_mov_b64 s[0:1], 0
                                        ; implicit-def: $vgpr7
	s_branch .LBB14_1429
.LBB14_1421:
	s_trap 2
	s_or_b64 s[16:17], s[16:17], exec
                                        ; implicit-def: $vgpr6
	s_cbranch_execz .LBB14_1360
	s_branch .LBB14_1361
.LBB14_1422:
	s_mov_b64 s[18:19], -1
	s_mov_b64 s[10:11], 0
	s_mov_b64 s[0:1], 0
                                        ; implicit-def: $vgpr7
	s_branch .LBB14_1424
.LBB14_1423:
	s_mov_b64 s[0:1], -1
                                        ; implicit-def: $vgpr7
	s_mov_b64 s[10:11], 0
.LBB14_1424:
	s_and_b64 vcc, exec, s[18:19]
	s_cbranch_vccz .LBB14_1428
; %bb.1425:
	v_cmp_eq_u16_e32 vcc, 44, v3
	s_cbranch_vccz .LBB14_1427
; %bb.1426:
	global_load_ubyte v7, v[0:1], off
	s_movk_i32 s10, 0xff
	v_mov_b32_e32 v9, 0x7e00
	s_mov_b64 s[0:1], 0
	s_waitcnt vmcnt(0)
	v_lshlrev_b32_e32 v8, 23, v7
	v_cvt_f16_f32_e32 v8, v8
	v_cmp_ne_u32_e32 vcc, s10, v7
	s_mov_b64 s[10:11], -1
	v_cndmask_b32_e32 v8, v9, v8, vcc
	v_cmp_ne_u32_e32 vcc, 0, v7
	v_cndmask_b32_e32 v7, 0, v8, vcc
	s_branch .LBB14_1428
.LBB14_1427:
	s_mov_b64 s[0:1], -1
                                        ; implicit-def: $vgpr7
.LBB14_1428:
	s_mov_b64 s[18:19], 0
.LBB14_1429:
	s_and_b64 vcc, exec, s[18:19]
	s_cbranch_vccz .LBB14_1433
; %bb.1430:
	v_cmp_eq_u16_e32 vcc, 29, v3
	s_cbranch_vccz .LBB14_1432
; %bb.1431:
	global_load_dwordx2 v[8:9], v[0:1], off
	s_mov_b64 s[0:1], 0
	s_mov_b64 s[10:11], -1
	s_mov_b64 s[18:19], 0
	s_waitcnt vmcnt(0)
	v_ffbh_u32_e32 v7, v9
	v_min_u32_e32 v7, 32, v7
	v_lshlrev_b64 v[8:9], v7, v[8:9]
	v_min_u32_e32 v8, 1, v8
	v_or_b32_e32 v8, v9, v8
	v_cvt_f32_u32_e32 v8, v8
	v_sub_u32_e32 v7, 32, v7
	v_ldexp_f32 v7, v8, v7
	v_cvt_f16_f32_e32 v7, v7
	s_branch .LBB14_1434
.LBB14_1432:
	s_mov_b64 s[0:1], -1
                                        ; implicit-def: $vgpr7
.LBB14_1433:
	s_mov_b64 s[18:19], 0
.LBB14_1434:
	s_and_b64 vcc, exec, s[18:19]
	s_cbranch_vccz .LBB14_1452
; %bb.1435:
	v_cmp_gt_i16_e32 vcc, 27, v3
	s_cbranch_vccnz .LBB14_1438
; %bb.1436:
	v_cmp_lt_i16_e32 vcc, 27, v3
	s_cbranch_vccz .LBB14_1439
; %bb.1437:
	global_load_dword v7, v[0:1], off
	s_mov_b64 s[10:11], 0
	s_waitcnt vmcnt(0)
	v_cvt_f32_u32_e32 v7, v7
	v_cvt_f16_f32_e32 v7, v7
	s_branch .LBB14_1440
.LBB14_1438:
	s_mov_b64 s[10:11], -1
                                        ; implicit-def: $vgpr7
	s_branch .LBB14_1443
.LBB14_1439:
	s_mov_b64 s[10:11], -1
                                        ; implicit-def: $vgpr7
.LBB14_1440:
	s_andn2_b64 vcc, exec, s[10:11]
	s_cbranch_vccnz .LBB14_1442
; %bb.1441:
	global_load_ushort v7, v[0:1], off
	s_waitcnt vmcnt(0)
	v_cvt_f16_u16_e32 v7, v7
.LBB14_1442:
	s_mov_b64 s[10:11], 0
.LBB14_1443:
	s_andn2_b64 vcc, exec, s[10:11]
	s_cbranch_vccnz .LBB14_1451
; %bb.1444:
	global_load_ubyte v8, v[0:1], off
	s_movk_i32 s10, 0x7f
                                        ; implicit-def: $sgpr13
	s_waitcnt vmcnt(0)
	v_cmp_lt_i16_e32 vcc, s10, v8
	s_mov_b64 s[10:11], 0
	s_and_saveexec_b64 s[18:19], vcc
	s_xor_b64 s[18:19], exec, s[18:19]
	s_cbranch_execz .LBB14_1465
; %bb.1445:
	s_movk_i32 s10, 0x80
	v_cmp_eq_u16_e32 vcc, s10, v8
	s_mov_b64 s[10:11], -1
                                        ; implicit-def: $sgpr13
	s_and_saveexec_b64 s[20:21], vcc
; %bb.1446:
	s_movk_i32 s13, 0x7e00
	s_xor_b64 s[10:11], exec, -1
; %bb.1447:
	s_or_b64 exec, exec, s[20:21]
	s_and_b64 s[10:11], s[10:11], exec
	s_or_saveexec_b64 s[18:19], s[18:19]
	v_mov_b32_e32 v7, s13
	s_xor_b64 exec, exec, s[18:19]
	s_cbranch_execnz .LBB14_1466
.LBB14_1448:
	s_or_b64 exec, exec, s[18:19]
	s_and_saveexec_b64 s[18:19], s[10:11]
	s_cbranch_execz .LBB14_1450
.LBB14_1449:
	v_lshlrev_b32_e32 v7, 24, v8
	v_and_b32_e32 v8, 0xffff, v8
	v_and_b32_e32 v9, 7, v8
	v_ffbh_u32_e32 v11, v9
	v_min_u32_e32 v11, 32, v11
	v_subrev_u32_e32 v12, 28, v11
	v_bfe_u32 v10, v8, 3, 4
	v_lshlrev_b32_e32 v8, v12, v8
	v_sub_u32_e32 v11, 29, v11
	v_and_b32_e32 v8, 7, v8
	v_cmp_eq_u32_e32 vcc, 0, v10
	v_cndmask_b32_e32 v10, v10, v11, vcc
	v_cndmask_b32_e32 v8, v9, v8, vcc
	v_mov_b32_e32 v9, 0x3b800000
	v_lshlrev_b32_e32 v8, 20, v8
	v_and_b32_e32 v7, 0x80000000, v7
	v_lshl_add_u32 v9, v10, 23, v9
	v_or3_b32 v7, v7, v9, v8
	v_cvt_f16_f32_e32 v7, v7
.LBB14_1450:
	s_or_b64 exec, exec, s[18:19]
.LBB14_1451:
	s_mov_b64 s[10:11], -1
.LBB14_1452:
	s_mov_b64 s[18:19], 0
.LBB14_1453:
	s_and_b64 vcc, exec, s[18:19]
	s_cbranch_vccz .LBB14_1486
; %bb.1454:
	v_cmp_lt_i16_e32 vcc, 22, v3
	s_cbranch_vccz .LBB14_1464
; %bb.1455:
	v_cmp_gt_i16_e32 vcc, 24, v3
	s_cbranch_vccnz .LBB14_1467
; %bb.1456:
	v_cmp_lt_i16_e32 vcc, 24, v3
	s_cbranch_vccz .LBB14_1468
; %bb.1457:
	global_load_ubyte v8, v[0:1], off
	s_movk_i32 s2, 0x7f
                                        ; implicit-def: $sgpr13
	s_waitcnt vmcnt(0)
	v_cmp_lt_i16_e32 vcc, s2, v8
	s_mov_b64 s[2:3], 0
	s_and_saveexec_b64 s[10:11], vcc
	s_xor_b64 s[10:11], exec, s[10:11]
	s_cbranch_execz .LBB14_1480
; %bb.1458:
	s_movk_i32 s2, 0x80
	v_cmp_eq_u16_e32 vcc, s2, v8
	s_mov_b64 s[2:3], -1
                                        ; implicit-def: $sgpr13
	s_and_saveexec_b64 s[18:19], vcc
; %bb.1459:
	s_movk_i32 s13, 0x7e00
	s_xor_b64 s[2:3], exec, -1
; %bb.1460:
	s_or_b64 exec, exec, s[18:19]
	s_and_b64 s[2:3], s[2:3], exec
	s_or_saveexec_b64 s[10:11], s[10:11]
	v_mov_b32_e32 v7, s13
	s_xor_b64 exec, exec, s[10:11]
	s_cbranch_execnz .LBB14_1481
.LBB14_1461:
	s_or_b64 exec, exec, s[10:11]
	s_and_saveexec_b64 s[10:11], s[2:3]
	s_cbranch_execz .LBB14_1463
.LBB14_1462:
	v_lshlrev_b32_e32 v7, 24, v8
	v_and_b32_e32 v8, 0xffff, v8
	v_and_b32_e32 v9, 3, v8
	v_ffbh_u32_e32 v11, v9
	v_min_u32_e32 v11, 32, v11
	v_subrev_u32_e32 v12, 29, v11
	v_bfe_u32 v10, v8, 2, 5
	v_lshlrev_b32_e32 v8, v12, v8
	v_sub_u32_e32 v11, 30, v11
	v_and_b32_e32 v8, 3, v8
	v_cmp_eq_u32_e32 vcc, 0, v10
	v_cndmask_b32_e32 v10, v10, v11, vcc
	v_cndmask_b32_e32 v8, v9, v8, vcc
	v_mov_b32_e32 v9, 0x37800000
	v_lshlrev_b32_e32 v8, 21, v8
	v_and_b32_e32 v7, 0x80000000, v7
	v_lshl_add_u32 v9, v10, 23, v9
	v_or3_b32 v7, v7, v9, v8
	v_cvt_f16_f32_e32 v7, v7
.LBB14_1463:
	s_or_b64 exec, exec, s[10:11]
	s_mov_b64 s[2:3], 0
	s_branch .LBB14_1469
.LBB14_1464:
	s_mov_b64 s[2:3], -1
                                        ; implicit-def: $vgpr7
	s_branch .LBB14_1475
.LBB14_1465:
	s_or_saveexec_b64 s[18:19], s[18:19]
	v_mov_b32_e32 v7, s13
	s_xor_b64 exec, exec, s[18:19]
	s_cbranch_execz .LBB14_1448
.LBB14_1466:
	v_cmp_ne_u16_e32 vcc, 0, v8
	s_andn2_b64 s[10:11], s[10:11], exec
	s_and_b64 s[20:21], vcc, exec
	s_or_b64 s[10:11], s[10:11], s[20:21]
	v_mov_b32_e32 v7, v8
	s_or_b64 exec, exec, s[18:19]
	s_and_saveexec_b64 s[18:19], s[10:11]
	s_cbranch_execnz .LBB14_1449
	s_branch .LBB14_1450
.LBB14_1467:
	s_mov_b64 s[2:3], -1
                                        ; implicit-def: $vgpr7
	s_branch .LBB14_1472
.LBB14_1468:
	s_mov_b64 s[2:3], -1
                                        ; implicit-def: $vgpr7
.LBB14_1469:
	s_and_b64 vcc, exec, s[2:3]
	s_cbranch_vccz .LBB14_1471
; %bb.1470:
	global_load_ubyte v7, v[0:1], off
	s_mov_b32 s2, 0x7f800000
	s_waitcnt vmcnt(0)
	v_lshlrev_b32_e32 v7, 24, v7
	v_and_b32_e32 v8, 0x7f000000, v7
	v_ffbh_u32_e32 v9, v8
	v_min_u32_e32 v9, 32, v9
	v_sub_u32_e64 v9, v9, 4 clamp
	v_lshlrev_b32_e32 v11, v9, v8
	v_lshlrev_b32_e32 v9, 23, v9
	v_lshrrev_b32_e32 v11, 4, v11
	v_add_u32_e32 v10, 0x1000000, v8
	v_sub_u32_e32 v9, v11, v9
	v_ashrrev_i32_e32 v10, 8, v10
	v_add_u32_e32 v9, 0x3c000000, v9
	v_and_or_b32 v9, v10, s2, v9
	v_cmp_ne_u32_e32 vcc, 0, v8
	v_cndmask_b32_e32 v8, 0, v9, vcc
	s_brev_b32 s2, 1
	v_and_or_b32 v7, v7, s2, v8
	v_cvt_f16_f32_e32 v7, v7
.LBB14_1471:
	s_mov_b64 s[2:3], 0
.LBB14_1472:
	s_andn2_b64 vcc, exec, s[2:3]
	s_cbranch_vccnz .LBB14_1474
; %bb.1473:
	global_load_ubyte v7, v[0:1], off
	s_movk_i32 s2, 0x7f00
	s_brev_b32 s3, 16
	s_waitcnt vmcnt(0)
	v_lshlrev_b16_e32 v8, 8, v7
	v_lshlrev_b32_e32 v7, 25, v7
	v_lshrrev_b32_e32 v9, 4, v7
	v_and_or_b32 v10, v8, s2, 0.5
	v_or_b32_e32 v9, 0x70000000, v9
	v_add_f32_e32 v10, -0.5, v10
	v_mul_f32_e32 v9, 0x7800000, v9
	v_cmp_gt_u32_e32 vcc, s3, v7
	v_bfe_i32 v8, v8, 0, 16
	v_cndmask_b32_e32 v7, v9, v10, vcc
	s_brev_b32 s2, 1
	v_and_or_b32 v7, v8, s2, v7
	v_cvt_f16_f32_e32 v7, v7
.LBB14_1474:
	s_mov_b64 s[2:3], 0
	s_mov_b64 s[10:11], -1
.LBB14_1475:
	s_andn2_b64 vcc, exec, s[2:3]
	s_mov_b64 s[2:3], 0
	s_cbranch_vccnz .LBB14_1486
; %bb.1476:
	v_cmp_lt_i16_e32 vcc, 14, v3
	s_cbranch_vccz .LBB14_1479
; %bb.1477:
	v_cmp_eq_u16_e32 vcc, 15, v3
	s_cbranch_vccz .LBB14_1482
; %bb.1478:
	global_load_ushort v7, v[0:1], off
	s_mov_b64 s[0:1], 0
	s_mov_b64 s[10:11], -1
	s_waitcnt vmcnt(0)
	v_lshlrev_b32_e32 v7, 16, v7
	v_cvt_f16_f32_e32 v7, v7
	s_branch .LBB14_1483
.LBB14_1479:
	s_mov_b64 s[18:19], -1
                                        ; implicit-def: $vgpr7
	s_branch .LBB14_1484
.LBB14_1480:
	s_or_saveexec_b64 s[10:11], s[10:11]
	v_mov_b32_e32 v7, s13
	s_xor_b64 exec, exec, s[10:11]
	s_cbranch_execz .LBB14_1461
.LBB14_1481:
	v_cmp_ne_u16_e32 vcc, 0, v8
	s_andn2_b64 s[2:3], s[2:3], exec
	s_and_b64 s[18:19], vcc, exec
	s_or_b64 s[2:3], s[2:3], s[18:19]
	v_mov_b32_e32 v7, v8
	s_or_b64 exec, exec, s[10:11]
	s_and_saveexec_b64 s[10:11], s[2:3]
	s_cbranch_execnz .LBB14_1462
	s_branch .LBB14_1463
.LBB14_1482:
	s_mov_b64 s[0:1], -1
                                        ; implicit-def: $vgpr7
.LBB14_1483:
	s_mov_b64 s[18:19], 0
.LBB14_1484:
	s_and_b64 vcc, exec, s[18:19]
	s_cbranch_vccz .LBB14_1486
; %bb.1485:
	v_cmp_ne_u16_e64 s[0:1], 11, v3
	s_mov_b64 s[2:3], -1
                                        ; implicit-def: $vgpr7
.LBB14_1486:
	s_and_b64 vcc, exec, s[0:1]
	s_cbranch_vccnz .LBB14_1550
; %bb.1487:
	s_andn2_b64 vcc, exec, s[2:3]
	s_cbranch_vccnz .LBB14_1489
.LBB14_1488:
	global_load_ubyte v7, v[0:1], off
	v_mov_b32_e32 v8, 0x3c00
	s_mov_b64 s[10:11], -1
	s_waitcnt vmcnt(0)
	v_cmp_ne_u16_e32 vcc, 0, v7
	v_cndmask_b32_e32 v7, 0, v8, vcc
.LBB14_1489:
	s_mov_b64 s[0:1], 0
.LBB14_1490:
	s_and_b64 vcc, exec, s[0:1]
	s_cbranch_vccz .LBB14_1539
; %bb.1491:
	v_cmp_gt_i16_e32 vcc, 5, v3
	s_cbranch_vccnz .LBB14_1496
; %bb.1492:
	v_cmp_gt_i16_e32 vcc, 8, v3
	s_cbranch_vccnz .LBB14_1497
	;; [unrolled: 3-line block ×3, first 2 shown]
; %bb.1494:
	v_cmp_lt_i16_e32 vcc, 9, v3
	s_cbranch_vccz .LBB14_1499
; %bb.1495:
	global_load_dwordx2 v[8:9], v[0:1], off
	s_mov_b64 s[0:1], 0
	s_waitcnt vmcnt(0)
	v_cvt_f32_f64_e32 v7, v[8:9]
	v_cvt_f16_f32_e32 v7, v7
	s_branch .LBB14_1500
.LBB14_1496:
	s_mov_b64 s[0:1], -1
                                        ; implicit-def: $vgpr7
	s_branch .LBB14_1518
.LBB14_1497:
	s_mov_b64 s[0:1], -1
                                        ; implicit-def: $vgpr7
	s_branch .LBB14_1506
.LBB14_1498:
	s_mov_b64 s[0:1], -1
                                        ; implicit-def: $vgpr7
	s_branch .LBB14_1503
.LBB14_1499:
	s_mov_b64 s[0:1], -1
                                        ; implicit-def: $vgpr7
.LBB14_1500:
	s_andn2_b64 vcc, exec, s[0:1]
	s_cbranch_vccnz .LBB14_1502
; %bb.1501:
	global_load_dword v7, v[0:1], off
	s_waitcnt vmcnt(0)
	v_cvt_f16_f32_e32 v7, v7
.LBB14_1502:
	s_mov_b64 s[0:1], 0
.LBB14_1503:
	s_andn2_b64 vcc, exec, s[0:1]
	s_cbranch_vccnz .LBB14_1505
; %bb.1504:
	global_load_dword v7, v[0:1], off
.LBB14_1505:
	s_mov_b64 s[0:1], 0
.LBB14_1506:
	s_andn2_b64 vcc, exec, s[0:1]
	s_cbranch_vccnz .LBB14_1517
; %bb.1507:
	v_cmp_gt_i16_e32 vcc, 6, v3
	s_cbranch_vccnz .LBB14_1510
; %bb.1508:
	v_cmp_lt_i16_e32 vcc, 6, v3
	s_cbranch_vccz .LBB14_1511
; %bb.1509:
	global_load_dwordx2 v[8:9], v[0:1], off
	s_mov_b64 s[0:1], 0
	s_waitcnt vmcnt(0)
	v_cvt_f32_f64_e32 v7, v[8:9]
	v_cvt_f16_f32_e32 v7, v7
	s_branch .LBB14_1512
.LBB14_1510:
	s_mov_b64 s[0:1], -1
                                        ; implicit-def: $vgpr7
	s_branch .LBB14_1515
.LBB14_1511:
	s_mov_b64 s[0:1], -1
                                        ; implicit-def: $vgpr7
.LBB14_1512:
	s_andn2_b64 vcc, exec, s[0:1]
	s_cbranch_vccnz .LBB14_1514
; %bb.1513:
	global_load_dword v7, v[0:1], off
	s_waitcnt vmcnt(0)
	v_cvt_f16_f32_e32 v7, v7
.LBB14_1514:
	s_mov_b64 s[0:1], 0
.LBB14_1515:
	s_andn2_b64 vcc, exec, s[0:1]
	s_cbranch_vccnz .LBB14_1517
; %bb.1516:
	global_load_ushort v7, v[0:1], off
.LBB14_1517:
	s_mov_b64 s[0:1], 0
.LBB14_1518:
	s_andn2_b64 vcc, exec, s[0:1]
	s_cbranch_vccnz .LBB14_1538
; %bb.1519:
	v_cmp_gt_i16_e32 vcc, 2, v3
	s_cbranch_vccnz .LBB14_1523
; %bb.1520:
	v_cmp_gt_i16_e32 vcc, 3, v3
	s_cbranch_vccnz .LBB14_1524
; %bb.1521:
	v_cmp_lt_i16_e32 vcc, 3, v3
	s_cbranch_vccz .LBB14_1525
; %bb.1522:
	global_load_dwordx2 v[8:9], v[0:1], off
	s_mov_b64 s[0:1], 0
	s_waitcnt vmcnt(0)
	v_xor_b32_e32 v10, v8, v9
	v_ffbh_i32_e32 v7, v9
	v_ashrrev_i32_e32 v10, 31, v10
	v_add_u32_e32 v7, -1, v7
	v_add_u32_e32 v10, 32, v10
	v_min_u32_e32 v7, v7, v10
	v_lshlrev_b64 v[8:9], v7, v[8:9]
	v_min_u32_e32 v8, 1, v8
	v_or_b32_e32 v8, v9, v8
	v_cvt_f32_i32_e32 v8, v8
	v_sub_u32_e32 v7, 32, v7
	v_ldexp_f32 v7, v8, v7
	v_cvt_f16_f32_e32 v7, v7
	s_branch .LBB14_1526
.LBB14_1523:
	s_mov_b64 s[0:1], -1
                                        ; implicit-def: $vgpr7
	s_branch .LBB14_1532
.LBB14_1524:
	s_mov_b64 s[0:1], -1
                                        ; implicit-def: $vgpr7
	s_branch .LBB14_1529
.LBB14_1525:
	s_mov_b64 s[0:1], -1
                                        ; implicit-def: $vgpr7
.LBB14_1526:
	s_andn2_b64 vcc, exec, s[0:1]
	s_cbranch_vccnz .LBB14_1528
; %bb.1527:
	global_load_dword v7, v[0:1], off
	s_waitcnt vmcnt(0)
	v_cvt_f32_i32_e32 v7, v7
	v_cvt_f16_f32_e32 v7, v7
.LBB14_1528:
	s_mov_b64 s[0:1], 0
.LBB14_1529:
	s_andn2_b64 vcc, exec, s[0:1]
	s_cbranch_vccnz .LBB14_1531
; %bb.1530:
	global_load_ushort v7, v[0:1], off
	s_waitcnt vmcnt(0)
	v_cvt_f16_i16_e32 v7, v7
.LBB14_1531:
	s_mov_b64 s[0:1], 0
.LBB14_1532:
	s_andn2_b64 vcc, exec, s[0:1]
	s_cbranch_vccnz .LBB14_1538
; %bb.1533:
	v_cmp_lt_i16_e32 vcc, 0, v3
	s_cbranch_vccz .LBB14_1535
; %bb.1534:
	global_load_sbyte v3, v[0:1], off
	s_mov_b64 s[0:1], 0
	s_waitcnt vmcnt(0)
	v_cvt_f16_i16_e32 v7, v3
	s_branch .LBB14_1536
.LBB14_1535:
	s_mov_b64 s[0:1], -1
                                        ; implicit-def: $vgpr7
.LBB14_1536:
	s_andn2_b64 vcc, exec, s[0:1]
	s_cbranch_vccnz .LBB14_1538
; %bb.1537:
	global_load_ubyte v0, v[0:1], off
	s_waitcnt vmcnt(0)
	v_cvt_f16_u16_e32 v7, v0
.LBB14_1538:
	s_mov_b64 s[10:11], -1
.LBB14_1539:
	s_andn2_b64 vcc, exec, s[10:11]
	s_cbranch_vccnz .LBB14_1993
; %bb.1540:
	v_mov_b32_e32 v0, 0xffff8000
	v_mul_lo_u32 v2, s12, v2
	v_and_b32_e32 v3, s14, v0
	v_ashrrev_i32_e32 v1, 31, v2
	v_mov_b32_e32 v9, s9
	v_add_co_u32_e32 v0, vcc, s8, v2
	v_addc_co_u32_e32 v1, vcc, v9, v1, vcc
	v_mov_b32_e32 v9, 11
	s_waitcnt vmcnt(0)
	v_and_b32_e32 v8, 0x7fff, v4
	v_cmp_lt_i16_sdwa s[0:1], s15, v9 src0_sel:BYTE_0 src1_sel:DWORD
	v_or_b32_e32 v4, v8, v3
	s_and_b64 vcc, exec, s[0:1]
	s_cbranch_vccnz .LBB14_1547
; %bb.1541:
	v_mov_b32_e32 v9, 25
	v_cmp_gt_i16_sdwa s[0:1], s15, v9 src0_sel:BYTE_0 src1_sel:DWORD
	s_mov_b64 s[18:19], -1
	s_mov_b64 s[2:3], 0
	s_and_b64 vcc, exec, s[0:1]
	s_mov_b64 s[10:11], 0
	s_mov_b64 s[0:1], 0
	s_cbranch_vccz .LBB14_1579
; %bb.1542:
	v_mov_b32_e32 v9, 28
	v_cmp_gt_i16_sdwa s[0:1], s15, v9 src0_sel:BYTE_0 src1_sel:DWORD
	s_and_b64 vcc, exec, s[0:1]
	s_cbranch_vccz .LBB14_1548
; %bb.1543:
	v_mov_b32_e32 v9, 43
	v_cmp_gt_i16_sdwa s[0:1], s15, v9 src0_sel:BYTE_0 src1_sel:DWORD
	s_and_b64 vcc, exec, s[0:1]
	;; [unrolled: 5-line block ×3, first 2 shown]
	s_cbranch_vccz .LBB14_1551
; %bb.1545:
	v_mov_b32_e32 v9, 46
	v_cmp_eq_u16_sdwa s[10:11], s15, v9 src0_sel:BYTE_0 src1_sel:DWORD
	s_mov_b64 s[0:1], -1
	s_mov_b64 s[18:19], 0
	s_and_b64 vcc, exec, s[10:11]
	s_mov_b64 s[10:11], 0
	s_cbranch_vccz .LBB14_1552
; %bb.1546:
	v_cvt_f32_f16_e32 v9, v4
	s_movk_i32 s0, 0x7fff
	v_mov_b32_e32 v10, 0x7fc0
	v_cmp_o_f16_e32 vcc, v4, v4
	v_bfe_u32 v11, v9, 16, 1
	v_add3_u32 v9, v9, v11, s0
	v_lshrrev_b32_e32 v9, 16, v9
	v_cndmask_b32_e32 v9, v10, v9, vcc
	global_store_dword v[0:1], v9, off
	s_mov_b64 s[0:1], 0
	s_mov_b64 s[10:11], -1
	s_branch .LBB14_1552
.LBB14_1547:
	s_mov_b64 s[0:1], -1
	s_mov_b64 s[10:11], 0
	s_branch .LBB14_1623
.LBB14_1548:
	s_mov_b64 s[0:1], 0
	s_branch .LBB14_1562
.LBB14_1549:
	s_mov_b64 s[0:1], 0
	s_branch .LBB14_1558
.LBB14_1550:
	s_trap 2
	s_or_b64 s[16:17], s[16:17], exec
                                        ; implicit-def: $vgpr7
	s_cbranch_execz .LBB14_1488
	s_branch .LBB14_1489
.LBB14_1551:
	s_mov_b64 s[0:1], 0
.LBB14_1552:
	s_and_b64 vcc, exec, s[18:19]
	s_cbranch_vccz .LBB14_1557
; %bb.1553:
	v_mov_b32_e32 v9, 44
	v_cmp_eq_u16_sdwa s[18:19], s15, v9 src0_sel:BYTE_0 src1_sel:DWORD
	s_mov_b64 s[0:1], -1
	s_and_b64 vcc, exec, s[18:19]
	s_cbranch_vccz .LBB14_1557
; %bb.1554:
	v_cvt_f32_f16_e32 v9, v4
	s_movk_i32 s0, 0xff
	v_mov_b32_e32 v11, 0xff
	v_bfe_u32 v10, v9, 23, 8
	v_cmp_ne_u32_e32 vcc, s0, v10
	s_and_saveexec_b64 s[10:11], vcc
; %bb.1555:
	s_mov_b32 s0, 0x3fffff
	v_lshrrev_b32_e32 v11, 23, v9
	v_and_b32_e32 v12, 0x400000, v9
	v_and_or_b32 v9, v9, s0, v10
	v_cmp_ne_u32_e32 vcc, 0, v12
	v_cmp_ne_u32_e64 s[0:1], 0, v9
	s_and_b64 s[0:1], vcc, s[0:1]
	v_cndmask_b32_e64 v9, 0, 1, s[0:1]
	v_add_u32_e32 v11, v11, v9
; %bb.1556:
	s_or_b64 exec, exec, s[10:11]
	s_mov_b64 s[0:1], 0
	s_mov_b64 s[10:11], -1
	global_store_byte v[0:1], v11, off
.LBB14_1557:
	s_mov_b64 s[18:19], 0
.LBB14_1558:
	s_and_b64 vcc, exec, s[18:19]
	s_cbranch_vccz .LBB14_1561
; %bb.1559:
	v_mov_b32_e32 v9, 29
	v_cmp_eq_u16_sdwa s[18:19], s15, v9 src0_sel:BYTE_0 src1_sel:DWORD
	s_mov_b64 s[0:1], -1
	s_and_b64 vcc, exec, s[18:19]
	s_cbranch_vccz .LBB14_1561
; %bb.1560:
	v_cvt_f32_f16_e32 v9, v4
	v_mov_b32_e32 v11, 0
	s_mov_b64 s[0:1], 0
	s_mov_b64 s[10:11], -1
	v_cvt_u32_f32_e32 v10, v9
	s_mov_b64 s[18:19], 0
	global_store_dwordx2 v[0:1], v[10:11], off
	s_branch .LBB14_1562
.LBB14_1561:
	s_mov_b64 s[18:19], 0
.LBB14_1562:
	s_and_b64 vcc, exec, s[18:19]
	s_cbranch_vccz .LBB14_1578
; %bb.1563:
	v_mov_b32_e32 v9, 27
	v_cmp_lt_i16_sdwa s[18:19], s15, v9 src0_sel:BYTE_0 src1_sel:DWORD
	s_mov_b64 s[10:11], -1
	s_and_b64 vcc, exec, s[18:19]
	s_cbranch_vccnz .LBB14_1569
; %bb.1564:
	v_cmp_gt_i16_sdwa s[18:19], s15, v9 src0_sel:BYTE_0 src1_sel:DWORD
	s_and_b64 vcc, exec, s[18:19]
	s_cbranch_vccz .LBB14_1566
; %bb.1565:
	v_cvt_f32_f16_e32 v9, v4
	s_mov_b64 s[10:11], 0
	v_cvt_u32_f32_e32 v9, v9
	global_store_dword v[0:1], v9, off
.LBB14_1566:
	s_andn2_b64 vcc, exec, s[10:11]
	s_cbranch_vccnz .LBB14_1568
; %bb.1567:
	v_cvt_u16_f16_e32 v9, v4
	global_store_short v[0:1], v9, off
.LBB14_1568:
	s_mov_b64 s[10:11], 0
.LBB14_1569:
	s_andn2_b64 vcc, exec, s[10:11]
	s_cbranch_vccnz .LBB14_1577
; %bb.1570:
	v_cvt_f32_f16_e32 v9, v4
	s_mov_b32 s10, 0x43800000
	v_mov_b32_e32 v11, 0x80
	v_and_b32_e32 v10, 0x7fffffff, v9
	v_cmp_gt_u32_e32 vcc, s10, v10
	s_and_saveexec_b64 s[10:11], vcc
	s_cbranch_execz .LBB14_1576
; %bb.1571:
	s_mov_b32 s13, 0x3bffffff
	v_cmp_lt_u32_e32 vcc, s13, v10
	s_mov_b64 s[18:19], 0
                                        ; implicit-def: $vgpr10
	s_and_saveexec_b64 s[20:21], vcc
	s_xor_b64 s[20:21], exec, s[20:21]
	s_cbranch_execz .LBB14_1672
; %bb.1572:
	v_bfe_u32 v10, v9, 20, 1
	s_mov_b32 s13, 0x487ffff
	v_add3_u32 v10, v9, v10, s13
	s_mov_b64 s[18:19], exec
	v_lshrrev_b32_e32 v10, 20, v10
	s_or_saveexec_b64 s[20:21], s[20:21]
                                        ; implicit-def: $sgpr13
	s_xor_b64 exec, exec, s[20:21]
	s_cbranch_execnz .LBB14_1673
.LBB14_1573:
	s_or_b64 exec, exec, s[20:21]
	v_mov_b32_e32 v11, s13
	s_and_saveexec_b64 s[20:21], s[18:19]
.LBB14_1574:
	v_lshrrev_b32_e32 v9, 24, v9
	s_movk_i32 s13, 0x80
	v_and_or_b32 v11, v9, s13, v10
.LBB14_1575:
	s_or_b64 exec, exec, s[20:21]
.LBB14_1576:
	s_or_b64 exec, exec, s[10:11]
	global_store_byte v[0:1], v11, off
.LBB14_1577:
	s_mov_b64 s[10:11], -1
.LBB14_1578:
	s_mov_b64 s[18:19], 0
.LBB14_1579:
	s_and_b64 vcc, exec, s[18:19]
	s_cbranch_vccz .LBB14_1619
; %bb.1580:
	v_mov_b32_e32 v9, 22
	v_cmp_gt_i16_sdwa s[18:19], s15, v9 src0_sel:BYTE_0 src1_sel:DWORD
	s_mov_b64 s[2:3], -1
	s_and_b64 vcc, exec, s[18:19]
	s_cbranch_vccz .LBB14_1612
; %bb.1581:
	v_mov_b32_e32 v9, 24
	v_cmp_lt_i16_sdwa s[10:11], s15, v9 src0_sel:BYTE_0 src1_sel:DWORD
	s_and_b64 vcc, exec, s[10:11]
	s_cbranch_vccnz .LBB14_1601
; %bb.1582:
	v_cmp_gt_i16_sdwa s[10:11], s15, v9 src0_sel:BYTE_0 src1_sel:DWORD
	s_and_b64 vcc, exec, s[10:11]
	s_cbranch_vccz .LBB14_1590
; %bb.1583:
	v_cvt_f32_f16_e32 v9, v4
	s_mov_b32 s2, 0x47800000
	v_mov_b32_e32 v11, 0x80
	v_and_b32_e32 v10, 0x7fffffff, v9
	v_cmp_gt_u32_e32 vcc, s2, v10
	s_and_saveexec_b64 s[2:3], vcc
	s_cbranch_execz .LBB14_1589
; %bb.1584:
	s_mov_b32 s10, 0x37ffffff
	v_cmp_lt_u32_e32 vcc, s10, v10
	s_mov_b64 s[10:11], 0
                                        ; implicit-def: $vgpr10
	s_and_saveexec_b64 s[18:19], vcc
	s_xor_b64 s[18:19], exec, s[18:19]
	s_cbranch_execz .LBB14_1676
; %bb.1585:
	v_bfe_u32 v10, v9, 21, 1
	s_mov_b32 s13, 0x88fffff
	v_add3_u32 v10, v9, v10, s13
	s_mov_b64 s[10:11], exec
	v_lshrrev_b32_e32 v10, 21, v10
	s_or_saveexec_b64 s[18:19], s[18:19]
                                        ; implicit-def: $sgpr13
	s_xor_b64 exec, exec, s[18:19]
	s_cbranch_execnz .LBB14_1677
.LBB14_1586:
	s_or_b64 exec, exec, s[18:19]
	v_mov_b32_e32 v11, s13
	s_and_saveexec_b64 s[18:19], s[10:11]
.LBB14_1587:
	v_lshrrev_b32_e32 v9, 24, v9
	s_movk_i32 s10, 0x80
	v_and_or_b32 v11, v9, s10, v10
.LBB14_1588:
	s_or_b64 exec, exec, s[18:19]
.LBB14_1589:
	s_or_b64 exec, exec, s[2:3]
	s_mov_b64 s[2:3], 0
	global_store_byte v[0:1], v11, off
.LBB14_1590:
	s_and_b64 vcc, exec, s[2:3]
	s_cbranch_vccz .LBB14_1600
; %bb.1591:
	v_cvt_f32_f16_e32 v9, v4
	s_mov_b32 s2, 0x43f00000
                                        ; implicit-def: $vgpr10
	v_and_b32_e32 v11, 0x7fffffff, v9
	v_cmp_gt_u32_e32 vcc, s2, v11
	s_and_saveexec_b64 s[2:3], vcc
	s_xor_b64 s[2:3], exec, s[2:3]
	s_cbranch_execz .LBB14_1597
; %bb.1592:
	s_mov_b32 s10, 0x3c7fffff
	v_cmp_lt_u32_e32 vcc, s10, v11
                                        ; implicit-def: $vgpr10
	s_and_saveexec_b64 s[10:11], vcc
	s_xor_b64 s[10:11], exec, s[10:11]
; %bb.1593:
	v_bfe_u32 v10, v9, 20, 1
	s_mov_b32 s13, 0x407ffff
	v_add3_u32 v10, v9, v10, s13
	v_lshrrev_b32_e32 v11, 20, v10
	v_and_b32_e32 v10, 0xff00000, v10
	s_mov_b32 s13, 0x7f00000
	v_mov_b32_e32 v12, 0x7e
	v_cmp_ne_u32_e32 vcc, s13, v10
	v_cndmask_b32_e32 v10, v12, v11, vcc
; %bb.1594:
	s_andn2_saveexec_b64 s[10:11], s[10:11]
; %bb.1595:
	s_mov_b32 s13, 0x46800000
	v_add_f32_e64 v10, |v9|, s13
; %bb.1596:
	s_or_b64 exec, exec, s[10:11]
                                        ; implicit-def: $vgpr11
.LBB14_1597:
	s_andn2_saveexec_b64 s[2:3], s[2:3]
; %bb.1598:
	s_mov_b32 s10, 0x7f800000
	v_mov_b32_e32 v10, 0x7e
	v_mov_b32_e32 v12, 0x7f
	v_cmp_lt_u32_e32 vcc, s10, v11
	v_cndmask_b32_e32 v10, v10, v12, vcc
; %bb.1599:
	s_or_b64 exec, exec, s[2:3]
	v_lshrrev_b32_e32 v9, 24, v9
	s_movk_i32 s2, 0x80
	v_and_or_b32 v9, v9, s2, v10
	global_store_byte v[0:1], v9, off
.LBB14_1600:
	s_mov_b64 s[2:3], 0
.LBB14_1601:
	s_andn2_b64 vcc, exec, s[2:3]
	s_cbranch_vccnz .LBB14_1611
; %bb.1602:
	v_cvt_f32_f16_e32 v9, v4
	s_mov_b32 s2, 0x47800000
                                        ; implicit-def: $vgpr10
	v_and_b32_e32 v11, 0x7fffffff, v9
	v_cmp_gt_u32_e32 vcc, s2, v11
	s_and_saveexec_b64 s[2:3], vcc
	s_xor_b64 s[2:3], exec, s[2:3]
	s_cbranch_execz .LBB14_1608
; %bb.1603:
	s_mov_b32 s10, 0x387fffff
	v_cmp_lt_u32_e32 vcc, s10, v11
                                        ; implicit-def: $vgpr10
	s_and_saveexec_b64 s[10:11], vcc
	s_xor_b64 s[10:11], exec, s[10:11]
; %bb.1604:
	v_bfe_u32 v10, v9, 21, 1
	s_mov_b32 s13, 0x80fffff
	v_add3_u32 v10, v9, v10, s13
	v_lshrrev_b32_e32 v10, 21, v10
; %bb.1605:
	s_andn2_saveexec_b64 s[10:11], s[10:11]
; %bb.1606:
	s_mov_b32 s13, 0x43000000
	v_add_f32_e64 v10, |v9|, s13
; %bb.1607:
	s_or_b64 exec, exec, s[10:11]
                                        ; implicit-def: $vgpr11
.LBB14_1608:
	s_andn2_saveexec_b64 s[2:3], s[2:3]
; %bb.1609:
	s_mov_b32 s10, 0x7f800000
	v_mov_b32_e32 v10, 0x7c
	v_mov_b32_e32 v12, 0x7f
	v_cmp_lt_u32_e32 vcc, s10, v11
	v_cndmask_b32_e32 v10, v10, v12, vcc
; %bb.1610:
	s_or_b64 exec, exec, s[2:3]
	v_lshrrev_b32_e32 v9, 24, v9
	s_movk_i32 s2, 0x80
	v_and_or_b32 v9, v9, s2, v10
	global_store_byte v[0:1], v9, off
.LBB14_1611:
	s_mov_b64 s[2:3], 0
	s_mov_b64 s[10:11], -1
.LBB14_1612:
	s_andn2_b64 vcc, exec, s[2:3]
	s_mov_b64 s[2:3], 0
	s_cbranch_vccnz .LBB14_1619
; %bb.1613:
	v_mov_b32_e32 v9, 14
	v_cmp_gt_i16_sdwa s[2:3], s15, v9 src0_sel:BYTE_0 src1_sel:DWORD
	s_mov_b64 s[18:19], -1
	s_and_b64 vcc, exec, s[2:3]
	s_cbranch_vccz .LBB14_1617
; %bb.1614:
	v_mov_b32_e32 v9, 15
	v_cmp_eq_u16_sdwa s[2:3], s15, v9 src0_sel:BYTE_0 src1_sel:DWORD
	s_mov_b64 s[0:1], -1
	s_and_b64 vcc, exec, s[2:3]
	s_cbranch_vccz .LBB14_1616
; %bb.1615:
	v_cvt_f32_f16_e32 v9, v4
	s_movk_i32 s0, 0x7fff
	v_mov_b32_e32 v10, 0x7fc0
	v_cmp_o_f16_e32 vcc, v4, v4
	v_bfe_u32 v11, v9, 16, 1
	v_add3_u32 v9, v9, v11, s0
	v_lshrrev_b32_e32 v9, 16, v9
	v_cndmask_b32_e32 v9, v10, v9, vcc
	global_store_short v[0:1], v9, off
	s_mov_b64 s[0:1], 0
	s_mov_b64 s[10:11], -1
.LBB14_1616:
	s_mov_b64 s[18:19], 0
.LBB14_1617:
	s_mov_b64 s[2:3], 0
	s_and_b64 vcc, exec, s[18:19]
	s_cbranch_vccz .LBB14_1619
; %bb.1618:
	v_mov_b32_e32 v9, 11
	v_cmp_ne_u16_sdwa s[0:1], s15, v9 src0_sel:BYTE_0 src1_sel:DWORD
	s_mov_b64 s[2:3], -1
.LBB14_1619:
	s_and_b64 vcc, exec, s[0:1]
	s_cbranch_vccnz .LBB14_1675
; %bb.1620:
	s_andn2_b64 vcc, exec, s[2:3]
	s_cbranch_vccnz .LBB14_1622
.LBB14_1621:
	v_cmp_ne_u16_e32 vcc, 0, v8
	v_cndmask_b32_e64 v8, 0, 1, vcc
	s_mov_b64 s[10:11], -1
	global_store_byte v[0:1], v8, off
.LBB14_1622:
	s_mov_b64 s[0:1], 0
.LBB14_1623:
	s_and_b64 vcc, exec, s[0:1]
	s_cbranch_vccz .LBB14_1662
; %bb.1624:
	v_mov_b32_e32 v8, 5
	v_cmp_lt_i16_sdwa s[2:3], s15, v8 src0_sel:BYTE_0 src1_sel:DWORD
	s_mov_b64 s[0:1], -1
	s_and_b64 vcc, exec, s[2:3]
	s_cbranch_vccnz .LBB14_1645
; %bb.1625:
	v_mov_b32_e32 v8, 8
	v_cmp_lt_i16_sdwa s[2:3], s15, v8 src0_sel:BYTE_0 src1_sel:DWORD
	s_and_b64 vcc, exec, s[2:3]
	s_cbranch_vccnz .LBB14_1635
; %bb.1626:
	v_mov_b32_e32 v8, 9
	v_cmp_lt_i16_sdwa s[2:3], s15, v8 src0_sel:BYTE_0 src1_sel:DWORD
	s_and_b64 vcc, exec, s[2:3]
	s_cbranch_vccnz .LBB14_1632
; %bb.1627:
	v_cmp_gt_i16_sdwa s[2:3], s15, v8 src0_sel:BYTE_0 src1_sel:DWORD
	s_and_b64 vcc, exec, s[2:3]
	s_cbranch_vccz .LBB14_1629
; %bb.1628:
	v_cvt_f32_f16_e32 v8, v4
	v_mov_b32_e32 v10, 0
	v_mov_b32_e32 v11, v10
	s_mov_b64 s[0:1], 0
	v_cvt_f64_f32_e32 v[8:9], v8
	global_store_dwordx4 v[0:1], v[8:11], off
.LBB14_1629:
	s_andn2_b64 vcc, exec, s[0:1]
	s_cbranch_vccnz .LBB14_1631
; %bb.1630:
	v_cvt_f32_f16_e32 v8, v4
	v_mov_b32_e32 v9, 0
	global_store_dwordx2 v[0:1], v[8:9], off
.LBB14_1631:
	s_mov_b64 s[0:1], 0
.LBB14_1632:
	s_andn2_b64 vcc, exec, s[0:1]
	s_cbranch_vccnz .LBB14_1634
; %bb.1633:
	v_and_b32_e32 v8, 0xffff, v4
	global_store_dword v[0:1], v8, off
.LBB14_1634:
	s_mov_b64 s[0:1], 0
.LBB14_1635:
	s_andn2_b64 vcc, exec, s[0:1]
	s_cbranch_vccnz .LBB14_1644
; %bb.1636:
	v_mov_b32_e32 v8, 6
	v_cmp_lt_i16_sdwa s[2:3], s15, v8 src0_sel:BYTE_0 src1_sel:DWORD
	s_mov_b64 s[0:1], -1
	s_and_b64 vcc, exec, s[2:3]
	s_cbranch_vccnz .LBB14_1642
; %bb.1637:
	v_cmp_gt_i16_sdwa s[2:3], s15, v8 src0_sel:BYTE_0 src1_sel:DWORD
	s_and_b64 vcc, exec, s[2:3]
	s_cbranch_vccz .LBB14_1639
; %bb.1638:
	v_cvt_f32_f16_e32 v8, v4
	s_mov_b64 s[0:1], 0
	v_cvt_f64_f32_e32 v[8:9], v8
	global_store_dwordx2 v[0:1], v[8:9], off
.LBB14_1639:
	s_andn2_b64 vcc, exec, s[0:1]
	s_cbranch_vccnz .LBB14_1641
; %bb.1640:
	v_cvt_f32_f16_e32 v8, v4
	global_store_dword v[0:1], v8, off
.LBB14_1641:
	s_mov_b64 s[0:1], 0
.LBB14_1642:
	s_andn2_b64 vcc, exec, s[0:1]
	s_cbranch_vccnz .LBB14_1644
; %bb.1643:
	global_store_short v[0:1], v4, off
.LBB14_1644:
	s_mov_b64 s[0:1], 0
.LBB14_1645:
	s_andn2_b64 vcc, exec, s[0:1]
	s_cbranch_vccnz .LBB14_1661
; %bb.1646:
	v_mov_b32_e32 v8, 2
	v_cmp_lt_i16_sdwa s[2:3], s15, v8 src0_sel:BYTE_0 src1_sel:DWORD
	s_mov_b64 s[0:1], -1
	s_and_b64 vcc, exec, s[2:3]
	s_cbranch_vccnz .LBB14_1656
; %bb.1647:
	v_mov_b32_e32 v8, 3
	v_cmp_lt_i16_sdwa s[2:3], s15, v8 src0_sel:BYTE_0 src1_sel:DWORD
	s_and_b64 vcc, exec, s[2:3]
	s_cbranch_vccnz .LBB14_1653
; %bb.1648:
	v_cmp_gt_i16_sdwa s[2:3], s15, v8 src0_sel:BYTE_0 src1_sel:DWORD
	s_and_b64 vcc, exec, s[2:3]
	s_cbranch_vccz .LBB14_1650
; %bb.1649:
	v_cvt_f32_f16_e32 v8, v4
	s_mov_b64 s[0:1], 0
	v_cvt_i32_f32_e32 v8, v8
	v_ashrrev_i32_e32 v9, 31, v8
	global_store_dwordx2 v[0:1], v[8:9], off
.LBB14_1650:
	s_andn2_b64 vcc, exec, s[0:1]
	s_cbranch_vccnz .LBB14_1652
; %bb.1651:
	v_cvt_f32_f16_e32 v8, v4
	v_cvt_i32_f32_e32 v8, v8
	global_store_dword v[0:1], v8, off
.LBB14_1652:
	s_mov_b64 s[0:1], 0
.LBB14_1653:
	s_andn2_b64 vcc, exec, s[0:1]
	s_cbranch_vccnz .LBB14_1655
; %bb.1654:
	v_cvt_i16_f16_e32 v8, v4
	global_store_short v[0:1], v8, off
.LBB14_1655:
	s_mov_b64 s[0:1], 0
.LBB14_1656:
	s_andn2_b64 vcc, exec, s[0:1]
	s_cbranch_vccnz .LBB14_1661
; %bb.1657:
	v_mov_b32_e32 v8, 0
	v_cmp_gt_i16_sdwa s[2:3], s15, v8 src0_sel:BYTE_0 src1_sel:DWORD
	s_mov_b64 s[0:1], -1
	s_and_b64 vcc, exec, s[2:3]
	s_cbranch_vccz .LBB14_1659
; %bb.1658:
	v_cvt_i16_f16_e32 v8, v4
	global_store_byte v[0:1], v8, off
	s_mov_b64 s[0:1], 0
.LBB14_1659:
	s_andn2_b64 vcc, exec, s[0:1]
	s_cbranch_vccnz .LBB14_1661
; %bb.1660:
	v_cvt_f32_f16_e32 v4, v4
	v_cvt_i32_f32_e32 v4, v4
	global_store_byte v[0:1], v4, off
.LBB14_1661:
	s_mov_b64 s[10:11], -1
.LBB14_1662:
	s_andn2_b64 vcc, exec, s[10:11]
	s_cbranch_vccnz .LBB14_1993
; %bb.1663:
	s_lshl_b32 s14, s12, 7
	v_add_u32_e32 v2, s14, v2
	v_ashrrev_i32_e32 v1, 31, v2
	v_mov_b32_e32 v8, s9
	v_add_co_u32_e32 v0, vcc, s8, v2
	v_addc_co_u32_e32 v1, vcc, v8, v1, vcc
	v_mov_b32_e32 v8, 11
	v_and_b32_e32 v5, 0x7fff, v5
	v_cmp_lt_i16_sdwa s[0:1], s15, v8 src0_sel:BYTE_0 src1_sel:DWORD
	v_or_b32_e32 v4, v5, v3
	s_and_b64 vcc, exec, s[0:1]
	s_cbranch_vccnz .LBB14_1670
; %bb.1664:
	v_mov_b32_e32 v8, 25
	v_cmp_gt_i16_sdwa s[0:1], s15, v8 src0_sel:BYTE_0 src1_sel:DWORD
	s_mov_b64 s[12:13], -1
	s_mov_b64 s[2:3], 0
	s_and_b64 vcc, exec, s[0:1]
	s_mov_b64 s[10:11], 0
	s_mov_b64 s[0:1], 0
	s_cbranch_vccz .LBB14_1706
; %bb.1665:
	v_mov_b32_e32 v8, 28
	v_cmp_gt_i16_sdwa s[0:1], s15, v8 src0_sel:BYTE_0 src1_sel:DWORD
	s_and_b64 vcc, exec, s[0:1]
	s_cbranch_vccz .LBB14_1671
; %bb.1666:
	v_mov_b32_e32 v8, 43
	v_cmp_gt_i16_sdwa s[0:1], s15, v8 src0_sel:BYTE_0 src1_sel:DWORD
	s_and_b64 vcc, exec, s[0:1]
	;; [unrolled: 5-line block ×3, first 2 shown]
	s_cbranch_vccz .LBB14_1678
; %bb.1668:
	v_mov_b32_e32 v8, 46
	v_cmp_eq_u16_sdwa s[10:11], s15, v8 src0_sel:BYTE_0 src1_sel:DWORD
	s_mov_b64 s[0:1], -1
	s_mov_b64 s[12:13], 0
	s_and_b64 vcc, exec, s[10:11]
	s_mov_b64 s[10:11], 0
	s_cbranch_vccz .LBB14_1679
; %bb.1669:
	v_cvt_f32_f16_e32 v8, v4
	s_movk_i32 s0, 0x7fff
	v_mov_b32_e32 v9, 0x7fc0
	v_cmp_o_f16_e32 vcc, v4, v4
	v_bfe_u32 v10, v8, 16, 1
	v_add3_u32 v8, v8, v10, s0
	v_lshrrev_b32_e32 v8, 16, v8
	v_cndmask_b32_e32 v8, v9, v8, vcc
	global_store_dword v[0:1], v8, off
	s_mov_b64 s[0:1], 0
	s_mov_b64 s[10:11], -1
	s_branch .LBB14_1679
.LBB14_1670:
	s_mov_b64 s[0:1], -1
	s_mov_b64 s[10:11], 0
	s_branch .LBB14_1750
.LBB14_1671:
	s_mov_b64 s[0:1], 0
	s_branch .LBB14_1689
.LBB14_1672:
	s_or_saveexec_b64 s[20:21], s[20:21]
                                        ; implicit-def: $sgpr13
	s_xor_b64 exec, exec, s[20:21]
	s_cbranch_execz .LBB14_1573
.LBB14_1673:
	s_mov_b32 s13, 0x46000000
	v_add_f32_e64 v10, |v9|, s13
	v_and_b32_e32 v10, 0xff, v10
	v_cmp_ne_u32_e32 vcc, 0, v10
	s_andn2_b64 s[18:19], s[18:19], exec
	s_and_b64 s[22:23], vcc, exec
	s_mov_b32 s13, 0
	s_or_b64 s[18:19], s[18:19], s[22:23]
	s_or_b64 exec, exec, s[20:21]
	v_mov_b32_e32 v11, s13
	s_and_saveexec_b64 s[20:21], s[18:19]
	s_cbranch_execnz .LBB14_1574
	s_branch .LBB14_1575
.LBB14_1674:
	s_mov_b64 s[0:1], 0
	s_branch .LBB14_1685
.LBB14_1675:
	s_trap 2
	s_or_b64 s[16:17], s[16:17], exec
	s_cbranch_execz .LBB14_1621
	s_branch .LBB14_1622
.LBB14_1676:
	s_or_saveexec_b64 s[18:19], s[18:19]
                                        ; implicit-def: $sgpr13
	s_xor_b64 exec, exec, s[18:19]
	s_cbranch_execz .LBB14_1586
.LBB14_1677:
	s_mov_b32 s13, 0x42800000
	v_add_f32_e64 v10, |v9|, s13
	v_and_b32_e32 v10, 0xff, v10
	v_cmp_ne_u32_e32 vcc, 0, v10
	s_andn2_b64 s[10:11], s[10:11], exec
	s_and_b64 s[20:21], vcc, exec
	s_mov_b32 s13, 0
	s_or_b64 s[10:11], s[10:11], s[20:21]
	s_or_b64 exec, exec, s[18:19]
	v_mov_b32_e32 v11, s13
	s_and_saveexec_b64 s[18:19], s[10:11]
	s_cbranch_execnz .LBB14_1587
	s_branch .LBB14_1588
.LBB14_1678:
	s_mov_b64 s[0:1], 0
.LBB14_1679:
	s_and_b64 vcc, exec, s[12:13]
	s_cbranch_vccz .LBB14_1684
; %bb.1680:
	v_mov_b32_e32 v8, 44
	v_cmp_eq_u16_sdwa s[12:13], s15, v8 src0_sel:BYTE_0 src1_sel:DWORD
	s_mov_b64 s[0:1], -1
	s_and_b64 vcc, exec, s[12:13]
	s_cbranch_vccz .LBB14_1684
; %bb.1681:
	v_cvt_f32_f16_e32 v8, v4
	s_movk_i32 s0, 0xff
	v_mov_b32_e32 v10, 0xff
	v_bfe_u32 v9, v8, 23, 8
	v_cmp_ne_u32_e32 vcc, s0, v9
	s_and_saveexec_b64 s[10:11], vcc
; %bb.1682:
	s_mov_b32 s0, 0x3fffff
	v_lshrrev_b32_e32 v10, 23, v8
	v_and_b32_e32 v11, 0x400000, v8
	v_and_or_b32 v8, v8, s0, v9
	v_cmp_ne_u32_e32 vcc, 0, v11
	v_cmp_ne_u32_e64 s[0:1], 0, v8
	s_and_b64 s[0:1], vcc, s[0:1]
	v_cndmask_b32_e64 v8, 0, 1, s[0:1]
	v_add_u32_e32 v10, v10, v8
; %bb.1683:
	s_or_b64 exec, exec, s[10:11]
	s_mov_b64 s[0:1], 0
	s_mov_b64 s[10:11], -1
	global_store_byte v[0:1], v10, off
.LBB14_1684:
	s_mov_b64 s[12:13], 0
.LBB14_1685:
	s_and_b64 vcc, exec, s[12:13]
	s_cbranch_vccz .LBB14_1688
; %bb.1686:
	v_mov_b32_e32 v8, 29
	v_cmp_eq_u16_sdwa s[12:13], s15, v8 src0_sel:BYTE_0 src1_sel:DWORD
	s_mov_b64 s[0:1], -1
	s_and_b64 vcc, exec, s[12:13]
	s_cbranch_vccz .LBB14_1688
; %bb.1687:
	v_cvt_f32_f16_e32 v8, v4
	v_mov_b32_e32 v9, 0
	s_mov_b64 s[0:1], 0
	s_mov_b64 s[10:11], -1
	v_cvt_u32_f32_e32 v8, v8
	s_mov_b64 s[12:13], 0
	global_store_dwordx2 v[0:1], v[8:9], off
	s_branch .LBB14_1689
.LBB14_1688:
	s_mov_b64 s[12:13], 0
.LBB14_1689:
	s_and_b64 vcc, exec, s[12:13]
	s_cbranch_vccz .LBB14_1705
; %bb.1690:
	v_mov_b32_e32 v8, 27
	v_cmp_lt_i16_sdwa s[12:13], s15, v8 src0_sel:BYTE_0 src1_sel:DWORD
	s_mov_b64 s[10:11], -1
	s_and_b64 vcc, exec, s[12:13]
	s_cbranch_vccnz .LBB14_1696
; %bb.1691:
	v_cmp_gt_i16_sdwa s[12:13], s15, v8 src0_sel:BYTE_0 src1_sel:DWORD
	s_and_b64 vcc, exec, s[12:13]
	s_cbranch_vccz .LBB14_1693
; %bb.1692:
	v_cvt_f32_f16_e32 v8, v4
	s_mov_b64 s[10:11], 0
	v_cvt_u32_f32_e32 v8, v8
	global_store_dword v[0:1], v8, off
.LBB14_1693:
	s_andn2_b64 vcc, exec, s[10:11]
	s_cbranch_vccnz .LBB14_1695
; %bb.1694:
	v_cvt_u16_f16_e32 v8, v4
	global_store_short v[0:1], v8, off
.LBB14_1695:
	s_mov_b64 s[10:11], 0
.LBB14_1696:
	s_andn2_b64 vcc, exec, s[10:11]
	s_cbranch_vccnz .LBB14_1704
; %bb.1697:
	v_cvt_f32_f16_e32 v8, v4
	s_mov_b32 s10, 0x43800000
	v_mov_b32_e32 v10, 0x80
	v_and_b32_e32 v9, 0x7fffffff, v8
	v_cmp_gt_u32_e32 vcc, s10, v9
	s_and_saveexec_b64 s[10:11], vcc
	s_cbranch_execz .LBB14_1703
; %bb.1698:
	s_mov_b32 s12, 0x3bffffff
	v_cmp_lt_u32_e32 vcc, s12, v9
	s_mov_b64 s[12:13], 0
                                        ; implicit-def: $vgpr9
	s_and_saveexec_b64 s[18:19], vcc
	s_xor_b64 s[18:19], exec, s[18:19]
	s_cbranch_execz .LBB14_1799
; %bb.1699:
	v_bfe_u32 v9, v8, 20, 1
	s_mov_b32 s20, 0x487ffff
	v_add3_u32 v9, v8, v9, s20
	s_mov_b64 s[12:13], exec
	v_lshrrev_b32_e32 v9, 20, v9
	s_or_saveexec_b64 s[18:19], s[18:19]
                                        ; implicit-def: $sgpr20
	s_xor_b64 exec, exec, s[18:19]
	s_cbranch_execnz .LBB14_1800
.LBB14_1700:
	s_or_b64 exec, exec, s[18:19]
	v_mov_b32_e32 v10, s20
	s_and_saveexec_b64 s[18:19], s[12:13]
.LBB14_1701:
	v_lshrrev_b32_e32 v8, 24, v8
	s_movk_i32 s12, 0x80
	v_and_or_b32 v10, v8, s12, v9
.LBB14_1702:
	s_or_b64 exec, exec, s[18:19]
.LBB14_1703:
	s_or_b64 exec, exec, s[10:11]
	global_store_byte v[0:1], v10, off
.LBB14_1704:
	s_mov_b64 s[10:11], -1
.LBB14_1705:
	s_mov_b64 s[12:13], 0
.LBB14_1706:
	s_and_b64 vcc, exec, s[12:13]
	s_cbranch_vccz .LBB14_1746
; %bb.1707:
	v_mov_b32_e32 v8, 22
	v_cmp_gt_i16_sdwa s[12:13], s15, v8 src0_sel:BYTE_0 src1_sel:DWORD
	s_mov_b64 s[2:3], -1
	s_and_b64 vcc, exec, s[12:13]
	s_cbranch_vccz .LBB14_1739
; %bb.1708:
	v_mov_b32_e32 v8, 24
	v_cmp_lt_i16_sdwa s[10:11], s15, v8 src0_sel:BYTE_0 src1_sel:DWORD
	s_and_b64 vcc, exec, s[10:11]
	s_cbranch_vccnz .LBB14_1728
; %bb.1709:
	v_cmp_gt_i16_sdwa s[10:11], s15, v8 src0_sel:BYTE_0 src1_sel:DWORD
	s_and_b64 vcc, exec, s[10:11]
	s_cbranch_vccz .LBB14_1717
; %bb.1710:
	v_cvt_f32_f16_e32 v8, v4
	s_mov_b32 s2, 0x47800000
	v_mov_b32_e32 v10, 0x80
	v_and_b32_e32 v9, 0x7fffffff, v8
	v_cmp_gt_u32_e32 vcc, s2, v9
	s_and_saveexec_b64 s[2:3], vcc
	s_cbranch_execz .LBB14_1716
; %bb.1711:
	s_mov_b32 s10, 0x37ffffff
	v_cmp_lt_u32_e32 vcc, s10, v9
	s_mov_b64 s[10:11], 0
                                        ; implicit-def: $vgpr9
	s_and_saveexec_b64 s[12:13], vcc
	s_xor_b64 s[12:13], exec, s[12:13]
	s_cbranch_execz .LBB14_1803
; %bb.1712:
	v_bfe_u32 v9, v8, 21, 1
	s_mov_b32 s18, 0x88fffff
	v_add3_u32 v9, v8, v9, s18
	s_mov_b64 s[10:11], exec
	v_lshrrev_b32_e32 v9, 21, v9
	s_or_saveexec_b64 s[12:13], s[12:13]
                                        ; implicit-def: $sgpr18
	s_xor_b64 exec, exec, s[12:13]
	s_cbranch_execnz .LBB14_1804
.LBB14_1713:
	s_or_b64 exec, exec, s[12:13]
	v_mov_b32_e32 v10, s18
	s_and_saveexec_b64 s[12:13], s[10:11]
.LBB14_1714:
	v_lshrrev_b32_e32 v8, 24, v8
	s_movk_i32 s10, 0x80
	v_and_or_b32 v10, v8, s10, v9
.LBB14_1715:
	s_or_b64 exec, exec, s[12:13]
.LBB14_1716:
	s_or_b64 exec, exec, s[2:3]
	s_mov_b64 s[2:3], 0
	global_store_byte v[0:1], v10, off
.LBB14_1717:
	s_and_b64 vcc, exec, s[2:3]
	s_cbranch_vccz .LBB14_1727
; %bb.1718:
	v_cvt_f32_f16_e32 v8, v4
	s_mov_b32 s2, 0x43f00000
                                        ; implicit-def: $vgpr9
	v_and_b32_e32 v10, 0x7fffffff, v8
	v_cmp_gt_u32_e32 vcc, s2, v10
	s_and_saveexec_b64 s[2:3], vcc
	s_xor_b64 s[2:3], exec, s[2:3]
	s_cbranch_execz .LBB14_1724
; %bb.1719:
	s_mov_b32 s10, 0x3c7fffff
	v_cmp_lt_u32_e32 vcc, s10, v10
                                        ; implicit-def: $vgpr9
	s_and_saveexec_b64 s[10:11], vcc
	s_xor_b64 s[10:11], exec, s[10:11]
; %bb.1720:
	v_bfe_u32 v9, v8, 20, 1
	s_mov_b32 s12, 0x407ffff
	v_add3_u32 v9, v8, v9, s12
	v_lshrrev_b32_e32 v10, 20, v9
	v_and_b32_e32 v9, 0xff00000, v9
	s_mov_b32 s12, 0x7f00000
	v_mov_b32_e32 v11, 0x7e
	v_cmp_ne_u32_e32 vcc, s12, v9
	v_cndmask_b32_e32 v9, v11, v10, vcc
; %bb.1721:
	s_andn2_saveexec_b64 s[10:11], s[10:11]
; %bb.1722:
	s_mov_b32 s12, 0x46800000
	v_add_f32_e64 v9, |v8|, s12
; %bb.1723:
	s_or_b64 exec, exec, s[10:11]
                                        ; implicit-def: $vgpr10
.LBB14_1724:
	s_andn2_saveexec_b64 s[2:3], s[2:3]
; %bb.1725:
	s_mov_b32 s10, 0x7f800000
	v_mov_b32_e32 v9, 0x7e
	v_mov_b32_e32 v11, 0x7f
	v_cmp_lt_u32_e32 vcc, s10, v10
	v_cndmask_b32_e32 v9, v9, v11, vcc
; %bb.1726:
	s_or_b64 exec, exec, s[2:3]
	v_lshrrev_b32_e32 v8, 24, v8
	s_movk_i32 s2, 0x80
	v_and_or_b32 v8, v8, s2, v9
	global_store_byte v[0:1], v8, off
.LBB14_1727:
	s_mov_b64 s[2:3], 0
.LBB14_1728:
	s_andn2_b64 vcc, exec, s[2:3]
	s_cbranch_vccnz .LBB14_1738
; %bb.1729:
	v_cvt_f32_f16_e32 v8, v4
	s_mov_b32 s2, 0x47800000
                                        ; implicit-def: $vgpr9
	v_and_b32_e32 v10, 0x7fffffff, v8
	v_cmp_gt_u32_e32 vcc, s2, v10
	s_and_saveexec_b64 s[2:3], vcc
	s_xor_b64 s[2:3], exec, s[2:3]
	s_cbranch_execz .LBB14_1735
; %bb.1730:
	s_mov_b32 s10, 0x387fffff
	v_cmp_lt_u32_e32 vcc, s10, v10
                                        ; implicit-def: $vgpr9
	s_and_saveexec_b64 s[10:11], vcc
	s_xor_b64 s[10:11], exec, s[10:11]
; %bb.1731:
	v_bfe_u32 v9, v8, 21, 1
	s_mov_b32 s12, 0x80fffff
	v_add3_u32 v9, v8, v9, s12
	v_lshrrev_b32_e32 v9, 21, v9
; %bb.1732:
	s_andn2_saveexec_b64 s[10:11], s[10:11]
; %bb.1733:
	s_mov_b32 s12, 0x43000000
	v_add_f32_e64 v9, |v8|, s12
; %bb.1734:
	s_or_b64 exec, exec, s[10:11]
                                        ; implicit-def: $vgpr10
.LBB14_1735:
	s_andn2_saveexec_b64 s[2:3], s[2:3]
; %bb.1736:
	s_mov_b32 s10, 0x7f800000
	v_mov_b32_e32 v9, 0x7c
	v_mov_b32_e32 v11, 0x7f
	v_cmp_lt_u32_e32 vcc, s10, v10
	v_cndmask_b32_e32 v9, v9, v11, vcc
; %bb.1737:
	s_or_b64 exec, exec, s[2:3]
	v_lshrrev_b32_e32 v8, 24, v8
	s_movk_i32 s2, 0x80
	v_and_or_b32 v8, v8, s2, v9
	global_store_byte v[0:1], v8, off
.LBB14_1738:
	s_mov_b64 s[2:3], 0
	s_mov_b64 s[10:11], -1
.LBB14_1739:
	s_andn2_b64 vcc, exec, s[2:3]
	s_mov_b64 s[2:3], 0
	s_cbranch_vccnz .LBB14_1746
; %bb.1740:
	v_mov_b32_e32 v8, 14
	v_cmp_gt_i16_sdwa s[2:3], s15, v8 src0_sel:BYTE_0 src1_sel:DWORD
	s_mov_b64 s[12:13], -1
	s_and_b64 vcc, exec, s[2:3]
	s_cbranch_vccz .LBB14_1744
; %bb.1741:
	v_mov_b32_e32 v8, 15
	v_cmp_eq_u16_sdwa s[2:3], s15, v8 src0_sel:BYTE_0 src1_sel:DWORD
	s_mov_b64 s[0:1], -1
	s_and_b64 vcc, exec, s[2:3]
	s_cbranch_vccz .LBB14_1743
; %bb.1742:
	v_cvt_f32_f16_e32 v8, v4
	s_movk_i32 s0, 0x7fff
	v_mov_b32_e32 v9, 0x7fc0
	v_cmp_o_f16_e32 vcc, v4, v4
	v_bfe_u32 v10, v8, 16, 1
	v_add3_u32 v8, v8, v10, s0
	v_lshrrev_b32_e32 v8, 16, v8
	v_cndmask_b32_e32 v8, v9, v8, vcc
	global_store_short v[0:1], v8, off
	s_mov_b64 s[0:1], 0
	s_mov_b64 s[10:11], -1
.LBB14_1743:
	s_mov_b64 s[12:13], 0
.LBB14_1744:
	s_mov_b64 s[2:3], 0
	s_and_b64 vcc, exec, s[12:13]
	s_cbranch_vccz .LBB14_1746
; %bb.1745:
	v_mov_b32_e32 v8, 11
	v_cmp_ne_u16_sdwa s[0:1], s15, v8 src0_sel:BYTE_0 src1_sel:DWORD
	s_mov_b64 s[2:3], -1
.LBB14_1746:
	s_and_b64 vcc, exec, s[0:1]
	s_cbranch_vccnz .LBB14_1802
; %bb.1747:
	s_andn2_b64 vcc, exec, s[2:3]
	s_cbranch_vccnz .LBB14_1749
.LBB14_1748:
	v_cmp_ne_u16_e32 vcc, 0, v5
	v_cndmask_b32_e64 v5, 0, 1, vcc
	s_mov_b64 s[10:11], -1
	global_store_byte v[0:1], v5, off
.LBB14_1749:
	s_mov_b64 s[0:1], 0
.LBB14_1750:
	s_and_b64 vcc, exec, s[0:1]
	s_cbranch_vccz .LBB14_1789
; %bb.1751:
	v_mov_b32_e32 v5, 5
	v_cmp_lt_i16_sdwa s[2:3], s15, v5 src0_sel:BYTE_0 src1_sel:DWORD
	s_mov_b64 s[0:1], -1
	s_and_b64 vcc, exec, s[2:3]
	s_cbranch_vccnz .LBB14_1772
; %bb.1752:
	v_mov_b32_e32 v5, 8
	v_cmp_lt_i16_sdwa s[2:3], s15, v5 src0_sel:BYTE_0 src1_sel:DWORD
	s_and_b64 vcc, exec, s[2:3]
	s_cbranch_vccnz .LBB14_1762
; %bb.1753:
	v_mov_b32_e32 v5, 9
	v_cmp_lt_i16_sdwa s[2:3], s15, v5 src0_sel:BYTE_0 src1_sel:DWORD
	s_and_b64 vcc, exec, s[2:3]
	s_cbranch_vccnz .LBB14_1759
; %bb.1754:
	v_cmp_gt_i16_sdwa s[2:3], s15, v5 src0_sel:BYTE_0 src1_sel:DWORD
	s_and_b64 vcc, exec, s[2:3]
	s_cbranch_vccz .LBB14_1756
; %bb.1755:
	v_cvt_f32_f16_e32 v5, v4
	v_mov_b32_e32 v10, 0
	v_mov_b32_e32 v11, v10
	s_mov_b64 s[0:1], 0
	v_cvt_f64_f32_e32 v[8:9], v5
	global_store_dwordx4 v[0:1], v[8:11], off
.LBB14_1756:
	s_andn2_b64 vcc, exec, s[0:1]
	s_cbranch_vccnz .LBB14_1758
; %bb.1757:
	v_cvt_f32_f16_e32 v8, v4
	v_mov_b32_e32 v9, 0
	global_store_dwordx2 v[0:1], v[8:9], off
.LBB14_1758:
	s_mov_b64 s[0:1], 0
.LBB14_1759:
	s_andn2_b64 vcc, exec, s[0:1]
	s_cbranch_vccnz .LBB14_1761
; %bb.1760:
	v_and_b32_e32 v5, 0xffff, v4
	global_store_dword v[0:1], v5, off
.LBB14_1761:
	s_mov_b64 s[0:1], 0
.LBB14_1762:
	s_andn2_b64 vcc, exec, s[0:1]
	s_cbranch_vccnz .LBB14_1771
; %bb.1763:
	v_mov_b32_e32 v5, 6
	v_cmp_lt_i16_sdwa s[2:3], s15, v5 src0_sel:BYTE_0 src1_sel:DWORD
	s_mov_b64 s[0:1], -1
	s_and_b64 vcc, exec, s[2:3]
	s_cbranch_vccnz .LBB14_1769
; %bb.1764:
	v_cmp_gt_i16_sdwa s[2:3], s15, v5 src0_sel:BYTE_0 src1_sel:DWORD
	s_and_b64 vcc, exec, s[2:3]
	s_cbranch_vccz .LBB14_1766
; %bb.1765:
	v_cvt_f32_f16_e32 v5, v4
	s_mov_b64 s[0:1], 0
	v_cvt_f64_f32_e32 v[8:9], v5
	global_store_dwordx2 v[0:1], v[8:9], off
.LBB14_1766:
	s_andn2_b64 vcc, exec, s[0:1]
	s_cbranch_vccnz .LBB14_1768
; %bb.1767:
	v_cvt_f32_f16_e32 v5, v4
	global_store_dword v[0:1], v5, off
.LBB14_1768:
	s_mov_b64 s[0:1], 0
.LBB14_1769:
	s_andn2_b64 vcc, exec, s[0:1]
	s_cbranch_vccnz .LBB14_1771
; %bb.1770:
	global_store_short v[0:1], v4, off
.LBB14_1771:
	s_mov_b64 s[0:1], 0
.LBB14_1772:
	s_andn2_b64 vcc, exec, s[0:1]
	s_cbranch_vccnz .LBB14_1788
; %bb.1773:
	v_mov_b32_e32 v5, 2
	v_cmp_lt_i16_sdwa s[2:3], s15, v5 src0_sel:BYTE_0 src1_sel:DWORD
	s_mov_b64 s[0:1], -1
	s_and_b64 vcc, exec, s[2:3]
	s_cbranch_vccnz .LBB14_1783
; %bb.1774:
	v_mov_b32_e32 v5, 3
	v_cmp_lt_i16_sdwa s[2:3], s15, v5 src0_sel:BYTE_0 src1_sel:DWORD
	s_and_b64 vcc, exec, s[2:3]
	s_cbranch_vccnz .LBB14_1780
; %bb.1775:
	v_cmp_gt_i16_sdwa s[2:3], s15, v5 src0_sel:BYTE_0 src1_sel:DWORD
	s_and_b64 vcc, exec, s[2:3]
	s_cbranch_vccz .LBB14_1777
; %bb.1776:
	v_cvt_f32_f16_e32 v5, v4
	s_mov_b64 s[0:1], 0
	v_cvt_i32_f32_e32 v8, v5
	v_ashrrev_i32_e32 v9, 31, v8
	global_store_dwordx2 v[0:1], v[8:9], off
.LBB14_1777:
	s_andn2_b64 vcc, exec, s[0:1]
	s_cbranch_vccnz .LBB14_1779
; %bb.1778:
	v_cvt_f32_f16_e32 v5, v4
	v_cvt_i32_f32_e32 v5, v5
	global_store_dword v[0:1], v5, off
.LBB14_1779:
	s_mov_b64 s[0:1], 0
.LBB14_1780:
	s_andn2_b64 vcc, exec, s[0:1]
	s_cbranch_vccnz .LBB14_1782
; %bb.1781:
	v_cvt_i16_f16_e32 v5, v4
	global_store_short v[0:1], v5, off
.LBB14_1782:
	s_mov_b64 s[0:1], 0
.LBB14_1783:
	s_andn2_b64 vcc, exec, s[0:1]
	s_cbranch_vccnz .LBB14_1788
; %bb.1784:
	v_mov_b32_e32 v5, 0
	v_cmp_gt_i16_sdwa s[2:3], s15, v5 src0_sel:BYTE_0 src1_sel:DWORD
	s_mov_b64 s[0:1], -1
	s_and_b64 vcc, exec, s[2:3]
	s_cbranch_vccz .LBB14_1786
; %bb.1785:
	v_cvt_i16_f16_e32 v5, v4
	global_store_byte v[0:1], v5, off
	s_mov_b64 s[0:1], 0
.LBB14_1786:
	s_andn2_b64 vcc, exec, s[0:1]
	s_cbranch_vccnz .LBB14_1788
; %bb.1787:
	v_cvt_f32_f16_e32 v4, v4
	v_cvt_i32_f32_e32 v4, v4
	global_store_byte v[0:1], v4, off
.LBB14_1788:
	s_mov_b64 s[10:11], -1
.LBB14_1789:
	s_andn2_b64 vcc, exec, s[10:11]
	s_cbranch_vccnz .LBB14_1993
; %bb.1790:
	v_add_u32_e32 v2, s14, v2
	v_and_b32_e32 v5, 0x7fff, v6
	v_ashrrev_i32_e32 v1, 31, v2
	v_mov_b32_e32 v6, s9
	v_add_co_u32_e32 v0, vcc, s8, v2
	v_addc_co_u32_e32 v1, vcc, v6, v1, vcc
	v_mov_b32_e32 v6, 11
	v_cmp_lt_i16_sdwa s[0:1], s15, v6 src0_sel:BYTE_0 src1_sel:DWORD
	v_or_b32_e32 v4, v5, v3
	s_and_b64 vcc, exec, s[0:1]
	s_cbranch_vccnz .LBB14_1797
; %bb.1791:
	v_mov_b32_e32 v6, 25
	v_cmp_gt_i16_sdwa s[0:1], s15, v6 src0_sel:BYTE_0 src1_sel:DWORD
	s_mov_b64 s[12:13], -1
	s_mov_b64 s[2:3], 0
	s_and_b64 vcc, exec, s[0:1]
	s_mov_b64 s[10:11], 0
	s_mov_b64 s[0:1], 0
	s_cbranch_vccz .LBB14_1833
; %bb.1792:
	v_mov_b32_e32 v6, 28
	v_cmp_gt_i16_sdwa s[0:1], s15, v6 src0_sel:BYTE_0 src1_sel:DWORD
	s_and_b64 vcc, exec, s[0:1]
	s_cbranch_vccz .LBB14_1798
; %bb.1793:
	v_mov_b32_e32 v6, 43
	v_cmp_gt_i16_sdwa s[0:1], s15, v6 src0_sel:BYTE_0 src1_sel:DWORD
	s_and_b64 vcc, exec, s[0:1]
	;; [unrolled: 5-line block ×3, first 2 shown]
	s_cbranch_vccz .LBB14_1805
; %bb.1795:
	v_mov_b32_e32 v6, 46
	v_cmp_eq_u16_sdwa s[10:11], s15, v6 src0_sel:BYTE_0 src1_sel:DWORD
	s_mov_b64 s[0:1], -1
	s_mov_b64 s[12:13], 0
	s_and_b64 vcc, exec, s[10:11]
	s_mov_b64 s[10:11], 0
	s_cbranch_vccz .LBB14_1806
; %bb.1796:
	v_cvt_f32_f16_e32 v6, v4
	s_movk_i32 s0, 0x7fff
	v_mov_b32_e32 v8, 0x7fc0
	v_cmp_o_f16_e32 vcc, v4, v4
	v_bfe_u32 v9, v6, 16, 1
	v_add3_u32 v6, v6, v9, s0
	v_lshrrev_b32_e32 v6, 16, v6
	v_cndmask_b32_e32 v6, v8, v6, vcc
	global_store_dword v[0:1], v6, off
	s_mov_b64 s[0:1], 0
	s_mov_b64 s[10:11], -1
	s_branch .LBB14_1806
.LBB14_1797:
	s_mov_b64 s[0:1], -1
	s_mov_b64 s[10:11], 0
	s_branch .LBB14_1877
.LBB14_1798:
	s_mov_b64 s[0:1], 0
	s_branch .LBB14_1816
.LBB14_1799:
	s_or_saveexec_b64 s[18:19], s[18:19]
                                        ; implicit-def: $sgpr20
	s_xor_b64 exec, exec, s[18:19]
	s_cbranch_execz .LBB14_1700
.LBB14_1800:
	s_mov_b32 s20, 0x46000000
	v_add_f32_e64 v9, |v8|, s20
	v_and_b32_e32 v9, 0xff, v9
	v_cmp_ne_u32_e32 vcc, 0, v9
	s_andn2_b64 s[12:13], s[12:13], exec
	s_and_b64 s[22:23], vcc, exec
	s_mov_b32 s20, 0
	s_or_b64 s[12:13], s[12:13], s[22:23]
	s_or_b64 exec, exec, s[18:19]
	v_mov_b32_e32 v10, s20
	s_and_saveexec_b64 s[18:19], s[12:13]
	s_cbranch_execnz .LBB14_1701
	s_branch .LBB14_1702
.LBB14_1801:
	s_mov_b64 s[0:1], 0
	s_branch .LBB14_1812
.LBB14_1802:
	s_trap 2
	s_or_b64 s[16:17], s[16:17], exec
	s_cbranch_execz .LBB14_1748
	s_branch .LBB14_1749
.LBB14_1803:
	s_or_saveexec_b64 s[12:13], s[12:13]
                                        ; implicit-def: $sgpr18
	s_xor_b64 exec, exec, s[12:13]
	s_cbranch_execz .LBB14_1713
.LBB14_1804:
	s_mov_b32 s18, 0x42800000
	v_add_f32_e64 v9, |v8|, s18
	v_and_b32_e32 v9, 0xff, v9
	v_cmp_ne_u32_e32 vcc, 0, v9
	s_andn2_b64 s[10:11], s[10:11], exec
	s_and_b64 s[20:21], vcc, exec
	s_mov_b32 s18, 0
	s_or_b64 s[10:11], s[10:11], s[20:21]
	s_or_b64 exec, exec, s[12:13]
	v_mov_b32_e32 v10, s18
	s_and_saveexec_b64 s[12:13], s[10:11]
	s_cbranch_execnz .LBB14_1714
	s_branch .LBB14_1715
.LBB14_1805:
	s_mov_b64 s[0:1], 0
.LBB14_1806:
	s_and_b64 vcc, exec, s[12:13]
	s_cbranch_vccz .LBB14_1811
; %bb.1807:
	v_mov_b32_e32 v6, 44
	v_cmp_eq_u16_sdwa s[12:13], s15, v6 src0_sel:BYTE_0 src1_sel:DWORD
	s_mov_b64 s[0:1], -1
	s_and_b64 vcc, exec, s[12:13]
	s_cbranch_vccz .LBB14_1811
; %bb.1808:
	v_cvt_f32_f16_e32 v6, v4
	s_movk_i32 s0, 0xff
	v_mov_b32_e32 v9, 0xff
	v_bfe_u32 v8, v6, 23, 8
	v_cmp_ne_u32_e32 vcc, s0, v8
	s_and_saveexec_b64 s[10:11], vcc
; %bb.1809:
	s_mov_b32 s0, 0x3fffff
	v_lshrrev_b32_e32 v9, 23, v6
	v_and_b32_e32 v10, 0x400000, v6
	v_and_or_b32 v6, v6, s0, v8
	v_cmp_ne_u32_e32 vcc, 0, v10
	v_cmp_ne_u32_e64 s[0:1], 0, v6
	s_and_b64 s[0:1], vcc, s[0:1]
	v_cndmask_b32_e64 v6, 0, 1, s[0:1]
	v_add_u32_e32 v9, v9, v6
; %bb.1810:
	s_or_b64 exec, exec, s[10:11]
	s_mov_b64 s[0:1], 0
	s_mov_b64 s[10:11], -1
	global_store_byte v[0:1], v9, off
.LBB14_1811:
	s_mov_b64 s[12:13], 0
.LBB14_1812:
	s_and_b64 vcc, exec, s[12:13]
	s_cbranch_vccz .LBB14_1815
; %bb.1813:
	v_mov_b32_e32 v6, 29
	v_cmp_eq_u16_sdwa s[12:13], s15, v6 src0_sel:BYTE_0 src1_sel:DWORD
	s_mov_b64 s[0:1], -1
	s_and_b64 vcc, exec, s[12:13]
	s_cbranch_vccz .LBB14_1815
; %bb.1814:
	v_cvt_f32_f16_e32 v6, v4
	v_mov_b32_e32 v9, 0
	s_mov_b64 s[0:1], 0
	s_mov_b64 s[10:11], -1
	v_cvt_u32_f32_e32 v8, v6
	s_mov_b64 s[12:13], 0
	global_store_dwordx2 v[0:1], v[8:9], off
	s_branch .LBB14_1816
.LBB14_1815:
	s_mov_b64 s[12:13], 0
.LBB14_1816:
	s_and_b64 vcc, exec, s[12:13]
	s_cbranch_vccz .LBB14_1832
; %bb.1817:
	v_mov_b32_e32 v6, 27
	v_cmp_lt_i16_sdwa s[12:13], s15, v6 src0_sel:BYTE_0 src1_sel:DWORD
	s_mov_b64 s[10:11], -1
	s_and_b64 vcc, exec, s[12:13]
	s_cbranch_vccnz .LBB14_1823
; %bb.1818:
	v_cmp_gt_i16_sdwa s[12:13], s15, v6 src0_sel:BYTE_0 src1_sel:DWORD
	s_and_b64 vcc, exec, s[12:13]
	s_cbranch_vccz .LBB14_1820
; %bb.1819:
	v_cvt_f32_f16_e32 v6, v4
	s_mov_b64 s[10:11], 0
	v_cvt_u32_f32_e32 v6, v6
	global_store_dword v[0:1], v6, off
.LBB14_1820:
	s_andn2_b64 vcc, exec, s[10:11]
	s_cbranch_vccnz .LBB14_1822
; %bb.1821:
	v_cvt_u16_f16_e32 v6, v4
	global_store_short v[0:1], v6, off
.LBB14_1822:
	s_mov_b64 s[10:11], 0
.LBB14_1823:
	s_andn2_b64 vcc, exec, s[10:11]
	s_cbranch_vccnz .LBB14_1831
; %bb.1824:
	v_cvt_f32_f16_e32 v6, v4
	s_mov_b32 s10, 0x43800000
	v_mov_b32_e32 v9, 0x80
	v_and_b32_e32 v8, 0x7fffffff, v6
	v_cmp_gt_u32_e32 vcc, s10, v8
	s_and_saveexec_b64 s[10:11], vcc
	s_cbranch_execz .LBB14_1830
; %bb.1825:
	s_mov_b32 s12, 0x3bffffff
	v_cmp_lt_u32_e32 vcc, s12, v8
	s_mov_b64 s[12:13], 0
                                        ; implicit-def: $vgpr8
	s_and_saveexec_b64 s[18:19], vcc
	s_xor_b64 s[18:19], exec, s[18:19]
	s_cbranch_execz .LBB14_2039
; %bb.1826:
	v_bfe_u32 v8, v6, 20, 1
	s_mov_b32 s20, 0x487ffff
	v_add3_u32 v8, v6, v8, s20
	s_mov_b64 s[12:13], exec
	v_lshrrev_b32_e32 v8, 20, v8
	s_or_saveexec_b64 s[18:19], s[18:19]
                                        ; implicit-def: $sgpr20
	s_xor_b64 exec, exec, s[18:19]
	s_cbranch_execnz .LBB14_2040
.LBB14_1827:
	s_or_b64 exec, exec, s[18:19]
	v_mov_b32_e32 v9, s20
	s_and_saveexec_b64 s[18:19], s[12:13]
.LBB14_1828:
	v_lshrrev_b32_e32 v6, 24, v6
	s_movk_i32 s12, 0x80
	v_and_or_b32 v9, v6, s12, v8
.LBB14_1829:
	s_or_b64 exec, exec, s[18:19]
.LBB14_1830:
	s_or_b64 exec, exec, s[10:11]
	global_store_byte v[0:1], v9, off
.LBB14_1831:
	s_mov_b64 s[10:11], -1
.LBB14_1832:
	s_mov_b64 s[12:13], 0
.LBB14_1833:
	s_and_b64 vcc, exec, s[12:13]
	s_cbranch_vccz .LBB14_1873
; %bb.1834:
	v_mov_b32_e32 v6, 22
	v_cmp_gt_i16_sdwa s[12:13], s15, v6 src0_sel:BYTE_0 src1_sel:DWORD
	s_mov_b64 s[2:3], -1
	s_and_b64 vcc, exec, s[12:13]
	s_cbranch_vccz .LBB14_1866
; %bb.1835:
	v_mov_b32_e32 v6, 24
	v_cmp_lt_i16_sdwa s[10:11], s15, v6 src0_sel:BYTE_0 src1_sel:DWORD
	s_and_b64 vcc, exec, s[10:11]
	s_cbranch_vccnz .LBB14_1855
; %bb.1836:
	v_cmp_gt_i16_sdwa s[10:11], s15, v6 src0_sel:BYTE_0 src1_sel:DWORD
	s_and_b64 vcc, exec, s[10:11]
	s_cbranch_vccz .LBB14_1844
; %bb.1837:
	v_cvt_f32_f16_e32 v6, v4
	s_mov_b32 s2, 0x47800000
	v_mov_b32_e32 v9, 0x80
	v_and_b32_e32 v8, 0x7fffffff, v6
	v_cmp_gt_u32_e32 vcc, s2, v8
	s_and_saveexec_b64 s[2:3], vcc
	s_cbranch_execz .LBB14_1843
; %bb.1838:
	s_mov_b32 s10, 0x37ffffff
	v_cmp_lt_u32_e32 vcc, s10, v8
	s_mov_b64 s[10:11], 0
                                        ; implicit-def: $vgpr8
	s_and_saveexec_b64 s[12:13], vcc
	s_xor_b64 s[12:13], exec, s[12:13]
	s_cbranch_execz .LBB14_2042
; %bb.1839:
	v_bfe_u32 v8, v6, 21, 1
	s_mov_b32 s18, 0x88fffff
	v_add3_u32 v8, v6, v8, s18
	s_mov_b64 s[10:11], exec
	v_lshrrev_b32_e32 v8, 21, v8
	s_or_saveexec_b64 s[12:13], s[12:13]
                                        ; implicit-def: $sgpr18
	s_xor_b64 exec, exec, s[12:13]
	s_cbranch_execnz .LBB14_2043
.LBB14_1840:
	s_or_b64 exec, exec, s[12:13]
	v_mov_b32_e32 v9, s18
	s_and_saveexec_b64 s[12:13], s[10:11]
.LBB14_1841:
	v_lshrrev_b32_e32 v6, 24, v6
	s_movk_i32 s10, 0x80
	v_and_or_b32 v9, v6, s10, v8
.LBB14_1842:
	s_or_b64 exec, exec, s[12:13]
.LBB14_1843:
	s_or_b64 exec, exec, s[2:3]
	s_mov_b64 s[2:3], 0
	global_store_byte v[0:1], v9, off
.LBB14_1844:
	s_and_b64 vcc, exec, s[2:3]
	s_cbranch_vccz .LBB14_1854
; %bb.1845:
	v_cvt_f32_f16_e32 v6, v4
	s_mov_b32 s2, 0x43f00000
                                        ; implicit-def: $vgpr8
	v_and_b32_e32 v9, 0x7fffffff, v6
	v_cmp_gt_u32_e32 vcc, s2, v9
	s_and_saveexec_b64 s[2:3], vcc
	s_xor_b64 s[2:3], exec, s[2:3]
	s_cbranch_execz .LBB14_1851
; %bb.1846:
	s_mov_b32 s10, 0x3c7fffff
	v_cmp_lt_u32_e32 vcc, s10, v9
                                        ; implicit-def: $vgpr8
	s_and_saveexec_b64 s[10:11], vcc
	s_xor_b64 s[10:11], exec, s[10:11]
; %bb.1847:
	v_bfe_u32 v8, v6, 20, 1
	s_mov_b32 s12, 0x407ffff
	v_add3_u32 v8, v6, v8, s12
	v_lshrrev_b32_e32 v9, 20, v8
	v_and_b32_e32 v8, 0xff00000, v8
	s_mov_b32 s12, 0x7f00000
	v_mov_b32_e32 v10, 0x7e
	v_cmp_ne_u32_e32 vcc, s12, v8
	v_cndmask_b32_e32 v8, v10, v9, vcc
; %bb.1848:
	s_andn2_saveexec_b64 s[10:11], s[10:11]
; %bb.1849:
	s_mov_b32 s12, 0x46800000
	v_add_f32_e64 v8, |v6|, s12
; %bb.1850:
	s_or_b64 exec, exec, s[10:11]
                                        ; implicit-def: $vgpr9
.LBB14_1851:
	s_andn2_saveexec_b64 s[2:3], s[2:3]
; %bb.1852:
	s_mov_b32 s10, 0x7f800000
	v_mov_b32_e32 v8, 0x7e
	v_mov_b32_e32 v10, 0x7f
	v_cmp_lt_u32_e32 vcc, s10, v9
	v_cndmask_b32_e32 v8, v8, v10, vcc
; %bb.1853:
	s_or_b64 exec, exec, s[2:3]
	v_lshrrev_b32_e32 v6, 24, v6
	s_movk_i32 s2, 0x80
	v_and_or_b32 v6, v6, s2, v8
	global_store_byte v[0:1], v6, off
.LBB14_1854:
	s_mov_b64 s[2:3], 0
.LBB14_1855:
	s_andn2_b64 vcc, exec, s[2:3]
	s_cbranch_vccnz .LBB14_1865
; %bb.1856:
	v_cvt_f32_f16_e32 v6, v4
	s_mov_b32 s2, 0x47800000
                                        ; implicit-def: $vgpr8
	v_and_b32_e32 v9, 0x7fffffff, v6
	v_cmp_gt_u32_e32 vcc, s2, v9
	s_and_saveexec_b64 s[2:3], vcc
	s_xor_b64 s[2:3], exec, s[2:3]
	s_cbranch_execz .LBB14_1862
; %bb.1857:
	s_mov_b32 s10, 0x387fffff
	v_cmp_lt_u32_e32 vcc, s10, v9
                                        ; implicit-def: $vgpr8
	s_and_saveexec_b64 s[10:11], vcc
	s_xor_b64 s[10:11], exec, s[10:11]
; %bb.1858:
	v_bfe_u32 v8, v6, 21, 1
	s_mov_b32 s12, 0x80fffff
	v_add3_u32 v8, v6, v8, s12
	v_lshrrev_b32_e32 v8, 21, v8
; %bb.1859:
	s_andn2_saveexec_b64 s[10:11], s[10:11]
; %bb.1860:
	s_mov_b32 s12, 0x43000000
	v_add_f32_e64 v8, |v6|, s12
; %bb.1861:
	s_or_b64 exec, exec, s[10:11]
                                        ; implicit-def: $vgpr9
.LBB14_1862:
	s_andn2_saveexec_b64 s[2:3], s[2:3]
; %bb.1863:
	s_mov_b32 s10, 0x7f800000
	v_mov_b32_e32 v8, 0x7c
	v_mov_b32_e32 v10, 0x7f
	v_cmp_lt_u32_e32 vcc, s10, v9
	v_cndmask_b32_e32 v8, v8, v10, vcc
; %bb.1864:
	s_or_b64 exec, exec, s[2:3]
	v_lshrrev_b32_e32 v6, 24, v6
	s_movk_i32 s2, 0x80
	v_and_or_b32 v6, v6, s2, v8
	global_store_byte v[0:1], v6, off
.LBB14_1865:
	s_mov_b64 s[2:3], 0
	s_mov_b64 s[10:11], -1
.LBB14_1866:
	s_andn2_b64 vcc, exec, s[2:3]
	s_mov_b64 s[2:3], 0
	s_cbranch_vccnz .LBB14_1873
; %bb.1867:
	v_mov_b32_e32 v6, 14
	v_cmp_gt_i16_sdwa s[2:3], s15, v6 src0_sel:BYTE_0 src1_sel:DWORD
	s_mov_b64 s[12:13], -1
	s_and_b64 vcc, exec, s[2:3]
	s_cbranch_vccz .LBB14_1871
; %bb.1868:
	v_mov_b32_e32 v6, 15
	v_cmp_eq_u16_sdwa s[2:3], s15, v6 src0_sel:BYTE_0 src1_sel:DWORD
	s_mov_b64 s[0:1], -1
	s_and_b64 vcc, exec, s[2:3]
	s_cbranch_vccz .LBB14_1870
; %bb.1869:
	v_cvt_f32_f16_e32 v6, v4
	s_movk_i32 s0, 0x7fff
	v_mov_b32_e32 v8, 0x7fc0
	v_cmp_o_f16_e32 vcc, v4, v4
	v_bfe_u32 v9, v6, 16, 1
	v_add3_u32 v6, v6, v9, s0
	v_lshrrev_b32_e32 v6, 16, v6
	v_cndmask_b32_e32 v6, v8, v6, vcc
	global_store_short v[0:1], v6, off
	s_mov_b64 s[0:1], 0
	s_mov_b64 s[10:11], -1
.LBB14_1870:
	s_mov_b64 s[12:13], 0
.LBB14_1871:
	s_mov_b64 s[2:3], 0
	s_and_b64 vcc, exec, s[12:13]
	s_cbranch_vccz .LBB14_1873
; %bb.1872:
	v_mov_b32_e32 v6, 11
	v_cmp_ne_u16_sdwa s[0:1], s15, v6 src0_sel:BYTE_0 src1_sel:DWORD
	s_mov_b64 s[2:3], -1
.LBB14_1873:
	s_and_b64 vcc, exec, s[0:1]
	s_cbranch_vccnz .LBB14_2041
; %bb.1874:
	s_andn2_b64 vcc, exec, s[2:3]
	s_cbranch_vccnz .LBB14_1876
.LBB14_1875:
	v_cmp_ne_u16_e32 vcc, 0, v5
	v_cndmask_b32_e64 v5, 0, 1, vcc
	s_mov_b64 s[10:11], -1
	global_store_byte v[0:1], v5, off
.LBB14_1876:
	s_mov_b64 s[0:1], 0
.LBB14_1877:
	s_and_b64 vcc, exec, s[0:1]
	s_cbranch_vccz .LBB14_1916
; %bb.1878:
	v_mov_b32_e32 v5, 5
	v_cmp_lt_i16_sdwa s[2:3], s15, v5 src0_sel:BYTE_0 src1_sel:DWORD
	s_mov_b64 s[0:1], -1
	s_and_b64 vcc, exec, s[2:3]
	s_cbranch_vccnz .LBB14_1899
; %bb.1879:
	v_mov_b32_e32 v5, 8
	v_cmp_lt_i16_sdwa s[2:3], s15, v5 src0_sel:BYTE_0 src1_sel:DWORD
	s_and_b64 vcc, exec, s[2:3]
	s_cbranch_vccnz .LBB14_1889
; %bb.1880:
	v_mov_b32_e32 v5, 9
	v_cmp_lt_i16_sdwa s[2:3], s15, v5 src0_sel:BYTE_0 src1_sel:DWORD
	s_and_b64 vcc, exec, s[2:3]
	s_cbranch_vccnz .LBB14_1886
; %bb.1881:
	v_cmp_gt_i16_sdwa s[2:3], s15, v5 src0_sel:BYTE_0 src1_sel:DWORD
	s_and_b64 vcc, exec, s[2:3]
	s_cbranch_vccz .LBB14_1883
; %bb.1882:
	v_cvt_f32_f16_e32 v5, v4
	v_mov_b32_e32 v10, 0
	v_mov_b32_e32 v11, v10
	s_mov_b64 s[0:1], 0
	v_cvt_f64_f32_e32 v[8:9], v5
	global_store_dwordx4 v[0:1], v[8:11], off
.LBB14_1883:
	s_andn2_b64 vcc, exec, s[0:1]
	s_cbranch_vccnz .LBB14_1885
; %bb.1884:
	v_cvt_f32_f16_e32 v8, v4
	v_mov_b32_e32 v9, 0
	global_store_dwordx2 v[0:1], v[8:9], off
.LBB14_1885:
	s_mov_b64 s[0:1], 0
.LBB14_1886:
	s_andn2_b64 vcc, exec, s[0:1]
	s_cbranch_vccnz .LBB14_1888
; %bb.1887:
	v_and_b32_e32 v5, 0xffff, v4
	global_store_dword v[0:1], v5, off
.LBB14_1888:
	s_mov_b64 s[0:1], 0
.LBB14_1889:
	s_andn2_b64 vcc, exec, s[0:1]
	s_cbranch_vccnz .LBB14_1898
; %bb.1890:
	v_mov_b32_e32 v5, 6
	v_cmp_lt_i16_sdwa s[2:3], s15, v5 src0_sel:BYTE_0 src1_sel:DWORD
	s_mov_b64 s[0:1], -1
	s_and_b64 vcc, exec, s[2:3]
	s_cbranch_vccnz .LBB14_1896
; %bb.1891:
	v_cmp_gt_i16_sdwa s[2:3], s15, v5 src0_sel:BYTE_0 src1_sel:DWORD
	s_and_b64 vcc, exec, s[2:3]
	s_cbranch_vccz .LBB14_1893
; %bb.1892:
	v_cvt_f32_f16_e32 v5, v4
	s_mov_b64 s[0:1], 0
	v_cvt_f64_f32_e32 v[8:9], v5
	global_store_dwordx2 v[0:1], v[8:9], off
.LBB14_1893:
	s_andn2_b64 vcc, exec, s[0:1]
	s_cbranch_vccnz .LBB14_1895
; %bb.1894:
	v_cvt_f32_f16_e32 v5, v4
	global_store_dword v[0:1], v5, off
.LBB14_1895:
	s_mov_b64 s[0:1], 0
.LBB14_1896:
	s_andn2_b64 vcc, exec, s[0:1]
	s_cbranch_vccnz .LBB14_1898
; %bb.1897:
	global_store_short v[0:1], v4, off
.LBB14_1898:
	s_mov_b64 s[0:1], 0
.LBB14_1899:
	s_andn2_b64 vcc, exec, s[0:1]
	s_cbranch_vccnz .LBB14_1915
; %bb.1900:
	v_mov_b32_e32 v5, 2
	v_cmp_lt_i16_sdwa s[2:3], s15, v5 src0_sel:BYTE_0 src1_sel:DWORD
	s_mov_b64 s[0:1], -1
	s_and_b64 vcc, exec, s[2:3]
	s_cbranch_vccnz .LBB14_1910
; %bb.1901:
	v_mov_b32_e32 v5, 3
	v_cmp_lt_i16_sdwa s[2:3], s15, v5 src0_sel:BYTE_0 src1_sel:DWORD
	s_and_b64 vcc, exec, s[2:3]
	s_cbranch_vccnz .LBB14_1907
; %bb.1902:
	v_cmp_gt_i16_sdwa s[2:3], s15, v5 src0_sel:BYTE_0 src1_sel:DWORD
	s_and_b64 vcc, exec, s[2:3]
	s_cbranch_vccz .LBB14_1904
; %bb.1903:
	v_cvt_f32_f16_e32 v5, v4
	s_mov_b64 s[0:1], 0
	v_cvt_i32_f32_e32 v8, v5
	v_ashrrev_i32_e32 v9, 31, v8
	global_store_dwordx2 v[0:1], v[8:9], off
.LBB14_1904:
	s_andn2_b64 vcc, exec, s[0:1]
	s_cbranch_vccnz .LBB14_1906
; %bb.1905:
	v_cvt_f32_f16_e32 v5, v4
	v_cvt_i32_f32_e32 v5, v5
	global_store_dword v[0:1], v5, off
.LBB14_1906:
	s_mov_b64 s[0:1], 0
.LBB14_1907:
	s_andn2_b64 vcc, exec, s[0:1]
	s_cbranch_vccnz .LBB14_1909
; %bb.1908:
	v_cvt_i16_f16_e32 v5, v4
	global_store_short v[0:1], v5, off
.LBB14_1909:
	s_mov_b64 s[0:1], 0
.LBB14_1910:
	s_andn2_b64 vcc, exec, s[0:1]
	s_cbranch_vccnz .LBB14_1915
; %bb.1911:
	v_mov_b32_e32 v5, 0
	v_cmp_gt_i16_sdwa s[2:3], s15, v5 src0_sel:BYTE_0 src1_sel:DWORD
	s_mov_b64 s[0:1], -1
	s_and_b64 vcc, exec, s[2:3]
	s_cbranch_vccz .LBB14_1913
; %bb.1912:
	v_cvt_i16_f16_e32 v5, v4
	global_store_byte v[0:1], v5, off
	s_mov_b64 s[0:1], 0
.LBB14_1913:
	s_andn2_b64 vcc, exec, s[0:1]
	s_cbranch_vccnz .LBB14_1915
; %bb.1914:
	v_cvt_f32_f16_e32 v4, v4
	v_cvt_i32_f32_e32 v4, v4
	global_store_byte v[0:1], v4, off
.LBB14_1915:
	s_mov_b64 s[10:11], -1
.LBB14_1916:
	s_andn2_b64 vcc, exec, s[10:11]
	s_cbranch_vccnz .LBB14_1993
; %bb.1917:
	v_add_u32_e32 v0, s14, v2
	v_ashrrev_i32_e32 v1, 31, v0
	v_mov_b32_e32 v2, s9
	v_add_co_u32_e32 v0, vcc, s8, v0
	v_addc_co_u32_e32 v1, vcc, v2, v1, vcc
	v_mov_b32_e32 v2, 0xff
	v_and_b32_e32 v5, s15, v2
	v_and_b32_e32 v6, 0x7fff, v7
	v_cmp_gt_i16_e32 vcc, 11, v5
	v_or_b32_e32 v4, v6, v3
	s_cbranch_vccnz .LBB14_2038
; %bb.1918:
	v_cmp_lt_i16_e32 vcc, 25, v5
	s_mov_b64 s[8:9], -1
	s_mov_b64 s[2:3], 0
	s_mov_b64 s[0:1], 0
	s_cbranch_vccz .LBB14_1951
; %bb.1919:
	v_cmp_lt_i16_e32 vcc, 28, v5
	s_cbranch_vccz .LBB14_1935
; %bb.1920:
	v_cmp_lt_i16_e32 vcc, 43, v5
	;; [unrolled: 3-line block ×3, first 2 shown]
	s_cbranch_vccz .LBB14_1925
; %bb.1922:
	v_cmp_eq_u16_e32 vcc, 46, v5
	s_mov_b64 s[0:1], -1
	s_cbranch_vccz .LBB14_1924
; %bb.1923:
	v_cvt_f32_f16_e32 v2, v4
	s_movk_i32 s0, 0x7fff
	v_mov_b32_e32 v3, 0x7fc0
	v_cmp_o_f16_e32 vcc, v4, v4
	v_bfe_u32 v7, v2, 16, 1
	v_add3_u32 v2, v2, v7, s0
	v_lshrrev_b32_e32 v2, 16, v2
	v_cndmask_b32_e32 v2, v3, v2, vcc
	global_store_dword v[0:1], v2, off
	s_mov_b64 s[0:1], 0
.LBB14_1924:
	s_mov_b64 s[8:9], 0
.LBB14_1925:
	s_and_b64 vcc, exec, s[8:9]
	s_cbranch_vccz .LBB14_1930
; %bb.1926:
	v_cmp_eq_u16_e32 vcc, 44, v5
	s_mov_b64 s[0:1], -1
	s_cbranch_vccz .LBB14_1930
; %bb.1927:
	v_cvt_f32_f16_e32 v2, v4
	s_movk_i32 s0, 0xff
	v_mov_b32_e32 v7, 0xff
	v_bfe_u32 v3, v2, 23, 8
	v_cmp_ne_u32_e32 vcc, s0, v3
	s_and_saveexec_b64 s[8:9], vcc
; %bb.1928:
	s_mov_b32 s0, 0x3fffff
	v_lshrrev_b32_e32 v7, 23, v2
	v_and_b32_e32 v8, 0x400000, v2
	v_and_or_b32 v2, v2, s0, v3
	v_cmp_ne_u32_e32 vcc, 0, v8
	v_cmp_ne_u32_e64 s[0:1], 0, v2
	s_and_b64 s[0:1], vcc, s[0:1]
	v_cndmask_b32_e64 v2, 0, 1, s[0:1]
	v_add_u32_e32 v7, v7, v2
; %bb.1929:
	s_or_b64 exec, exec, s[8:9]
	s_mov_b64 s[0:1], 0
	global_store_byte v[0:1], v7, off
.LBB14_1930:
	s_mov_b64 s[8:9], 0
.LBB14_1931:
	s_and_b64 vcc, exec, s[8:9]
	s_cbranch_vccz .LBB14_1934
; %bb.1932:
	v_cmp_eq_u16_e32 vcc, 29, v5
	s_mov_b64 s[0:1], -1
	s_cbranch_vccz .LBB14_1934
; %bb.1933:
	v_cvt_f32_f16_e32 v2, v4
	v_mov_b32_e32 v3, 0
	s_mov_b64 s[0:1], 0
	v_cvt_u32_f32_e32 v2, v2
	global_store_dwordx2 v[0:1], v[2:3], off
.LBB14_1934:
	s_mov_b64 s[8:9], 0
.LBB14_1935:
	s_and_b64 vcc, exec, s[8:9]
	s_cbranch_vccz .LBB14_1950
; %bb.1936:
	v_cmp_gt_i16_e32 vcc, 27, v5
	s_mov_b64 s[8:9], -1
	s_cbranch_vccnz .LBB14_1942
; %bb.1937:
	v_cmp_lt_i16_e32 vcc, 27, v5
	s_cbranch_vccz .LBB14_1939
; %bb.1938:
	v_cvt_f32_f16_e32 v2, v4
	s_mov_b64 s[8:9], 0
	v_cvt_u32_f32_e32 v2, v2
	global_store_dword v[0:1], v2, off
.LBB14_1939:
	s_andn2_b64 vcc, exec, s[8:9]
	s_cbranch_vccnz .LBB14_1941
; %bb.1940:
	v_cvt_u16_f16_e32 v2, v4
	global_store_short v[0:1], v2, off
.LBB14_1941:
	s_mov_b64 s[8:9], 0
.LBB14_1942:
	s_andn2_b64 vcc, exec, s[8:9]
	s_cbranch_vccnz .LBB14_1950
; %bb.1943:
	v_cvt_f32_f16_e32 v2, v4
	s_mov_b32 s8, 0x43800000
	v_mov_b32_e32 v7, 0x80
	v_and_b32_e32 v3, 0x7fffffff, v2
	v_cmp_gt_u32_e32 vcc, s8, v3
	s_and_saveexec_b64 s[8:9], vcc
	s_cbranch_execz .LBB14_1949
; %bb.1944:
	s_mov_b32 s10, 0x3bffffff
	v_cmp_lt_u32_e32 vcc, s10, v3
	s_mov_b64 s[10:11], 0
                                        ; implicit-def: $vgpr3
	s_and_saveexec_b64 s[12:13], vcc
	s_xor_b64 s[12:13], exec, s[12:13]
	s_cbranch_execz .LBB14_2044
; %bb.1945:
	v_bfe_u32 v3, v2, 20, 1
	s_mov_b32 s14, 0x487ffff
	v_add3_u32 v3, v2, v3, s14
	s_mov_b64 s[10:11], exec
	v_lshrrev_b32_e32 v3, 20, v3
	s_or_saveexec_b64 s[12:13], s[12:13]
                                        ; implicit-def: $sgpr14
	s_xor_b64 exec, exec, s[12:13]
	s_cbranch_execnz .LBB14_2045
.LBB14_1946:
	s_or_b64 exec, exec, s[12:13]
	v_mov_b32_e32 v7, s14
	s_and_saveexec_b64 s[12:13], s[10:11]
.LBB14_1947:
	v_lshrrev_b32_e32 v2, 24, v2
	s_movk_i32 s10, 0x80
	v_and_or_b32 v7, v2, s10, v3
.LBB14_1948:
	s_or_b64 exec, exec, s[12:13]
.LBB14_1949:
	s_or_b64 exec, exec, s[8:9]
	global_store_byte v[0:1], v7, off
.LBB14_1950:
	s_mov_b64 s[8:9], 0
.LBB14_1951:
	s_and_b64 vcc, exec, s[8:9]
	s_cbranch_vccz .LBB14_1991
; %bb.1952:
	v_cmp_lt_i16_e32 vcc, 22, v5
	s_mov_b64 s[2:3], -1
	s_cbranch_vccz .LBB14_1984
; %bb.1953:
	v_cmp_gt_i16_e32 vcc, 24, v5
	s_cbranch_vccnz .LBB14_1973
; %bb.1954:
	v_cmp_lt_i16_e32 vcc, 24, v5
	s_cbranch_vccz .LBB14_1962
; %bb.1955:
	v_cvt_f32_f16_e32 v2, v4
	s_mov_b32 s2, 0x47800000
	v_mov_b32_e32 v7, 0x80
	v_and_b32_e32 v3, 0x7fffffff, v2
	v_cmp_gt_u32_e32 vcc, s2, v3
	s_and_saveexec_b64 s[2:3], vcc
	s_cbranch_execz .LBB14_1961
; %bb.1956:
	s_mov_b32 s8, 0x37ffffff
	v_cmp_lt_u32_e32 vcc, s8, v3
	s_mov_b64 s[8:9], 0
                                        ; implicit-def: $vgpr3
	s_and_saveexec_b64 s[10:11], vcc
	s_xor_b64 s[10:11], exec, s[10:11]
	s_cbranch_execz .LBB14_2047
; %bb.1957:
	v_bfe_u32 v3, v2, 21, 1
	s_mov_b32 s12, 0x88fffff
	v_add3_u32 v3, v2, v3, s12
	s_mov_b64 s[8:9], exec
	v_lshrrev_b32_e32 v3, 21, v3
	s_or_saveexec_b64 s[10:11], s[10:11]
                                        ; implicit-def: $sgpr12
	s_xor_b64 exec, exec, s[10:11]
	s_cbranch_execnz .LBB14_2048
.LBB14_1958:
	s_or_b64 exec, exec, s[10:11]
	v_mov_b32_e32 v7, s12
	s_and_saveexec_b64 s[10:11], s[8:9]
.LBB14_1959:
	v_lshrrev_b32_e32 v2, 24, v2
	s_movk_i32 s8, 0x80
	v_and_or_b32 v7, v2, s8, v3
.LBB14_1960:
	s_or_b64 exec, exec, s[10:11]
.LBB14_1961:
	s_or_b64 exec, exec, s[2:3]
	s_mov_b64 s[2:3], 0
	global_store_byte v[0:1], v7, off
.LBB14_1962:
	s_and_b64 vcc, exec, s[2:3]
	s_cbranch_vccz .LBB14_1972
; %bb.1963:
	v_cvt_f32_f16_e32 v2, v4
	s_mov_b32 s2, 0x43f00000
                                        ; implicit-def: $vgpr3
	v_and_b32_e32 v7, 0x7fffffff, v2
	v_cmp_gt_u32_e32 vcc, s2, v7
	s_and_saveexec_b64 s[2:3], vcc
	s_xor_b64 s[2:3], exec, s[2:3]
	s_cbranch_execz .LBB14_1969
; %bb.1964:
	s_mov_b32 s8, 0x3c7fffff
	v_cmp_lt_u32_e32 vcc, s8, v7
                                        ; implicit-def: $vgpr3
	s_and_saveexec_b64 s[8:9], vcc
	s_xor_b64 s[8:9], exec, s[8:9]
; %bb.1965:
	v_bfe_u32 v3, v2, 20, 1
	s_mov_b32 s10, 0x407ffff
	v_add3_u32 v3, v2, v3, s10
	v_lshrrev_b32_e32 v7, 20, v3
	v_and_b32_e32 v3, 0xff00000, v3
	s_mov_b32 s10, 0x7f00000
	v_mov_b32_e32 v8, 0x7e
	v_cmp_ne_u32_e32 vcc, s10, v3
	v_cndmask_b32_e32 v3, v8, v7, vcc
; %bb.1966:
	s_andn2_saveexec_b64 s[8:9], s[8:9]
; %bb.1967:
	s_mov_b32 s10, 0x46800000
	v_add_f32_e64 v3, |v2|, s10
; %bb.1968:
	s_or_b64 exec, exec, s[8:9]
                                        ; implicit-def: $vgpr7
.LBB14_1969:
	s_andn2_saveexec_b64 s[2:3], s[2:3]
; %bb.1970:
	s_mov_b32 s8, 0x7f800000
	v_mov_b32_e32 v3, 0x7e
	v_mov_b32_e32 v8, 0x7f
	v_cmp_lt_u32_e32 vcc, s8, v7
	v_cndmask_b32_e32 v3, v3, v8, vcc
; %bb.1971:
	s_or_b64 exec, exec, s[2:3]
	v_lshrrev_b32_e32 v2, 24, v2
	s_movk_i32 s2, 0x80
	v_and_or_b32 v2, v2, s2, v3
	global_store_byte v[0:1], v2, off
.LBB14_1972:
	s_mov_b64 s[2:3], 0
.LBB14_1973:
	s_andn2_b64 vcc, exec, s[2:3]
	s_cbranch_vccnz .LBB14_1983
; %bb.1974:
	v_cvt_f32_f16_e32 v2, v4
	s_mov_b32 s2, 0x47800000
                                        ; implicit-def: $vgpr3
	v_and_b32_e32 v7, 0x7fffffff, v2
	v_cmp_gt_u32_e32 vcc, s2, v7
	s_and_saveexec_b64 s[2:3], vcc
	s_xor_b64 s[2:3], exec, s[2:3]
	s_cbranch_execz .LBB14_1980
; %bb.1975:
	s_mov_b32 s8, 0x387fffff
	v_cmp_lt_u32_e32 vcc, s8, v7
                                        ; implicit-def: $vgpr3
	s_and_saveexec_b64 s[8:9], vcc
	s_xor_b64 s[8:9], exec, s[8:9]
; %bb.1976:
	v_bfe_u32 v3, v2, 21, 1
	s_mov_b32 s10, 0x80fffff
	v_add3_u32 v3, v2, v3, s10
	v_lshrrev_b32_e32 v3, 21, v3
; %bb.1977:
	s_andn2_saveexec_b64 s[8:9], s[8:9]
; %bb.1978:
	s_mov_b32 s10, 0x43000000
	v_add_f32_e64 v3, |v2|, s10
; %bb.1979:
	s_or_b64 exec, exec, s[8:9]
                                        ; implicit-def: $vgpr7
.LBB14_1980:
	s_andn2_saveexec_b64 s[2:3], s[2:3]
; %bb.1981:
	s_mov_b32 s8, 0x7f800000
	v_mov_b32_e32 v3, 0x7c
	v_mov_b32_e32 v8, 0x7f
	v_cmp_lt_u32_e32 vcc, s8, v7
	v_cndmask_b32_e32 v3, v3, v8, vcc
; %bb.1982:
	s_or_b64 exec, exec, s[2:3]
	v_lshrrev_b32_e32 v2, 24, v2
	s_movk_i32 s2, 0x80
	v_and_or_b32 v2, v2, s2, v3
	global_store_byte v[0:1], v2, off
.LBB14_1983:
	s_mov_b64 s[2:3], 0
.LBB14_1984:
	s_andn2_b64 vcc, exec, s[2:3]
	s_mov_b64 s[2:3], 0
	s_cbranch_vccnz .LBB14_1991
; %bb.1985:
	v_cmp_lt_i16_e32 vcc, 14, v5
	s_mov_b64 s[8:9], -1
	s_cbranch_vccz .LBB14_1989
; %bb.1986:
	v_cmp_eq_u16_e32 vcc, 15, v5
	s_mov_b64 s[0:1], -1
	s_cbranch_vccz .LBB14_1988
; %bb.1987:
	v_cvt_f32_f16_e32 v2, v4
	s_movk_i32 s0, 0x7fff
	v_mov_b32_e32 v3, 0x7fc0
	v_cmp_o_f16_e32 vcc, v4, v4
	v_bfe_u32 v7, v2, 16, 1
	v_add3_u32 v2, v2, v7, s0
	v_lshrrev_b32_e32 v2, 16, v2
	v_cndmask_b32_e32 v2, v3, v2, vcc
	global_store_short v[0:1], v2, off
	s_mov_b64 s[0:1], 0
.LBB14_1988:
	s_mov_b64 s[8:9], 0
.LBB14_1989:
	s_and_b64 vcc, exec, s[8:9]
	s_cbranch_vccz .LBB14_1991
; %bb.1990:
	v_cmp_ne_u16_e64 s[0:1], 11, v5
	s_mov_b64 s[2:3], -1
.LBB14_1991:
	s_and_b64 vcc, exec, s[0:1]
	s_cbranch_vccnz .LBB14_2046
.LBB14_1992:
	s_mov_b64 s[0:1], 0
	s_branch .LBB14_1994
.LBB14_1993:
	s_mov_b64 s[0:1], 0
	s_mov_b64 s[2:3], 0
                                        ; implicit-def: $vgpr5
                                        ; implicit-def: $vgpr0_vgpr1
                                        ; implicit-def: $vgpr4
                                        ; implicit-def: $vgpr6
.LBB14_1994:
	s_andn2_b64 s[6:7], s[6:7], exec
	s_and_b64 s[8:9], s[16:17], exec
	s_and_b64 s[0:1], s[0:1], exec
	;; [unrolled: 1-line block ×3, first 2 shown]
	s_or_b64 s[6:7], s[6:7], s[8:9]
.LBB14_1995:
	s_or_b64 exec, exec, s[4:5]
	s_and_saveexec_b64 s[4:5], s[6:7]
	s_cbranch_execz .LBB14_1998
; %bb.1996:
	; divergent unreachable
	s_or_b64 exec, exec, s[4:5]
	s_and_saveexec_b64 s[4:5], s[2:3]
	s_xor_b64 s[2:3], exec, s[4:5]
	s_cbranch_execnz .LBB14_1999
.LBB14_1997:
	s_or_b64 exec, exec, s[2:3]
	s_and_saveexec_b64 s[2:3], s[0:1]
	s_cbranch_execnz .LBB14_2000
	s_branch .LBB14_2037
.LBB14_1998:
	s_or_b64 exec, exec, s[4:5]
	s_and_saveexec_b64 s[4:5], s[2:3]
	s_xor_b64 s[2:3], exec, s[4:5]
	s_cbranch_execz .LBB14_1997
.LBB14_1999:
	s_waitcnt vmcnt(0)
	v_cmp_ne_u16_e32 vcc, 0, v6
	v_cndmask_b32_e64 v2, 0, 1, vcc
	global_store_byte v[0:1], v2, off
	s_or_b64 exec, exec, s[2:3]
	s_and_saveexec_b64 s[2:3], s[0:1]
	s_cbranch_execz .LBB14_2037
.LBB14_2000:
	s_waitcnt vmcnt(0)
	v_cmp_gt_i16_e32 vcc, 5, v5
	s_mov_b64 s[0:1], -1
	s_cbranch_vccnz .LBB14_2021
; %bb.2001:
	v_cmp_gt_i16_e32 vcc, 8, v5
	s_cbranch_vccnz .LBB14_2011
; %bb.2002:
	v_cmp_gt_i16_e32 vcc, 9, v5
	s_cbranch_vccnz .LBB14_2008
; %bb.2003:
	v_cmp_lt_i16_e32 vcc, 9, v5
	s_cbranch_vccz .LBB14_2005
; %bb.2004:
	v_cvt_f32_f16_e32 v2, v4
	v_mov_b32_e32 v8, 0
	v_mov_b32_e32 v9, v8
	s_mov_b64 s[0:1], 0
	v_cvt_f64_f32_e32 v[6:7], v2
	global_store_dwordx4 v[0:1], v[6:9], off
.LBB14_2005:
	s_andn2_b64 vcc, exec, s[0:1]
	s_cbranch_vccnz .LBB14_2007
; %bb.2006:
	v_cvt_f32_f16_e32 v2, v4
	v_mov_b32_e32 v3, 0
	global_store_dwordx2 v[0:1], v[2:3], off
.LBB14_2007:
	s_mov_b64 s[0:1], 0
.LBB14_2008:
	s_andn2_b64 vcc, exec, s[0:1]
	s_cbranch_vccnz .LBB14_2010
; %bb.2009:
	v_and_b32_e32 v2, 0xffff, v4
	global_store_dword v[0:1], v2, off
.LBB14_2010:
	s_mov_b64 s[0:1], 0
.LBB14_2011:
	s_andn2_b64 vcc, exec, s[0:1]
	s_cbranch_vccnz .LBB14_2020
; %bb.2012:
	v_cmp_gt_i16_e32 vcc, 6, v5
	s_mov_b64 s[0:1], -1
	s_cbranch_vccnz .LBB14_2018
; %bb.2013:
	v_cmp_lt_i16_e32 vcc, 6, v5
	s_cbranch_vccz .LBB14_2015
; %bb.2014:
	v_cvt_f32_f16_e32 v2, v4
	s_mov_b64 s[0:1], 0
	v_cvt_f64_f32_e32 v[2:3], v2
	global_store_dwordx2 v[0:1], v[2:3], off
.LBB14_2015:
	s_andn2_b64 vcc, exec, s[0:1]
	s_cbranch_vccnz .LBB14_2017
; %bb.2016:
	v_cvt_f32_f16_e32 v2, v4
	global_store_dword v[0:1], v2, off
.LBB14_2017:
	s_mov_b64 s[0:1], 0
.LBB14_2018:
	s_andn2_b64 vcc, exec, s[0:1]
	s_cbranch_vccnz .LBB14_2020
; %bb.2019:
	global_store_short v[0:1], v4, off
.LBB14_2020:
	s_mov_b64 s[0:1], 0
.LBB14_2021:
	s_andn2_b64 vcc, exec, s[0:1]
	s_cbranch_vccnz .LBB14_2037
; %bb.2022:
	v_cmp_gt_i16_e32 vcc, 2, v5
	s_mov_b64 s[0:1], -1
	s_cbranch_vccnz .LBB14_2032
; %bb.2023:
	v_cmp_gt_i16_e32 vcc, 3, v5
	s_cbranch_vccnz .LBB14_2029
; %bb.2024:
	v_cmp_lt_i16_e32 vcc, 3, v5
	s_cbranch_vccz .LBB14_2026
; %bb.2025:
	v_cvt_f32_f16_e32 v2, v4
	s_mov_b64 s[0:1], 0
	v_cvt_i32_f32_e32 v2, v2
	v_ashrrev_i32_e32 v3, 31, v2
	global_store_dwordx2 v[0:1], v[2:3], off
.LBB14_2026:
	s_andn2_b64 vcc, exec, s[0:1]
	s_cbranch_vccnz .LBB14_2028
; %bb.2027:
	v_cvt_f32_f16_e32 v2, v4
	v_cvt_i32_f32_e32 v2, v2
	global_store_dword v[0:1], v2, off
.LBB14_2028:
	s_mov_b64 s[0:1], 0
.LBB14_2029:
	s_andn2_b64 vcc, exec, s[0:1]
	s_cbranch_vccnz .LBB14_2031
; %bb.2030:
	v_cvt_i16_f16_e32 v2, v4
	global_store_short v[0:1], v2, off
.LBB14_2031:
	s_mov_b64 s[0:1], 0
.LBB14_2032:
	s_andn2_b64 vcc, exec, s[0:1]
	s_cbranch_vccnz .LBB14_2037
; %bb.2033:
	v_cmp_lt_i16_e32 vcc, 0, v5
	s_mov_b64 s[0:1], -1
	s_cbranch_vccz .LBB14_2035
; %bb.2034:
	v_cvt_i16_f16_e32 v2, v4
	global_store_byte v[0:1], v2, off
	s_mov_b64 s[0:1], 0
.LBB14_2035:
	s_andn2_b64 vcc, exec, s[0:1]
	s_cbranch_vccnz .LBB14_2037
; %bb.2036:
	v_cvt_f32_f16_e32 v2, v4
	v_cvt_i32_f32_e32 v2, v2
	global_store_byte v[0:1], v2, off
	s_endpgm
.LBB14_2037:
	s_endpgm
.LBB14_2038:
	s_mov_b64 s[2:3], 0
	s_mov_b64 s[0:1], -1
	s_branch .LBB14_1994
.LBB14_2039:
	s_or_saveexec_b64 s[18:19], s[18:19]
                                        ; implicit-def: $sgpr20
	s_xor_b64 exec, exec, s[18:19]
	s_cbranch_execz .LBB14_1827
.LBB14_2040:
	s_mov_b32 s20, 0x46000000
	v_add_f32_e64 v8, |v6|, s20
	v_and_b32_e32 v8, 0xff, v8
	v_cmp_ne_u32_e32 vcc, 0, v8
	s_andn2_b64 s[12:13], s[12:13], exec
	s_and_b64 s[22:23], vcc, exec
	s_mov_b32 s20, 0
	s_or_b64 s[12:13], s[12:13], s[22:23]
	s_or_b64 exec, exec, s[18:19]
	v_mov_b32_e32 v9, s20
	s_and_saveexec_b64 s[18:19], s[12:13]
	s_cbranch_execnz .LBB14_1828
	s_branch .LBB14_1829
.LBB14_2041:
	s_trap 2
	s_or_b64 s[16:17], s[16:17], exec
	s_cbranch_execz .LBB14_1875
	s_branch .LBB14_1876
.LBB14_2042:
	s_or_saveexec_b64 s[12:13], s[12:13]
                                        ; implicit-def: $sgpr18
	s_xor_b64 exec, exec, s[12:13]
	s_cbranch_execz .LBB14_1840
.LBB14_2043:
	s_mov_b32 s18, 0x42800000
	v_add_f32_e64 v8, |v6|, s18
	v_and_b32_e32 v8, 0xff, v8
	v_cmp_ne_u32_e32 vcc, 0, v8
	s_andn2_b64 s[10:11], s[10:11], exec
	s_and_b64 s[20:21], vcc, exec
	s_mov_b32 s18, 0
	s_or_b64 s[10:11], s[10:11], s[20:21]
	s_or_b64 exec, exec, s[12:13]
	v_mov_b32_e32 v9, s18
	s_and_saveexec_b64 s[12:13], s[10:11]
	s_cbranch_execnz .LBB14_1841
	s_branch .LBB14_1842
.LBB14_2044:
	s_or_saveexec_b64 s[12:13], s[12:13]
                                        ; implicit-def: $sgpr14
	s_xor_b64 exec, exec, s[12:13]
	s_cbranch_execz .LBB14_1946
.LBB14_2045:
	s_mov_b32 s14, 0x46000000
	v_add_f32_e64 v3, |v2|, s14
	v_and_b32_e32 v3, 0xff, v3
	v_cmp_ne_u32_e32 vcc, 0, v3
	s_andn2_b64 s[10:11], s[10:11], exec
	s_and_b64 s[18:19], vcc, exec
	s_mov_b32 s14, 0
	s_or_b64 s[10:11], s[10:11], s[18:19]
	s_or_b64 exec, exec, s[12:13]
	v_mov_b32_e32 v7, s14
	s_and_saveexec_b64 s[12:13], s[10:11]
	s_cbranch_execnz .LBB14_1947
	s_branch .LBB14_1948
.LBB14_2046:
	s_mov_b64 s[2:3], 0
	s_or_b64 s[16:17], s[16:17], exec
	s_trap 2
	s_branch .LBB14_1992
.LBB14_2047:
	s_or_saveexec_b64 s[10:11], s[10:11]
                                        ; implicit-def: $sgpr12
	s_xor_b64 exec, exec, s[10:11]
	s_cbranch_execz .LBB14_1958
.LBB14_2048:
	s_mov_b32 s12, 0x42800000
	v_add_f32_e64 v3, |v2|, s12
	v_and_b32_e32 v3, 0xff, v3
	v_cmp_ne_u32_e32 vcc, 0, v3
	s_andn2_b64 s[8:9], s[8:9], exec
	s_and_b64 s[14:15], vcc, exec
	s_mov_b32 s12, 0
	s_or_b64 s[8:9], s[8:9], s[14:15]
	s_or_b64 exec, exec, s[10:11]
	v_mov_b32_e32 v7, s12
	s_and_saveexec_b64 s[10:11], s[8:9]
	s_cbranch_execnz .LBB14_1959
	s_branch .LBB14_1960
	.section	.rodata,"a",@progbits
	.p2align	6, 0x0
	.amdhsa_kernel _ZN2at6native32elementwise_kernel_manual_unrollILi128ELi4EZNS0_15gpu_kernel_implINS0_13BUnaryFunctorIN3c104HalfES5_S5_ZNS0_20copysign_kernel_cudaERNS_18TensorIteratorBaseEEUlS5_S5_E_EEEEvS7_RKT_EUlibE_EEviT1_
		.amdhsa_group_segment_fixed_size 0
		.amdhsa_private_segment_fixed_size 0
		.amdhsa_kernarg_size 40
		.amdhsa_user_sgpr_count 6
		.amdhsa_user_sgpr_private_segment_buffer 1
		.amdhsa_user_sgpr_dispatch_ptr 0
		.amdhsa_user_sgpr_queue_ptr 0
		.amdhsa_user_sgpr_kernarg_segment_ptr 1
		.amdhsa_user_sgpr_dispatch_id 0
		.amdhsa_user_sgpr_flat_scratch_init 0
		.amdhsa_user_sgpr_kernarg_preload_length 0
		.amdhsa_user_sgpr_kernarg_preload_offset 0
		.amdhsa_user_sgpr_private_segment_size 0
		.amdhsa_uses_dynamic_stack 0
		.amdhsa_system_sgpr_private_segment_wavefront_offset 0
		.amdhsa_system_sgpr_workgroup_id_x 1
		.amdhsa_system_sgpr_workgroup_id_y 0
		.amdhsa_system_sgpr_workgroup_id_z 0
		.amdhsa_system_sgpr_workgroup_info 0
		.amdhsa_system_vgpr_workitem_id 0
		.amdhsa_next_free_vgpr 13
		.amdhsa_next_free_sgpr 44
		.amdhsa_accum_offset 16
		.amdhsa_reserve_vcc 1
		.amdhsa_reserve_flat_scratch 0
		.amdhsa_float_round_mode_32 0
		.amdhsa_float_round_mode_16_64 0
		.amdhsa_float_denorm_mode_32 3
		.amdhsa_float_denorm_mode_16_64 3
		.amdhsa_dx10_clamp 1
		.amdhsa_ieee_mode 1
		.amdhsa_fp16_overflow 0
		.amdhsa_tg_split 0
		.amdhsa_exception_fp_ieee_invalid_op 0
		.amdhsa_exception_fp_denorm_src 0
		.amdhsa_exception_fp_ieee_div_zero 0
		.amdhsa_exception_fp_ieee_overflow 0
		.amdhsa_exception_fp_ieee_underflow 0
		.amdhsa_exception_fp_ieee_inexact 0
		.amdhsa_exception_int_div_zero 0
	.end_amdhsa_kernel
	.section	.text._ZN2at6native32elementwise_kernel_manual_unrollILi128ELi4EZNS0_15gpu_kernel_implINS0_13BUnaryFunctorIN3c104HalfES5_S5_ZNS0_20copysign_kernel_cudaERNS_18TensorIteratorBaseEEUlS5_S5_E_EEEEvS7_RKT_EUlibE_EEviT1_,"axG",@progbits,_ZN2at6native32elementwise_kernel_manual_unrollILi128ELi4EZNS0_15gpu_kernel_implINS0_13BUnaryFunctorIN3c104HalfES5_S5_ZNS0_20copysign_kernel_cudaERNS_18TensorIteratorBaseEEUlS5_S5_E_EEEEvS7_RKT_EUlibE_EEviT1_,comdat
.Lfunc_end14:
	.size	_ZN2at6native32elementwise_kernel_manual_unrollILi128ELi4EZNS0_15gpu_kernel_implINS0_13BUnaryFunctorIN3c104HalfES5_S5_ZNS0_20copysign_kernel_cudaERNS_18TensorIteratorBaseEEUlS5_S5_E_EEEEvS7_RKT_EUlibE_EEviT1_, .Lfunc_end14-_ZN2at6native32elementwise_kernel_manual_unrollILi128ELi4EZNS0_15gpu_kernel_implINS0_13BUnaryFunctorIN3c104HalfES5_S5_ZNS0_20copysign_kernel_cudaERNS_18TensorIteratorBaseEEUlS5_S5_E_EEEEvS7_RKT_EUlibE_EEviT1_
                                        ; -- End function
	.section	.AMDGPU.csdata,"",@progbits
; Kernel info:
; codeLenInByte = 33796
; NumSgprs: 48
; NumVgprs: 13
; NumAgprs: 0
; TotalNumVgprs: 13
; ScratchSize: 0
; MemoryBound: 0
; FloatMode: 240
; IeeeMode: 1
; LDSByteSize: 0 bytes/workgroup (compile time only)
; SGPRBlocks: 5
; VGPRBlocks: 1
; NumSGPRsForWavesPerEU: 48
; NumVGPRsForWavesPerEU: 13
; AccumOffset: 16
; Occupancy: 8
; WaveLimiterHint : 0
; COMPUTE_PGM_RSRC2:SCRATCH_EN: 0
; COMPUTE_PGM_RSRC2:USER_SGPR: 6
; COMPUTE_PGM_RSRC2:TRAP_HANDLER: 0
; COMPUTE_PGM_RSRC2:TGID_X_EN: 1
; COMPUTE_PGM_RSRC2:TGID_Y_EN: 0
; COMPUTE_PGM_RSRC2:TGID_Z_EN: 0
; COMPUTE_PGM_RSRC2:TIDIG_COMP_CNT: 0
; COMPUTE_PGM_RSRC3_GFX90A:ACCUM_OFFSET: 3
; COMPUTE_PGM_RSRC3_GFX90A:TG_SPLIT: 0
	.section	.text._ZN2at6native32elementwise_kernel_manual_unrollILi128ELi4EZNS0_15gpu_kernel_implINS0_13BUnaryFunctorIN3c104HalfES5_S5_ZNS0_20copysign_kernel_cudaERNS_18TensorIteratorBaseEEUlS5_S5_E_EEEEvS7_RKT_EUlibE0_EEviT1_,"axG",@progbits,_ZN2at6native32elementwise_kernel_manual_unrollILi128ELi4EZNS0_15gpu_kernel_implINS0_13BUnaryFunctorIN3c104HalfES5_S5_ZNS0_20copysign_kernel_cudaERNS_18TensorIteratorBaseEEUlS5_S5_E_EEEEvS7_RKT_EUlibE0_EEviT1_,comdat
	.globl	_ZN2at6native32elementwise_kernel_manual_unrollILi128ELi4EZNS0_15gpu_kernel_implINS0_13BUnaryFunctorIN3c104HalfES5_S5_ZNS0_20copysign_kernel_cudaERNS_18TensorIteratorBaseEEUlS5_S5_E_EEEEvS7_RKT_EUlibE0_EEviT1_ ; -- Begin function _ZN2at6native32elementwise_kernel_manual_unrollILi128ELi4EZNS0_15gpu_kernel_implINS0_13BUnaryFunctorIN3c104HalfES5_S5_ZNS0_20copysign_kernel_cudaERNS_18TensorIteratorBaseEEUlS5_S5_E_EEEEvS7_RKT_EUlibE0_EEviT1_
	.p2align	8
	.type	_ZN2at6native32elementwise_kernel_manual_unrollILi128ELi4EZNS0_15gpu_kernel_implINS0_13BUnaryFunctorIN3c104HalfES5_S5_ZNS0_20copysign_kernel_cudaERNS_18TensorIteratorBaseEEUlS5_S5_E_EEEEvS7_RKT_EUlibE0_EEviT1_,@function
_ZN2at6native32elementwise_kernel_manual_unrollILi128ELi4EZNS0_15gpu_kernel_implINS0_13BUnaryFunctorIN3c104HalfES5_S5_ZNS0_20copysign_kernel_cudaERNS_18TensorIteratorBaseEEUlS5_S5_E_EEEEvS7_RKT_EUlibE0_EEviT1_: ; @_ZN2at6native32elementwise_kernel_manual_unrollILi128ELi4EZNS0_15gpu_kernel_implINS0_13BUnaryFunctorIN3c104HalfES5_S5_ZNS0_20copysign_kernel_cudaERNS_18TensorIteratorBaseEEUlS5_S5_E_EEEEvS7_RKT_EUlibE0_EEviT1_
; %bb.0:
	s_load_dword s72, s[4:5], 0x0
	s_load_dword s33, s[4:5], 0x8
	s_or_b32 s34, s4, 8
	v_lshl_or_b32 v8, s6, 9, v0
	v_or_b32_e32 v9, 0x180, v8
	s_mov_b32 s35, s5
	s_waitcnt lgkmcnt(0)
	s_add_i32 s74, s33, -1
	s_cmp_gt_u32 s74, 1
	v_cmp_le_i32_e32 vcc, s72, v9
	s_cselect_b64 s[40:41], -1, 0
	s_mov_b64 s[6:7], 0
	s_mov_b64 s[28:29], 0
	s_and_saveexec_b64 s[0:1], vcc
	s_xor_b64 s[42:43], exec, s[0:1]
	s_cbranch_execz .LBB15_1090
; %bb.1:
	s_cmp_lg_u32 s33, 0
	s_load_dwordx4 s[28:31], s[34:35], 0x4
	s_load_dword s0, s[4:5], 0x160
	s_load_dwordx4 s[24:27], s[34:35], 0x148
	s_load_dword s75, s[34:35], 0x15c
	s_cselect_b64 s[50:51], -1, 0
	s_add_u32 s48, s34, 0xc4
	s_load_dwordx2 s[44:45], s[34:35], 0x14
	s_load_dwordx4 s[36:39], s[34:35], 0xc4
	s_addc_u32 s49, s35, 0
	s_min_u32 s73, s74, 15
	s_cmp_gt_u32 s33, 1
	s_cselect_b64 s[46:47], -1, 0
	s_waitcnt lgkmcnt(0)
	s_lshr_b32 s0, s0, 16
	v_mov_b32_e32 v0, 0xffff8000
	v_lshrrev_b16_e64 v5, 8, s75
	v_and_b32_e32 v4, s0, v0
	v_cmp_gt_i32_e32 vcc, s72, v8
	s_mov_b64 s[2:3], -1
	s_mov_b64 s[60:61], 0
	s_mov_b64 s[54:55], 0
	;; [unrolled: 1-line block ×3, first 2 shown]
	s_and_saveexec_b64 s[56:57], vcc
	s_cbranch_execz .LBB15_267
; %bb.2:
	s_andn2_b64 vcc, exec, s[40:41]
	s_cbranch_vccnz .LBB15_8
; %bb.3:
	s_mov_b32 s52, 0
	s_andn2_b64 vcc, exec, s[50:51]
	v_mov_b32_e32 v2, 0
	v_mov_b32_e32 v0, 0
	s_cbranch_vccnz .LBB15_14
; %bb.4:
	s_add_i32 s62, s73, 1
	s_cmp_eq_u32 s74, 2
	s_cbranch_scc1 .LBB15_9
; %bb.5:
	s_and_b32 s52, s62, 28
	s_mov_b32 s53, 0
	v_mov_b32_e32 v0, 0
	s_mov_b64 s[54:55], s[34:35]
	s_mov_b64 s[58:59], s[48:49]
	v_mov_b32_e32 v3, v8
	v_mov_b32_e32 v2, 0
.LBB15_6:                               ; =>This Inner Loop Header: Depth=1
	s_load_dwordx8 s[16:23], s[54:55], 0x4
	s_load_dwordx4 s[0:3], s[54:55], 0x24
	s_load_dwordx8 s[8:15], s[58:59], 0x0
	s_add_u32 s54, s54, 48
	s_addc_u32 s55, s55, 0
	s_waitcnt lgkmcnt(0)
	v_mul_hi_u32 v1, s17, v3
	v_add_u32_e32 v1, v3, v1
	v_lshrrev_b32_e32 v1, s18, v1
	v_mul_lo_u32 v6, v1, s16
	v_mul_hi_u32 v7, s20, v1
	v_sub_u32_e32 v3, v3, v6
	v_add_u32_e32 v6, v1, v7
	v_lshrrev_b32_e32 v6, s21, v6
	v_mul_lo_u32 v9, v6, s19
	v_mul_hi_u32 v10, s23, v6
	v_sub_u32_e32 v1, v1, v9
	v_add_u32_e32 v9, v6, v10
	v_mul_lo_u32 v7, v3, s9
	v_mul_lo_u32 v3, v3, s8
	;; [unrolled: 1-line block ×4, first 2 shown]
	v_lshrrev_b32_e32 v9, s0, v9
	v_add3_u32 v0, v3, v0, v1
	v_mul_hi_u32 v3, s2, v9
	v_add_u32_e32 v3, v9, v3
	v_lshrrev_b32_e32 v3, s3, v3
	s_add_i32 s53, s53, 4
	v_add3_u32 v1, v7, v2, v10
	v_mul_lo_u32 v2, v9, s22
	v_mul_lo_u32 v7, v3, s1
	s_add_u32 s58, s58, 32
	v_sub_u32_e32 v2, v6, v2
	v_sub_u32_e32 v7, v9, v7
	s_addc_u32 s59, s59, 0
	v_mul_lo_u32 v6, v2, s12
	v_mul_lo_u32 v2, v2, s13
	;; [unrolled: 1-line block ×4, first 2 shown]
	s_cmp_lg_u32 s52, s53
	v_add3_u32 v2, v2, v1, v7
	v_add3_u32 v0, v6, v0, v9
	s_cbranch_scc1 .LBB15_6
; %bb.7:
	v_mov_b32_e32 v1, v2
	s_branch .LBB15_10
.LBB15_8:
                                        ; implicit-def: $vgpr2
                                        ; implicit-def: $vgpr0
	s_branch .LBB15_15
.LBB15_9:
	s_mov_b32 s53, s52
	v_pk_mov_b32 v[0:1], s[52:53], s[52:53] op_sel:[0,1]
                                        ; implicit-def: $vgpr2
	v_mov_b32_e32 v3, v8
.LBB15_10:
	s_and_b32 s8, s62, 3
	s_cmp_eq_u32 s8, 0
	s_cbranch_scc1 .LBB15_14
; %bb.11:
	s_lshl_b32 s0, s52, 3
	s_add_u32 s0, s0, s34
	s_addc_u32 s1, s35, 0
	s_add_u32 s0, s0, 0xc4
	s_addc_u32 s1, s1, 0
	s_mul_i32 s2, s52, 12
	s_add_u32 s2, s34, s2
	s_addc_u32 s3, s35, 0
.LBB15_12:                              ; =>This Inner Loop Header: Depth=1
	s_load_dwordx2 s[10:11], s[2:3], 0x4
	s_load_dword s9, s[2:3], 0xc
	s_load_dwordx2 s[12:13], s[0:1], 0x0
	v_mov_b32_e32 v2, v1
	s_add_u32 s2, s2, 12
	s_waitcnt lgkmcnt(0)
	v_mul_hi_u32 v1, s11, v3
	v_add_u32_e32 v1, v3, v1
	v_lshrrev_b32_e32 v1, s9, v1
	s_addc_u32 s3, s3, 0
	v_mul_lo_u32 v6, v1, s10
	s_add_u32 s0, s0, 8
	v_sub_u32_e32 v9, v3, v6
	v_mov_b32_e32 v3, v1
	s_addc_u32 s1, s1, 0
	s_add_i32 s8, s8, -1
	v_mad_u64_u32 v[6:7], s[10:11], v9, s13, v[2:3]
	v_mad_u64_u32 v[0:1], s[10:11], v9, s12, v[0:1]
	s_cmp_lg_u32 s8, 0
	v_mov_b32_e32 v1, v6
	s_cbranch_scc1 .LBB15_12
; %bb.13:
	v_mov_b32_e32 v2, v1
.LBB15_14:
	s_cbranch_execnz .LBB15_17
.LBB15_15:
	v_mul_hi_u32 v0, s29, v8
	v_add_u32_e32 v0, v8, v0
	v_lshrrev_b32_e32 v1, s30, v0
	v_mul_lo_u32 v0, v1, s28
	v_sub_u32_e32 v0, v8, v0
	v_mul_lo_u32 v2, v0, s37
	s_andn2_b64 vcc, exec, s[46:47]
	v_mul_lo_u32 v0, v0, s36
	s_cbranch_vccnz .LBB15_17
; %bb.16:
	v_mul_hi_u32 v3, s44, v1
	v_add_u32_e32 v3, v1, v3
	v_lshrrev_b32_e32 v3, s45, v3
	v_mul_lo_u32 v3, v3, s31
	v_sub_u32_e32 v3, v1, v3
	v_mad_u64_u32 v[0:1], s[0:1], v3, s38, v[0:1]
	v_mad_u64_u32 v[2:3], s[0:1], v3, s39, v[2:3]
.LBB15_17:
	v_mov_b32_e32 v1, s27
	v_add_co_u32_e32 v2, vcc, s26, v2
	v_addc_co_u32_e32 v3, vcc, 0, v1, vcc
	v_cmp_gt_i16_e32 vcc, 11, v5
	s_cbranch_vccnz .LBB15_24
; %bb.18:
	v_cmp_lt_i16_e32 vcc, 25, v5
	s_cbranch_vccz .LBB15_33
; %bb.19:
	v_cmp_lt_i16_e32 vcc, 28, v5
	s_cbranch_vccz .LBB15_36
; %bb.20:
	v_cmp_lt_i16_e32 vcc, 43, v5
	s_cbranch_vccz .LBB15_38
; %bb.21:
	v_cmp_lt_i16_e32 vcc, 45, v5
	s_cbranch_vccz .LBB15_40
; %bb.22:
	v_cmp_eq_u16_e32 vcc, 46, v5
	s_mov_b64 s[8:9], 0
	s_cbranch_vccz .LBB15_42
; %bb.23:
	global_load_dword v1, v[2:3], off
	s_mov_b64 s[0:1], -1
	s_mov_b64 s[2:3], 0
	s_waitcnt vmcnt(0)
	v_lshlrev_b32_e32 v1, 16, v1
	v_cvt_f16_f32_e32 v1, v1
	s_branch .LBB15_44
.LBB15_24:
	s_mov_b64 s[2:3], 0
                                        ; implicit-def: $vgpr1
	s_mov_b64 s[0:1], 0
	s_cbranch_execnz .LBB15_217
.LBB15_25:
	s_andn2_b64 vcc, exec, s[0:1]
	s_cbranch_vccnz .LBB15_264
.LBB15_26:
	s_waitcnt vmcnt(0)
	v_and_b32_e32 v3, 0x7fff, v1
	v_mov_b32_e32 v1, s25
	v_add_co_u32_e32 v0, vcc, s24, v0
	v_mov_b32_e32 v6, 11
	v_addc_co_u32_e32 v1, vcc, 0, v1, vcc
	v_cmp_lt_i16_sdwa s[0:1], s75, v6 src0_sel:BYTE_0 src1_sel:DWORD
	v_or_b32_e32 v2, v3, v4
	s_and_b64 vcc, exec, s[0:1]
	s_cbranch_vccnz .LBB15_34
; %bb.27:
	v_mov_b32_e32 v6, 25
	v_cmp_gt_i16_sdwa s[0:1], s75, v6 src0_sel:BYTE_0 src1_sel:DWORD
	s_and_b64 vcc, exec, s[0:1]
	s_cbranch_vccz .LBB15_37
; %bb.28:
	v_mov_b32_e32 v6, 28
	v_cmp_gt_i16_sdwa s[0:1], s75, v6 src0_sel:BYTE_0 src1_sel:DWORD
	s_and_b64 vcc, exec, s[0:1]
	s_cbranch_vccz .LBB15_39
	;; [unrolled: 5-line block ×4, first 2 shown]
; %bb.31:
	v_mov_b32_e32 v6, 46
	v_cmp_eq_u16_sdwa s[8:9], s75, v6 src0_sel:BYTE_0 src1_sel:DWORD
	s_mov_b64 s[10:11], 0
	s_mov_b64 s[0:1], -1
	s_and_b64 vcc, exec, s[8:9]
	s_mov_b64 s[8:9], 0
	s_cbranch_vccz .LBB15_48
; %bb.32:
	v_cvt_f32_f16_e32 v6, v2
	s_movk_i32 s0, 0x7fff
	v_mov_b32_e32 v7, 0x7fc0
	v_cmp_o_f16_e32 vcc, v2, v2
	v_bfe_u32 v9, v6, 16, 1
	v_add3_u32 v6, v6, v9, s0
	v_lshrrev_b32_e32 v6, 16, v6
	v_cndmask_b32_e32 v6, v7, v6, vcc
	global_store_dword v[0:1], v6, off
	s_mov_b64 s[8:9], -1
	s_mov_b64 s[0:1], 0
	s_branch .LBB15_48
.LBB15_33:
	s_mov_b64 s[2:3], 0
	s_mov_b64 s[0:1], 0
                                        ; implicit-def: $vgpr1
	s_cbranch_execnz .LBB15_182
	s_branch .LBB15_216
.LBB15_34:
	s_mov_b64 s[0:1], 0
	s_mov_b64 s[8:9], 0
	s_cbranch_execnz .LBB15_117
.LBB15_35:
	s_andn2_b64 vcc, exec, s[8:9]
	s_cbranch_vccnz .LBB15_265
	s_branch .LBB15_155
.LBB15_36:
	s_mov_b64 s[8:9], -1
	s_mov_b64 s[2:3], 0
	s_mov_b64 s[0:1], 0
                                        ; implicit-def: $vgpr1
	s_branch .LBB15_163
.LBB15_37:
	s_mov_b64 s[10:11], -1
	s_mov_b64 s[0:1], 0
	s_mov_b64 s[8:9], 0
	s_branch .LBB15_75
.LBB15_38:
	s_mov_b64 s[8:9], -1
	s_mov_b64 s[2:3], 0
	s_mov_b64 s[0:1], 0
                                        ; implicit-def: $vgpr1
	s_branch .LBB15_158
.LBB15_39:
	s_mov_b64 s[10:11], -1
	s_mov_b64 s[0:1], 0
	s_mov_b64 s[8:9], 0
	s_branch .LBB15_58
.LBB15_40:
	s_mov_b64 s[8:9], -1
	s_mov_b64 s[2:3], 0
	s_branch .LBB15_43
.LBB15_41:
	s_mov_b64 s[10:11], -1
	s_mov_b64 s[0:1], 0
	s_mov_b64 s[8:9], 0
	s_branch .LBB15_54
.LBB15_42:
	s_mov_b64 s[2:3], -1
.LBB15_43:
	s_mov_b64 s[0:1], 0
                                        ; implicit-def: $vgpr1
.LBB15_44:
	s_and_b64 vcc, exec, s[8:9]
	s_cbranch_vccz .LBB15_157
; %bb.45:
	v_cmp_eq_u16_e32 vcc, 44, v5
	s_cbranch_vccz .LBB15_156
; %bb.46:
	global_load_ubyte v1, v[2:3], off
	s_movk_i32 s2, 0xff
	v_mov_b32_e32 v7, 0x7e00
	s_mov_b64 s[0:1], -1
	s_waitcnt vmcnt(0)
	v_lshlrev_b32_e32 v6, 23, v1
	v_cvt_f16_f32_e32 v6, v6
	v_cmp_ne_u32_e32 vcc, s2, v1
	s_mov_b64 s[2:3], 0
	v_cndmask_b32_e32 v6, v7, v6, vcc
	v_cmp_ne_u32_e32 vcc, 0, v1
	v_cndmask_b32_e32 v1, 0, v6, vcc
	s_branch .LBB15_157
.LBB15_47:
	s_mov_b64 s[10:11], -1
	s_mov_b64 s[0:1], 0
	s_mov_b64 s[8:9], 0
.LBB15_48:
	s_and_b64 vcc, exec, s[10:11]
	s_cbranch_vccz .LBB15_53
; %bb.49:
	v_mov_b32_e32 v6, 44
	v_cmp_eq_u16_sdwa s[10:11], s75, v6 src0_sel:BYTE_0 src1_sel:DWORD
	s_mov_b64 s[0:1], -1
	s_and_b64 vcc, exec, s[10:11]
	s_cbranch_vccz .LBB15_53
; %bb.50:
	v_cvt_f32_f16_e32 v6, v2
	s_movk_i32 s0, 0xff
	v_mov_b32_e32 v9, 0xff
	v_bfe_u32 v7, v6, 23, 8
	v_cmp_ne_u32_e32 vcc, s0, v7
	s_and_saveexec_b64 s[8:9], vcc
; %bb.51:
	s_mov_b32 s0, 0x3fffff
	v_lshrrev_b32_e32 v9, 23, v6
	v_and_b32_e32 v10, 0x400000, v6
	v_and_or_b32 v6, v6, s0, v7
	v_cmp_ne_u32_e32 vcc, 0, v10
	v_cmp_ne_u32_e64 s[0:1], 0, v6
	s_and_b64 s[0:1], vcc, s[0:1]
	v_cndmask_b32_e64 v6, 0, 1, s[0:1]
	v_add_u32_e32 v9, v9, v6
; %bb.52:
	s_or_b64 exec, exec, s[8:9]
	s_mov_b64 s[8:9], -1
	s_mov_b64 s[0:1], 0
	global_store_byte v[0:1], v9, off
.LBB15_53:
	s_mov_b64 s[10:11], 0
.LBB15_54:
	s_and_b64 vcc, exec, s[10:11]
	s_cbranch_vccz .LBB15_57
; %bb.55:
	v_mov_b32_e32 v6, 29
	v_cmp_eq_u16_sdwa s[10:11], s75, v6 src0_sel:BYTE_0 src1_sel:DWORD
	s_mov_b64 s[0:1], -1
	s_and_b64 vcc, exec, s[10:11]
	s_cbranch_vccz .LBB15_57
; %bb.56:
	v_cvt_f32_f16_e32 v6, v2
	v_mov_b32_e32 v7, 0
	s_mov_b64 s[8:9], -1
	s_mov_b64 s[0:1], 0
	v_cvt_u32_f32_e32 v6, v6
	s_mov_b64 s[10:11], 0
	global_store_dwordx2 v[0:1], v[6:7], off
	s_branch .LBB15_58
.LBB15_57:
	s_mov_b64 s[10:11], 0
.LBB15_58:
	s_and_b64 vcc, exec, s[10:11]
	s_cbranch_vccz .LBB15_74
; %bb.59:
	v_mov_b32_e32 v6, 27
	v_cmp_lt_i16_sdwa s[10:11], s75, v6 src0_sel:BYTE_0 src1_sel:DWORD
	s_mov_b64 s[8:9], -1
	s_and_b64 vcc, exec, s[10:11]
	s_cbranch_vccnz .LBB15_65
; %bb.60:
	v_cmp_gt_i16_sdwa s[10:11], s75, v6 src0_sel:BYTE_0 src1_sel:DWORD
	s_and_b64 vcc, exec, s[10:11]
	s_cbranch_vccz .LBB15_62
; %bb.61:
	v_cvt_f32_f16_e32 v6, v2
	s_mov_b64 s[8:9], 0
	v_cvt_u32_f32_e32 v6, v6
	global_store_dword v[0:1], v6, off
.LBB15_62:
	s_andn2_b64 vcc, exec, s[8:9]
	s_cbranch_vccnz .LBB15_64
; %bb.63:
	v_cvt_u16_f16_e32 v6, v2
	global_store_short v[0:1], v6, off
.LBB15_64:
	s_mov_b64 s[8:9], 0
.LBB15_65:
	s_andn2_b64 vcc, exec, s[8:9]
	s_cbranch_vccnz .LBB15_73
; %bb.66:
	v_cvt_f32_f16_e32 v6, v2
	s_mov_b32 s8, 0x43800000
	v_mov_b32_e32 v9, 0x80
	v_and_b32_e32 v7, 0x7fffffff, v6
	v_cmp_gt_u32_e32 vcc, s8, v7
	s_and_saveexec_b64 s[8:9], vcc
	s_cbranch_execz .LBB15_72
; %bb.67:
	s_mov_b32 s10, 0x3bffffff
	v_cmp_lt_u32_e32 vcc, s10, v7
	s_mov_b64 s[10:11], 0
                                        ; implicit-def: $vgpr7
	s_and_saveexec_b64 s[12:13], vcc
	s_xor_b64 s[12:13], exec, s[12:13]
	s_cbranch_execz .LBB15_309
; %bb.68:
	v_bfe_u32 v7, v6, 20, 1
	s_mov_b32 s14, 0x487ffff
	v_add3_u32 v7, v6, v7, s14
	s_mov_b64 s[10:11], exec
	v_lshrrev_b32_e32 v7, 20, v7
	s_or_saveexec_b64 s[12:13], s[12:13]
                                        ; implicit-def: $sgpr14
	s_xor_b64 exec, exec, s[12:13]
	s_cbranch_execnz .LBB15_310
.LBB15_69:
	s_or_b64 exec, exec, s[12:13]
	v_mov_b32_e32 v9, s14
	s_and_saveexec_b64 s[12:13], s[10:11]
.LBB15_70:
	v_lshrrev_b32_e32 v6, 24, v6
	s_movk_i32 s10, 0x80
	v_and_or_b32 v9, v6, s10, v7
.LBB15_71:
	s_or_b64 exec, exec, s[12:13]
.LBB15_72:
	s_or_b64 exec, exec, s[8:9]
	global_store_byte v[0:1], v9, off
.LBB15_73:
	s_mov_b64 s[8:9], -1
.LBB15_74:
	s_mov_b64 s[10:11], 0
.LBB15_75:
	s_and_b64 vcc, exec, s[10:11]
	s_cbranch_vccz .LBB15_116
; %bb.76:
	v_mov_b32_e32 v6, 22
	v_cmp_gt_i16_sdwa s[12:13], s75, v6 src0_sel:BYTE_0 src1_sel:DWORD
	s_mov_b64 s[10:11], -1
	s_and_b64 vcc, exec, s[12:13]
	s_cbranch_vccz .LBB15_108
; %bb.77:
	v_mov_b32_e32 v6, 24
	v_cmp_lt_i16_sdwa s[10:11], s75, v6 src0_sel:BYTE_0 src1_sel:DWORD
	s_mov_b64 s[8:9], -1
	s_and_b64 vcc, exec, s[10:11]
	s_cbranch_vccnz .LBB15_97
; %bb.78:
	v_cmp_gt_i16_sdwa s[10:11], s75, v6 src0_sel:BYTE_0 src1_sel:DWORD
	s_and_b64 vcc, exec, s[10:11]
	s_cbranch_vccz .LBB15_86
; %bb.79:
	v_cvt_f32_f16_e32 v6, v2
	s_mov_b32 s8, 0x47800000
	v_mov_b32_e32 v9, 0x80
	v_and_b32_e32 v7, 0x7fffffff, v6
	v_cmp_gt_u32_e32 vcc, s8, v7
	s_and_saveexec_b64 s[8:9], vcc
	s_cbranch_execz .LBB15_85
; %bb.80:
	s_mov_b32 s10, 0x37ffffff
	v_cmp_lt_u32_e32 vcc, s10, v7
	s_mov_b64 s[10:11], 0
                                        ; implicit-def: $vgpr7
	s_and_saveexec_b64 s[12:13], vcc
	s_xor_b64 s[12:13], exec, s[12:13]
	s_cbranch_execz .LBB15_313
; %bb.81:
	v_bfe_u32 v7, v6, 21, 1
	s_mov_b32 s14, 0x88fffff
	v_add3_u32 v7, v6, v7, s14
	s_mov_b64 s[10:11], exec
	v_lshrrev_b32_e32 v7, 21, v7
	s_or_saveexec_b64 s[12:13], s[12:13]
                                        ; implicit-def: $sgpr14
	s_xor_b64 exec, exec, s[12:13]
	s_cbranch_execnz .LBB15_314
.LBB15_82:
	s_or_b64 exec, exec, s[12:13]
	v_mov_b32_e32 v9, s14
	s_and_saveexec_b64 s[12:13], s[10:11]
.LBB15_83:
	v_lshrrev_b32_e32 v6, 24, v6
	s_movk_i32 s10, 0x80
	v_and_or_b32 v9, v6, s10, v7
.LBB15_84:
	s_or_b64 exec, exec, s[12:13]
.LBB15_85:
	s_or_b64 exec, exec, s[8:9]
	s_mov_b64 s[8:9], 0
	global_store_byte v[0:1], v9, off
.LBB15_86:
	s_and_b64 vcc, exec, s[8:9]
	s_cbranch_vccz .LBB15_96
; %bb.87:
	v_cvt_f32_f16_e32 v6, v2
	s_mov_b32 s8, 0x43f00000
                                        ; implicit-def: $vgpr7
	v_and_b32_e32 v9, 0x7fffffff, v6
	v_cmp_gt_u32_e32 vcc, s8, v9
	s_and_saveexec_b64 s[8:9], vcc
	s_xor_b64 s[8:9], exec, s[8:9]
	s_cbranch_execz .LBB15_93
; %bb.88:
	s_mov_b32 s10, 0x3c7fffff
	v_cmp_lt_u32_e32 vcc, s10, v9
                                        ; implicit-def: $vgpr7
	s_and_saveexec_b64 s[10:11], vcc
	s_xor_b64 s[10:11], exec, s[10:11]
; %bb.89:
	v_bfe_u32 v7, v6, 20, 1
	s_mov_b32 s12, 0x407ffff
	v_add3_u32 v7, v6, v7, s12
	v_lshrrev_b32_e32 v9, 20, v7
	v_and_b32_e32 v7, 0xff00000, v7
	s_mov_b32 s12, 0x7f00000
	v_mov_b32_e32 v10, 0x7e
	v_cmp_ne_u32_e32 vcc, s12, v7
	v_cndmask_b32_e32 v7, v10, v9, vcc
; %bb.90:
	s_andn2_saveexec_b64 s[10:11], s[10:11]
; %bb.91:
	s_mov_b32 s12, 0x46800000
	v_add_f32_e64 v7, |v6|, s12
; %bb.92:
	s_or_b64 exec, exec, s[10:11]
                                        ; implicit-def: $vgpr9
.LBB15_93:
	s_andn2_saveexec_b64 s[8:9], s[8:9]
; %bb.94:
	s_mov_b32 s10, 0x7f800000
	v_mov_b32_e32 v7, 0x7e
	v_mov_b32_e32 v10, 0x7f
	v_cmp_lt_u32_e32 vcc, s10, v9
	v_cndmask_b32_e32 v7, v7, v10, vcc
; %bb.95:
	s_or_b64 exec, exec, s[8:9]
	v_lshrrev_b32_e32 v6, 24, v6
	s_movk_i32 s8, 0x80
	v_and_or_b32 v6, v6, s8, v7
	global_store_byte v[0:1], v6, off
.LBB15_96:
	s_mov_b64 s[8:9], 0
.LBB15_97:
	s_andn2_b64 vcc, exec, s[8:9]
	s_cbranch_vccnz .LBB15_107
; %bb.98:
	v_cvt_f32_f16_e32 v6, v2
	s_mov_b32 s8, 0x47800000
                                        ; implicit-def: $vgpr7
	v_and_b32_e32 v9, 0x7fffffff, v6
	v_cmp_gt_u32_e32 vcc, s8, v9
	s_and_saveexec_b64 s[8:9], vcc
	s_xor_b64 s[8:9], exec, s[8:9]
	s_cbranch_execz .LBB15_104
; %bb.99:
	s_mov_b32 s10, 0x387fffff
	v_cmp_lt_u32_e32 vcc, s10, v9
                                        ; implicit-def: $vgpr7
	s_and_saveexec_b64 s[10:11], vcc
	s_xor_b64 s[10:11], exec, s[10:11]
; %bb.100:
	v_bfe_u32 v7, v6, 21, 1
	s_mov_b32 s12, 0x80fffff
	v_add3_u32 v7, v6, v7, s12
	v_lshrrev_b32_e32 v7, 21, v7
; %bb.101:
	s_andn2_saveexec_b64 s[10:11], s[10:11]
; %bb.102:
	s_mov_b32 s12, 0x43000000
	v_add_f32_e64 v7, |v6|, s12
; %bb.103:
	s_or_b64 exec, exec, s[10:11]
                                        ; implicit-def: $vgpr9
.LBB15_104:
	s_andn2_saveexec_b64 s[8:9], s[8:9]
; %bb.105:
	s_mov_b32 s10, 0x7f800000
	v_mov_b32_e32 v7, 0x7c
	v_mov_b32_e32 v10, 0x7f
	v_cmp_lt_u32_e32 vcc, s10, v9
	v_cndmask_b32_e32 v7, v7, v10, vcc
; %bb.106:
	s_or_b64 exec, exec, s[8:9]
	v_lshrrev_b32_e32 v6, 24, v6
	s_movk_i32 s8, 0x80
	v_and_or_b32 v6, v6, s8, v7
	global_store_byte v[0:1], v6, off
.LBB15_107:
	s_mov_b64 s[10:11], 0
	s_mov_b64 s[8:9], -1
.LBB15_108:
	s_andn2_b64 vcc, exec, s[10:11]
	s_cbranch_vccnz .LBB15_116
; %bb.109:
	v_mov_b32_e32 v6, 14
	v_cmp_gt_i16_sdwa s[12:13], s75, v6 src0_sel:BYTE_0 src1_sel:DWORD
	s_mov_b64 s[10:11], -1
	s_and_b64 vcc, exec, s[12:13]
	s_cbranch_vccz .LBB15_113
; %bb.110:
	v_mov_b32_e32 v6, 15
	v_cmp_eq_u16_sdwa s[10:11], s75, v6 src0_sel:BYTE_0 src1_sel:DWORD
	s_mov_b64 s[0:1], -1
	s_and_b64 vcc, exec, s[10:11]
	s_cbranch_vccz .LBB15_112
; %bb.111:
	v_cvt_f32_f16_e32 v6, v2
	s_movk_i32 s0, 0x7fff
	v_mov_b32_e32 v7, 0x7fc0
	v_cmp_o_f16_e32 vcc, v2, v2
	v_bfe_u32 v9, v6, 16, 1
	v_add3_u32 v6, v6, v9, s0
	v_lshrrev_b32_e32 v6, 16, v6
	v_cndmask_b32_e32 v6, v7, v6, vcc
	global_store_short v[0:1], v6, off
	s_mov_b64 s[8:9], -1
	s_mov_b64 s[0:1], 0
.LBB15_112:
	s_mov_b64 s[10:11], 0
.LBB15_113:
	s_and_b64 vcc, exec, s[10:11]
	s_cbranch_vccz .LBB15_116
; %bb.114:
	v_mov_b32_e32 v6, 11
	v_cmp_eq_u16_sdwa s[10:11], s75, v6 src0_sel:BYTE_0 src1_sel:DWORD
	s_mov_b64 s[0:1], -1
	s_and_b64 vcc, exec, s[10:11]
	s_cbranch_vccz .LBB15_116
; %bb.115:
	v_cmp_ne_u16_e32 vcc, 0, v3
	v_cndmask_b32_e64 v3, 0, 1, vcc
	s_mov_b64 s[8:9], -1
	s_mov_b64 s[0:1], 0
	global_store_byte v[0:1], v3, off
.LBB15_116:
	s_branch .LBB15_35
.LBB15_117:
	v_mov_b32_e32 v3, 5
	v_cmp_lt_i16_sdwa s[10:11], s75, v3 src0_sel:BYTE_0 src1_sel:DWORD
	s_mov_b64 s[8:9], -1
	s_and_b64 vcc, exec, s[10:11]
	s_cbranch_vccnz .LBB15_138
; %bb.118:
	v_mov_b32_e32 v3, 8
	v_cmp_lt_i16_sdwa s[10:11], s75, v3 src0_sel:BYTE_0 src1_sel:DWORD
	s_and_b64 vcc, exec, s[10:11]
	s_cbranch_vccnz .LBB15_128
; %bb.119:
	v_mov_b32_e32 v3, 9
	v_cmp_lt_i16_sdwa s[10:11], s75, v3 src0_sel:BYTE_0 src1_sel:DWORD
	s_and_b64 vcc, exec, s[10:11]
	s_cbranch_vccnz .LBB15_125
; %bb.120:
	v_cmp_gt_i16_sdwa s[10:11], s75, v3 src0_sel:BYTE_0 src1_sel:DWORD
	s_and_b64 vcc, exec, s[10:11]
	s_cbranch_vccz .LBB15_122
; %bb.121:
	v_cvt_f32_f16_e32 v3, v2
	v_mov_b32_e32 v12, 0
	v_mov_b32_e32 v13, v12
	s_mov_b64 s[8:9], 0
	v_cvt_f64_f32_e32 v[10:11], v3
	global_store_dwordx4 v[0:1], v[10:13], off
.LBB15_122:
	s_andn2_b64 vcc, exec, s[8:9]
	s_cbranch_vccnz .LBB15_124
; %bb.123:
	v_cvt_f32_f16_e32 v6, v2
	v_mov_b32_e32 v7, 0
	global_store_dwordx2 v[0:1], v[6:7], off
.LBB15_124:
	s_mov_b64 s[8:9], 0
.LBB15_125:
	s_andn2_b64 vcc, exec, s[8:9]
	s_cbranch_vccnz .LBB15_127
; %bb.126:
	v_and_b32_e32 v3, 0xffff, v2
	global_store_dword v[0:1], v3, off
.LBB15_127:
	s_mov_b64 s[8:9], 0
.LBB15_128:
	s_andn2_b64 vcc, exec, s[8:9]
	s_cbranch_vccnz .LBB15_137
; %bb.129:
	v_mov_b32_e32 v3, 6
	v_cmp_lt_i16_sdwa s[10:11], s75, v3 src0_sel:BYTE_0 src1_sel:DWORD
	s_mov_b64 s[8:9], -1
	s_and_b64 vcc, exec, s[10:11]
	s_cbranch_vccnz .LBB15_135
; %bb.130:
	v_cmp_gt_i16_sdwa s[10:11], s75, v3 src0_sel:BYTE_0 src1_sel:DWORD
	s_and_b64 vcc, exec, s[10:11]
	s_cbranch_vccz .LBB15_132
; %bb.131:
	v_cvt_f32_f16_e32 v3, v2
	s_mov_b64 s[8:9], 0
	v_cvt_f64_f32_e32 v[6:7], v3
	global_store_dwordx2 v[0:1], v[6:7], off
.LBB15_132:
	s_andn2_b64 vcc, exec, s[8:9]
	s_cbranch_vccnz .LBB15_134
; %bb.133:
	v_cvt_f32_f16_e32 v3, v2
	global_store_dword v[0:1], v3, off
.LBB15_134:
	s_mov_b64 s[8:9], 0
.LBB15_135:
	s_andn2_b64 vcc, exec, s[8:9]
	s_cbranch_vccnz .LBB15_137
; %bb.136:
	global_store_short v[0:1], v2, off
.LBB15_137:
	s_mov_b64 s[8:9], 0
.LBB15_138:
	s_andn2_b64 vcc, exec, s[8:9]
	s_cbranch_vccnz .LBB15_154
; %bb.139:
	v_mov_b32_e32 v3, 2
	v_cmp_lt_i16_sdwa s[10:11], s75, v3 src0_sel:BYTE_0 src1_sel:DWORD
	s_mov_b64 s[8:9], -1
	s_and_b64 vcc, exec, s[10:11]
	s_cbranch_vccnz .LBB15_149
; %bb.140:
	v_mov_b32_e32 v3, 3
	v_cmp_lt_i16_sdwa s[10:11], s75, v3 src0_sel:BYTE_0 src1_sel:DWORD
	s_and_b64 vcc, exec, s[10:11]
	s_cbranch_vccnz .LBB15_146
; %bb.141:
	v_cmp_gt_i16_sdwa s[10:11], s75, v3 src0_sel:BYTE_0 src1_sel:DWORD
	s_and_b64 vcc, exec, s[10:11]
	s_cbranch_vccz .LBB15_143
; %bb.142:
	v_cvt_f32_f16_e32 v3, v2
	s_mov_b64 s[8:9], 0
	v_cvt_i32_f32_e32 v6, v3
	v_ashrrev_i32_e32 v7, 31, v6
	global_store_dwordx2 v[0:1], v[6:7], off
.LBB15_143:
	s_andn2_b64 vcc, exec, s[8:9]
	s_cbranch_vccnz .LBB15_145
; %bb.144:
	v_cvt_f32_f16_e32 v3, v2
	v_cvt_i32_f32_e32 v3, v3
	global_store_dword v[0:1], v3, off
.LBB15_145:
	s_mov_b64 s[8:9], 0
.LBB15_146:
	s_andn2_b64 vcc, exec, s[8:9]
	s_cbranch_vccnz .LBB15_148
; %bb.147:
	v_cvt_i16_f16_e32 v3, v2
	global_store_short v[0:1], v3, off
.LBB15_148:
	s_mov_b64 s[8:9], 0
.LBB15_149:
	s_andn2_b64 vcc, exec, s[8:9]
	s_cbranch_vccnz .LBB15_154
; %bb.150:
	v_mov_b32_e32 v3, 0
	v_cmp_gt_i16_sdwa s[10:11], s75, v3 src0_sel:BYTE_0 src1_sel:DWORD
	s_mov_b64 s[8:9], -1
	s_and_b64 vcc, exec, s[10:11]
	s_cbranch_vccz .LBB15_152
; %bb.151:
	v_cvt_i16_f16_e32 v3, v2
	global_store_byte v[0:1], v3, off
	s_mov_b64 s[8:9], 0
.LBB15_152:
	s_andn2_b64 vcc, exec, s[8:9]
	s_cbranch_vccnz .LBB15_154
; %bb.153:
	v_cvt_f32_f16_e32 v2, v2
	v_cvt_i32_f32_e32 v2, v2
	global_store_byte v[0:1], v2, off
.LBB15_154:
.LBB15_155:
	v_add_u32_e32 v8, 0x80, v8
	s_mov_b64 s[8:9], -1
	s_branch .LBB15_266
.LBB15_156:
	s_mov_b64 s[2:3], -1
                                        ; implicit-def: $vgpr1
.LBB15_157:
	s_mov_b64 s[8:9], 0
.LBB15_158:
	s_and_b64 vcc, exec, s[8:9]
	s_cbranch_vccz .LBB15_162
; %bb.159:
	v_cmp_eq_u16_e32 vcc, 29, v5
	s_cbranch_vccz .LBB15_161
; %bb.160:
	global_load_dwordx2 v[6:7], v[2:3], off
	s_mov_b64 s[0:1], -1
	s_mov_b64 s[2:3], 0
	s_mov_b64 s[8:9], 0
	s_waitcnt vmcnt(0)
	v_ffbh_u32_e32 v1, v7
	v_min_u32_e32 v1, 32, v1
	v_lshlrev_b64 v[6:7], v1, v[6:7]
	v_min_u32_e32 v6, 1, v6
	v_or_b32_e32 v6, v7, v6
	v_cvt_f32_u32_e32 v6, v6
	v_sub_u32_e32 v1, 32, v1
	v_ldexp_f32 v1, v6, v1
	v_cvt_f16_f32_e32 v1, v1
	s_branch .LBB15_163
.LBB15_161:
	s_mov_b64 s[2:3], -1
                                        ; implicit-def: $vgpr1
.LBB15_162:
	s_mov_b64 s[8:9], 0
.LBB15_163:
	s_and_b64 vcc, exec, s[8:9]
	s_cbranch_vccz .LBB15_181
; %bb.164:
	v_cmp_gt_i16_e32 vcc, 27, v5
	s_cbranch_vccnz .LBB15_167
; %bb.165:
	v_cmp_lt_i16_e32 vcc, 27, v5
	s_cbranch_vccz .LBB15_168
; %bb.166:
	global_load_dword v1, v[2:3], off
	s_mov_b64 s[0:1], 0
	s_waitcnt vmcnt(0)
	v_cvt_f32_u32_e32 v1, v1
	v_cvt_f16_f32_e32 v1, v1
	s_branch .LBB15_169
.LBB15_167:
	s_mov_b64 s[0:1], -1
                                        ; implicit-def: $vgpr1
	s_branch .LBB15_172
.LBB15_168:
	s_mov_b64 s[0:1], -1
                                        ; implicit-def: $vgpr1
.LBB15_169:
	s_andn2_b64 vcc, exec, s[0:1]
	s_cbranch_vccnz .LBB15_171
; %bb.170:
	global_load_ushort v1, v[2:3], off
	s_waitcnt vmcnt(0)
	v_cvt_f16_u16_e32 v1, v1
.LBB15_171:
	s_mov_b64 s[0:1], 0
.LBB15_172:
	s_andn2_b64 vcc, exec, s[0:1]
	s_cbranch_vccnz .LBB15_180
; %bb.173:
	global_load_ubyte v6, v[2:3], off
	s_movk_i32 s0, 0x7f
                                        ; implicit-def: $sgpr12
	s_waitcnt vmcnt(0)
	v_cmp_lt_i16_e32 vcc, s0, v6
	s_mov_b64 s[0:1], 0
	s_and_saveexec_b64 s[8:9], vcc
	s_xor_b64 s[8:9], exec, s[8:9]
	s_cbranch_execz .LBB15_193
; %bb.174:
	s_movk_i32 s0, 0x80
	v_cmp_eq_u16_e32 vcc, s0, v6
	s_mov_b64 s[0:1], -1
                                        ; implicit-def: $sgpr12
	s_and_saveexec_b64 s[10:11], vcc
; %bb.175:
	s_movk_i32 s12, 0x7e00
	s_xor_b64 s[0:1], exec, -1
; %bb.176:
	s_or_b64 exec, exec, s[10:11]
	s_and_b64 s[0:1], s[0:1], exec
	s_or_saveexec_b64 s[8:9], s[8:9]
	v_mov_b32_e32 v1, s12
	s_xor_b64 exec, exec, s[8:9]
	s_cbranch_execnz .LBB15_194
.LBB15_177:
	s_or_b64 exec, exec, s[8:9]
	s_and_saveexec_b64 s[8:9], s[0:1]
	s_cbranch_execz .LBB15_179
.LBB15_178:
	v_lshlrev_b32_e32 v1, 24, v6
	v_and_b32_e32 v6, 0xffff, v6
	v_and_b32_e32 v7, 7, v6
	v_ffbh_u32_e32 v10, v7
	v_min_u32_e32 v10, 32, v10
	v_subrev_u32_e32 v11, 28, v10
	v_bfe_u32 v9, v6, 3, 4
	v_lshlrev_b32_e32 v6, v11, v6
	v_sub_u32_e32 v10, 29, v10
	v_and_b32_e32 v6, 7, v6
	v_cmp_eq_u32_e32 vcc, 0, v9
	v_cndmask_b32_e32 v9, v9, v10, vcc
	v_cndmask_b32_e32 v6, v7, v6, vcc
	v_mov_b32_e32 v7, 0x3b800000
	v_lshlrev_b32_e32 v6, 20, v6
	v_and_b32_e32 v1, 0x80000000, v1
	v_lshl_add_u32 v7, v9, 23, v7
	v_or3_b32 v1, v1, v7, v6
	v_cvt_f16_f32_e32 v1, v1
.LBB15_179:
	s_or_b64 exec, exec, s[8:9]
.LBB15_180:
	s_mov_b64 s[0:1], -1
.LBB15_181:
	s_branch .LBB15_216
.LBB15_182:
	v_cmp_lt_i16_e32 vcc, 22, v5
	s_cbranch_vccz .LBB15_192
; %bb.183:
	v_cmp_gt_i16_e32 vcc, 24, v5
	s_cbranch_vccnz .LBB15_195
; %bb.184:
	v_cmp_lt_i16_e32 vcc, 24, v5
	s_cbranch_vccz .LBB15_196
; %bb.185:
	global_load_ubyte v6, v[2:3], off
	s_movk_i32 s0, 0x7f
                                        ; implicit-def: $sgpr12
	s_waitcnt vmcnt(0)
	v_cmp_lt_i16_e32 vcc, s0, v6
	s_mov_b64 s[0:1], 0
	s_and_saveexec_b64 s[8:9], vcc
	s_xor_b64 s[8:9], exec, s[8:9]
	s_cbranch_execz .LBB15_208
; %bb.186:
	s_movk_i32 s0, 0x80
	v_cmp_eq_u16_e32 vcc, s0, v6
	s_mov_b64 s[0:1], -1
                                        ; implicit-def: $sgpr12
	s_and_saveexec_b64 s[10:11], vcc
; %bb.187:
	s_movk_i32 s12, 0x7e00
	s_xor_b64 s[0:1], exec, -1
; %bb.188:
	s_or_b64 exec, exec, s[10:11]
	s_and_b64 s[0:1], s[0:1], exec
	s_or_saveexec_b64 s[8:9], s[8:9]
	v_mov_b32_e32 v1, s12
	s_xor_b64 exec, exec, s[8:9]
	s_cbranch_execnz .LBB15_209
.LBB15_189:
	s_or_b64 exec, exec, s[8:9]
	s_and_saveexec_b64 s[8:9], s[0:1]
	s_cbranch_execz .LBB15_191
.LBB15_190:
	v_lshlrev_b32_e32 v1, 24, v6
	v_and_b32_e32 v6, 0xffff, v6
	v_and_b32_e32 v7, 3, v6
	v_ffbh_u32_e32 v10, v7
	v_min_u32_e32 v10, 32, v10
	v_subrev_u32_e32 v11, 29, v10
	v_bfe_u32 v9, v6, 2, 5
	v_lshlrev_b32_e32 v6, v11, v6
	v_sub_u32_e32 v10, 30, v10
	v_and_b32_e32 v6, 3, v6
	v_cmp_eq_u32_e32 vcc, 0, v9
	v_cndmask_b32_e32 v9, v9, v10, vcc
	v_cndmask_b32_e32 v6, v7, v6, vcc
	v_mov_b32_e32 v7, 0x37800000
	v_lshlrev_b32_e32 v6, 21, v6
	v_and_b32_e32 v1, 0x80000000, v1
	v_lshl_add_u32 v7, v9, 23, v7
	v_or3_b32 v1, v1, v7, v6
	v_cvt_f16_f32_e32 v1, v1
.LBB15_191:
	s_or_b64 exec, exec, s[8:9]
	s_mov_b64 s[0:1], 0
	s_branch .LBB15_197
.LBB15_192:
	s_mov_b64 s[8:9], -1
                                        ; implicit-def: $vgpr1
	s_branch .LBB15_203
.LBB15_193:
	s_or_saveexec_b64 s[8:9], s[8:9]
	v_mov_b32_e32 v1, s12
	s_xor_b64 exec, exec, s[8:9]
	s_cbranch_execz .LBB15_177
.LBB15_194:
	v_cmp_ne_u16_e32 vcc, 0, v6
	s_andn2_b64 s[0:1], s[0:1], exec
	s_and_b64 s[10:11], vcc, exec
	s_or_b64 s[0:1], s[0:1], s[10:11]
	v_mov_b32_e32 v1, v6
	s_or_b64 exec, exec, s[8:9]
	s_and_saveexec_b64 s[8:9], s[0:1]
	s_cbranch_execnz .LBB15_178
	s_branch .LBB15_179
.LBB15_195:
	s_mov_b64 s[0:1], -1
                                        ; implicit-def: $vgpr1
	s_branch .LBB15_200
.LBB15_196:
	s_mov_b64 s[0:1], -1
                                        ; implicit-def: $vgpr1
.LBB15_197:
	s_and_b64 vcc, exec, s[0:1]
	s_cbranch_vccz .LBB15_199
; %bb.198:
	global_load_ubyte v1, v[2:3], off
	s_mov_b32 s0, 0x7f800000
	s_waitcnt vmcnt(0)
	v_lshlrev_b32_e32 v1, 24, v1
	v_and_b32_e32 v6, 0x7f000000, v1
	v_ffbh_u32_e32 v7, v6
	v_min_u32_e32 v7, 32, v7
	v_sub_u32_e64 v7, v7, 4 clamp
	v_lshlrev_b32_e32 v10, v7, v6
	v_lshlrev_b32_e32 v7, 23, v7
	v_lshrrev_b32_e32 v10, 4, v10
	v_add_u32_e32 v9, 0x1000000, v6
	v_sub_u32_e32 v7, v10, v7
	v_ashrrev_i32_e32 v9, 8, v9
	v_add_u32_e32 v7, 0x3c000000, v7
	v_and_or_b32 v7, v9, s0, v7
	v_cmp_ne_u32_e32 vcc, 0, v6
	v_cndmask_b32_e32 v6, 0, v7, vcc
	s_brev_b32 s0, 1
	v_and_or_b32 v1, v1, s0, v6
	v_cvt_f16_f32_e32 v1, v1
.LBB15_199:
	s_mov_b64 s[0:1], 0
.LBB15_200:
	s_andn2_b64 vcc, exec, s[0:1]
	s_cbranch_vccnz .LBB15_202
; %bb.201:
	global_load_ubyte v1, v[2:3], off
	s_movk_i32 s0, 0x7f00
	s_brev_b32 s1, 16
	s_waitcnt vmcnt(0)
	v_lshlrev_b16_e32 v6, 8, v1
	v_lshlrev_b32_e32 v1, 25, v1
	v_lshrrev_b32_e32 v7, 4, v1
	v_and_or_b32 v9, v6, s0, 0.5
	v_or_b32_e32 v7, 0x70000000, v7
	v_add_f32_e32 v9, -0.5, v9
	v_mul_f32_e32 v7, 0x7800000, v7
	v_cmp_gt_u32_e32 vcc, s1, v1
	v_bfe_i32 v6, v6, 0, 16
	v_cndmask_b32_e32 v1, v7, v9, vcc
	s_brev_b32 s0, 1
	v_and_or_b32 v1, v6, s0, v1
	v_cvt_f16_f32_e32 v1, v1
.LBB15_202:
	s_mov_b64 s[8:9], 0
	s_mov_b64 s[0:1], -1
.LBB15_203:
	s_andn2_b64 vcc, exec, s[8:9]
	s_cbranch_vccnz .LBB15_216
; %bb.204:
	v_cmp_lt_i16_e32 vcc, 14, v5
	s_cbranch_vccz .LBB15_207
; %bb.205:
	v_cmp_eq_u16_e32 vcc, 15, v5
	s_cbranch_vccz .LBB15_210
; %bb.206:
	global_load_ushort v1, v[2:3], off
	s_mov_b64 s[0:1], -1
	s_mov_b64 s[2:3], 0
	s_waitcnt vmcnt(0)
	v_lshlrev_b32_e32 v1, 16, v1
	v_cvt_f16_f32_e32 v1, v1
	s_branch .LBB15_211
.LBB15_207:
	s_mov_b64 s[8:9], -1
                                        ; implicit-def: $vgpr1
	s_branch .LBB15_212
.LBB15_208:
	s_or_saveexec_b64 s[8:9], s[8:9]
	v_mov_b32_e32 v1, s12
	s_xor_b64 exec, exec, s[8:9]
	s_cbranch_execz .LBB15_189
.LBB15_209:
	v_cmp_ne_u16_e32 vcc, 0, v6
	s_andn2_b64 s[0:1], s[0:1], exec
	s_and_b64 s[10:11], vcc, exec
	s_or_b64 s[0:1], s[0:1], s[10:11]
	v_mov_b32_e32 v1, v6
	s_or_b64 exec, exec, s[8:9]
	s_and_saveexec_b64 s[8:9], s[0:1]
	s_cbranch_execnz .LBB15_190
	s_branch .LBB15_191
.LBB15_210:
	s_mov_b64 s[2:3], -1
                                        ; implicit-def: $vgpr1
.LBB15_211:
	s_mov_b64 s[8:9], 0
.LBB15_212:
	s_and_b64 vcc, exec, s[8:9]
	s_cbranch_vccz .LBB15_216
; %bb.213:
	v_cmp_eq_u16_e32 vcc, 11, v5
	s_cbranch_vccz .LBB15_215
; %bb.214:
	global_load_ubyte v1, v[2:3], off
	v_mov_b32_e32 v6, 0x3c00
	s_mov_b64 s[0:1], -1
	s_mov_b64 s[2:3], 0
	s_waitcnt vmcnt(0)
	v_cmp_ne_u16_e32 vcc, 0, v1
	v_cndmask_b32_e32 v1, 0, v6, vcc
	s_branch .LBB15_216
.LBB15_215:
	s_mov_b64 s[2:3], -1
                                        ; implicit-def: $vgpr1
.LBB15_216:
	s_branch .LBB15_25
.LBB15_217:
	v_cmp_gt_i16_e32 vcc, 5, v5
	s_cbranch_vccnz .LBB15_222
; %bb.218:
	v_cmp_gt_i16_e32 vcc, 8, v5
	s_cbranch_vccnz .LBB15_223
; %bb.219:
	;; [unrolled: 3-line block ×3, first 2 shown]
	v_cmp_lt_i16_e32 vcc, 9, v5
	s_cbranch_vccz .LBB15_225
; %bb.221:
	global_load_dwordx2 v[6:7], v[2:3], off
	s_mov_b64 s[0:1], 0
	s_waitcnt vmcnt(0)
	v_cvt_f32_f64_e32 v1, v[6:7]
	v_cvt_f16_f32_e32 v1, v1
	s_branch .LBB15_226
.LBB15_222:
                                        ; implicit-def: $vgpr1
	s_branch .LBB15_244
.LBB15_223:
	s_mov_b64 s[0:1], -1
                                        ; implicit-def: $vgpr1
	s_branch .LBB15_232
.LBB15_224:
	s_mov_b64 s[0:1], -1
                                        ; implicit-def: $vgpr1
	s_branch .LBB15_229
.LBB15_225:
	s_mov_b64 s[0:1], -1
                                        ; implicit-def: $vgpr1
.LBB15_226:
	s_andn2_b64 vcc, exec, s[0:1]
	s_cbranch_vccnz .LBB15_228
; %bb.227:
	global_load_dword v1, v[2:3], off
	s_waitcnt vmcnt(0)
	v_cvt_f16_f32_e32 v1, v1
.LBB15_228:
	s_mov_b64 s[0:1], 0
.LBB15_229:
	s_andn2_b64 vcc, exec, s[0:1]
	s_cbranch_vccnz .LBB15_231
; %bb.230:
	global_load_dword v1, v[2:3], off
.LBB15_231:
	s_mov_b64 s[0:1], 0
.LBB15_232:
	s_andn2_b64 vcc, exec, s[0:1]
	s_cbranch_vccnz .LBB15_243
; %bb.233:
	v_cmp_gt_i16_e32 vcc, 6, v5
	s_cbranch_vccnz .LBB15_236
; %bb.234:
	v_cmp_lt_i16_e32 vcc, 6, v5
	s_cbranch_vccz .LBB15_237
; %bb.235:
	global_load_dwordx2 v[6:7], v[2:3], off
	s_mov_b64 s[0:1], 0
	s_waitcnt vmcnt(0)
	v_cvt_f32_f64_e32 v1, v[6:7]
	v_cvt_f16_f32_e32 v1, v1
	s_branch .LBB15_238
.LBB15_236:
	s_mov_b64 s[0:1], -1
                                        ; implicit-def: $vgpr1
	s_branch .LBB15_241
.LBB15_237:
	s_mov_b64 s[0:1], -1
                                        ; implicit-def: $vgpr1
.LBB15_238:
	s_andn2_b64 vcc, exec, s[0:1]
	s_cbranch_vccnz .LBB15_240
; %bb.239:
	global_load_dword v1, v[2:3], off
	s_waitcnt vmcnt(0)
	v_cvt_f16_f32_e32 v1, v1
.LBB15_240:
	s_mov_b64 s[0:1], 0
.LBB15_241:
	s_andn2_b64 vcc, exec, s[0:1]
	s_cbranch_vccnz .LBB15_243
; %bb.242:
	global_load_ushort v1, v[2:3], off
.LBB15_243:
	s_cbranch_execnz .LBB15_263
.LBB15_244:
	v_cmp_gt_i16_e32 vcc, 2, v5
	s_cbranch_vccnz .LBB15_248
; %bb.245:
	v_cmp_gt_i16_e32 vcc, 3, v5
	s_cbranch_vccnz .LBB15_249
; %bb.246:
	v_cmp_lt_i16_e32 vcc, 3, v5
	s_cbranch_vccz .LBB15_250
; %bb.247:
	global_load_dwordx2 v[6:7], v[2:3], off
	s_mov_b64 s[0:1], 0
	s_waitcnt vmcnt(0)
	v_xor_b32_e32 v9, v6, v7
	v_ffbh_i32_e32 v1, v7
	v_ashrrev_i32_e32 v9, 31, v9
	v_add_u32_e32 v1, -1, v1
	v_add_u32_e32 v9, 32, v9
	v_min_u32_e32 v1, v1, v9
	v_lshlrev_b64 v[6:7], v1, v[6:7]
	v_min_u32_e32 v6, 1, v6
	v_or_b32_e32 v6, v7, v6
	v_cvt_f32_i32_e32 v6, v6
	v_sub_u32_e32 v1, 32, v1
	v_ldexp_f32 v1, v6, v1
	v_cvt_f16_f32_e32 v1, v1
	s_branch .LBB15_251
.LBB15_248:
	s_mov_b64 s[0:1], -1
                                        ; implicit-def: $vgpr1
	s_branch .LBB15_257
.LBB15_249:
	s_mov_b64 s[0:1], -1
                                        ; implicit-def: $vgpr1
	s_branch .LBB15_254
.LBB15_250:
	s_mov_b64 s[0:1], -1
                                        ; implicit-def: $vgpr1
.LBB15_251:
	s_andn2_b64 vcc, exec, s[0:1]
	s_cbranch_vccnz .LBB15_253
; %bb.252:
	global_load_dword v1, v[2:3], off
	s_waitcnt vmcnt(0)
	v_cvt_f32_i32_e32 v1, v1
	v_cvt_f16_f32_e32 v1, v1
.LBB15_253:
	s_mov_b64 s[0:1], 0
.LBB15_254:
	s_andn2_b64 vcc, exec, s[0:1]
	s_cbranch_vccnz .LBB15_256
; %bb.255:
	global_load_ushort v1, v[2:3], off
	s_waitcnt vmcnt(0)
	v_cvt_f16_i16_e32 v1, v1
.LBB15_256:
	s_mov_b64 s[0:1], 0
.LBB15_257:
	s_andn2_b64 vcc, exec, s[0:1]
	s_cbranch_vccnz .LBB15_263
; %bb.258:
	v_cmp_lt_i16_e32 vcc, 0, v5
	s_cbranch_vccz .LBB15_260
; %bb.259:
	global_load_sbyte v1, v[2:3], off
	s_mov_b64 s[0:1], 0
	s_waitcnt vmcnt(0)
	v_cvt_f16_i16_e32 v1, v1
	s_branch .LBB15_261
.LBB15_260:
	s_mov_b64 s[0:1], -1
                                        ; implicit-def: $vgpr1
.LBB15_261:
	s_andn2_b64 vcc, exec, s[0:1]
	s_cbranch_vccnz .LBB15_263
; %bb.262:
	global_load_ubyte v1, v[2:3], off
	s_waitcnt vmcnt(0)
	v_cvt_f16_u16_e32 v1, v1
.LBB15_263:
	s_branch .LBB15_26
.LBB15_264:
	s_mov_b64 s[0:1], 0
.LBB15_265:
	s_mov_b64 s[8:9], 0
                                        ; implicit-def: $vgpr8
.LBB15_266:
	s_and_b64 s[52:53], s[0:1], exec
	s_and_b64 s[54:55], s[2:3], exec
	s_orn2_b64 s[2:3], s[8:9], exec
.LBB15_267:
	s_or_b64 exec, exec, s[56:57]
	s_mov_b64 s[10:11], 0
	s_mov_b64 s[0:1], 0
                                        ; implicit-def: $vgpr2_vgpr3
                                        ; implicit-def: $vgpr0
                                        ; implicit-def: $vgpr6
	s_and_saveexec_b64 s[56:57], s[2:3]
	s_cbranch_execz .LBB15_275
; %bb.268:
	v_cmp_gt_i32_e32 vcc, s72, v8
	s_mov_b64 s[0:1], -1
	s_mov_b64 s[58:59], s[54:55]
	s_mov_b64 s[60:61], s[52:53]
	s_and_saveexec_b64 s[62:63], vcc
	s_cbranch_execz .LBB15_544
; %bb.269:
	s_andn2_b64 vcc, exec, s[40:41]
	s_cbranch_vccnz .LBB15_278
; %bb.270:
	s_mov_b32 s58, 0
	s_andn2_b64 vcc, exec, s[50:51]
	v_mov_b32_e32 v2, 0
	v_mov_b32_e32 v0, 0
	s_cbranch_vccnz .LBB15_284
; %bb.271:
	s_add_i32 s66, s73, 1
	s_cmp_eq_u32 s74, 2
	s_cbranch_scc1 .LBB15_279
; %bb.272:
	s_and_b32 s58, s66, 28
	s_mov_b32 s59, 0
	v_mov_b32_e32 v0, 0
	s_mov_b64 s[60:61], s[34:35]
	s_mov_b64 s[64:65], s[48:49]
	v_mov_b32_e32 v3, v8
	v_mov_b32_e32 v2, 0
.LBB15_273:                             ; =>This Inner Loop Header: Depth=1
	s_load_dwordx8 s[16:23], s[60:61], 0x4
	s_load_dwordx4 s[0:3], s[60:61], 0x24
	s_load_dwordx8 s[8:15], s[64:65], 0x0
	s_add_u32 s60, s60, 48
	s_addc_u32 s61, s61, 0
	s_waitcnt vmcnt(0) lgkmcnt(0)
	v_mul_hi_u32 v1, s17, v3
	v_add_u32_e32 v1, v3, v1
	v_lshrrev_b32_e32 v1, s18, v1
	v_mul_lo_u32 v6, v1, s16
	v_mul_hi_u32 v7, s20, v1
	v_sub_u32_e32 v3, v3, v6
	v_add_u32_e32 v6, v1, v7
	v_lshrrev_b32_e32 v6, s21, v6
	v_mul_lo_u32 v9, v6, s19
	v_mul_hi_u32 v10, s23, v6
	v_sub_u32_e32 v1, v1, v9
	v_add_u32_e32 v9, v6, v10
	v_mul_lo_u32 v7, v3, s9
	v_mul_lo_u32 v3, v3, s8
	;; [unrolled: 1-line block ×4, first 2 shown]
	v_lshrrev_b32_e32 v9, s0, v9
	v_add3_u32 v0, v3, v0, v1
	v_mul_hi_u32 v3, s2, v9
	v_add_u32_e32 v3, v9, v3
	v_lshrrev_b32_e32 v3, s3, v3
	s_add_i32 s59, s59, 4
	v_add3_u32 v1, v7, v2, v10
	v_mul_lo_u32 v2, v9, s22
	v_mul_lo_u32 v7, v3, s1
	s_add_u32 s64, s64, 32
	v_sub_u32_e32 v2, v6, v2
	v_sub_u32_e32 v7, v9, v7
	s_addc_u32 s65, s65, 0
	v_mul_lo_u32 v6, v2, s12
	v_mul_lo_u32 v2, v2, s13
	v_mul_lo_u32 v9, v7, s14
	v_mul_lo_u32 v7, v7, s15
	s_cmp_eq_u32 s58, s59
	v_add3_u32 v2, v2, v1, v7
	v_add3_u32 v0, v6, v0, v9
	s_cbranch_scc0 .LBB15_273
; %bb.274:
	v_mov_b32_e32 v1, v2
	s_branch .LBB15_280
.LBB15_275:
	s_or_b64 exec, exec, s[56:57]
	s_mov_b64 s[2:3], 0
	s_and_saveexec_b64 s[8:9], s[54:55]
	s_cbranch_execnz .LBB15_922
.LBB15_276:
	s_or_b64 exec, exec, s[8:9]
	s_and_saveexec_b64 s[8:9], s[60:61]
	s_xor_b64 s[8:9], exec, s[8:9]
	s_cbranch_execz .LBB15_923
.LBB15_277:
	global_load_ubyte v1, v[2:3], off
	v_mov_b32_e32 v6, 0x3c00
	s_or_b64 s[0:1], s[0:1], exec
	s_waitcnt vmcnt(0)
	v_cmp_ne_u16_e32 vcc, 0, v1
	v_cndmask_b32_e32 v6, 0, v6, vcc
	s_or_b64 exec, exec, s[8:9]
	s_and_saveexec_b64 s[8:9], s[10:11]
	s_cbranch_execz .LBB15_969
	s_branch .LBB15_924
.LBB15_278:
                                        ; implicit-def: $vgpr2
                                        ; implicit-def: $vgpr0
	s_andn2_b64 vcc, exec, s[0:1]
	s_cbranch_vccz .LBB15_285
	s_branch .LBB15_287
.LBB15_279:
	s_mov_b32 s59, s58
	s_waitcnt vmcnt(0)
	v_pk_mov_b32 v[0:1], s[58:59], s[58:59] op_sel:[0,1]
                                        ; implicit-def: $vgpr2
	v_mov_b32_e32 v3, v8
.LBB15_280:
	s_and_b32 s8, s66, 3
	s_cmp_eq_u32 s8, 0
	s_cbranch_scc1 .LBB15_284
; %bb.281:
	s_lshl_b32 s0, s58, 3
	s_add_u32 s0, s0, s34
	s_addc_u32 s1, s35, 0
	s_add_u32 s0, s0, 0xc4
	s_addc_u32 s1, s1, 0
	s_mul_i32 s2, s58, 12
	s_add_u32 s2, s34, s2
	s_addc_u32 s3, s35, 0
.LBB15_282:                             ; =>This Inner Loop Header: Depth=1
	s_load_dwordx2 s[10:11], s[2:3], 0x4
	s_load_dword s9, s[2:3], 0xc
	s_load_dwordx2 s[12:13], s[0:1], 0x0
	v_mov_b32_e32 v2, v1
	s_add_u32 s2, s2, 12
	s_waitcnt lgkmcnt(0)
	v_mul_hi_u32 v1, s11, v3
	v_add_u32_e32 v1, v3, v1
	v_lshrrev_b32_e32 v1, s9, v1
	s_addc_u32 s3, s3, 0
	v_mul_lo_u32 v6, v1, s10
	s_add_u32 s0, s0, 8
	v_sub_u32_e32 v9, v3, v6
	v_mov_b32_e32 v3, v1
	s_addc_u32 s1, s1, 0
	s_add_i32 s8, s8, -1
	v_mad_u64_u32 v[6:7], s[10:11], v9, s13, v[2:3]
	v_mad_u64_u32 v[0:1], s[10:11], v9, s12, v[0:1]
	s_cmp_lg_u32 s8, 0
	v_mov_b32_e32 v1, v6
	s_cbranch_scc1 .LBB15_282
; %bb.283:
	v_mov_b32_e32 v2, v1
.LBB15_284:
	s_cbranch_execnz .LBB15_287
.LBB15_285:
	v_mul_hi_u32 v0, s29, v8
	v_add_u32_e32 v0, v8, v0
	s_waitcnt vmcnt(0)
	v_lshrrev_b32_e32 v1, s30, v0
	v_mul_lo_u32 v0, v1, s28
	v_sub_u32_e32 v0, v8, v0
	v_mul_lo_u32 v2, v0, s37
	s_andn2_b64 vcc, exec, s[46:47]
	v_mul_lo_u32 v0, v0, s36
	s_cbranch_vccnz .LBB15_287
; %bb.286:
	v_mul_hi_u32 v3, s44, v1
	v_add_u32_e32 v3, v1, v3
	v_lshrrev_b32_e32 v3, s45, v3
	v_mul_lo_u32 v3, v3, s31
	v_sub_u32_e32 v3, v1, v3
	v_mad_u64_u32 v[0:1], s[0:1], v3, s38, v[0:1]
	v_mad_u64_u32 v[2:3], s[0:1], v3, s39, v[2:3]
.LBB15_287:
	s_waitcnt vmcnt(0)
	v_mov_b32_e32 v1, s27
	v_add_co_u32_e32 v2, vcc, s26, v2
	v_addc_co_u32_e32 v3, vcc, 0, v1, vcc
	v_cmp_gt_i16_e32 vcc, 11, v5
	s_cbranch_vccnz .LBB15_294
; %bb.288:
	v_cmp_lt_i16_e32 vcc, 25, v5
	s_cbranch_vccz .LBB15_303
; %bb.289:
	v_cmp_lt_i16_e32 vcc, 28, v5
	s_cbranch_vccz .LBB15_305
; %bb.290:
	v_cmp_lt_i16_e32 vcc, 43, v5
	s_cbranch_vccz .LBB15_307
; %bb.291:
	v_cmp_lt_i16_e32 vcc, 45, v5
	s_cbranch_vccz .LBB15_311
; %bb.292:
	v_cmp_eq_u16_e32 vcc, 46, v5
	s_mov_b64 s[8:9], 0
	s_cbranch_vccz .LBB15_315
; %bb.293:
	global_load_dword v1, v[2:3], off
	s_mov_b64 s[0:1], -1
	s_mov_b64 s[2:3], 0
	s_waitcnt vmcnt(0)
	v_lshlrev_b32_e32 v1, 16, v1
	v_cvt_f16_f32_e32 v1, v1
	s_branch .LBB15_316
.LBB15_294:
	s_mov_b64 s[0:1], 0
                                        ; implicit-def: $vgpr1
	s_mov_b64 s[2:3], s[54:55]
	s_cbranch_execnz .LBB15_493
.LBB15_295:
	s_andn2_b64 vcc, exec, s[0:1]
	s_cbranch_vccnz .LBB15_541
.LBB15_296:
	s_waitcnt vmcnt(0)
	v_and_b32_e32 v3, 0x7fff, v1
	v_mov_b32_e32 v1, s25
	v_add_co_u32_e32 v0, vcc, s24, v0
	v_mov_b32_e32 v6, 11
	v_addc_co_u32_e32 v1, vcc, 0, v1, vcc
	v_cmp_lt_i16_sdwa s[0:1], s75, v6 src0_sel:BYTE_0 src1_sel:DWORD
	v_or_b32_e32 v2, v3, v4
	s_and_b64 vcc, exec, s[0:1]
	s_cbranch_vccnz .LBB15_304
; %bb.297:
	v_mov_b32_e32 v6, 25
	v_cmp_gt_i16_sdwa s[0:1], s75, v6 src0_sel:BYTE_0 src1_sel:DWORD
	s_and_b64 vcc, exec, s[0:1]
	s_cbranch_vccz .LBB15_306
; %bb.298:
	v_mov_b32_e32 v6, 28
	v_cmp_gt_i16_sdwa s[0:1], s75, v6 src0_sel:BYTE_0 src1_sel:DWORD
	s_and_b64 vcc, exec, s[0:1]
	s_cbranch_vccz .LBB15_308
	;; [unrolled: 5-line block ×4, first 2 shown]
; %bb.301:
	v_mov_b32_e32 v6, 46
	v_cmp_eq_u16_sdwa s[8:9], s75, v6 src0_sel:BYTE_0 src1_sel:DWORD
	s_mov_b64 s[10:11], 0
	s_mov_b64 s[0:1], -1
	s_and_b64 vcc, exec, s[8:9]
	s_mov_b64 s[8:9], 0
	s_cbranch_vccz .LBB15_320
; %bb.302:
	v_cvt_f32_f16_e32 v6, v2
	s_movk_i32 s0, 0x7fff
	v_mov_b32_e32 v7, 0x7fc0
	v_cmp_o_f16_e32 vcc, v2, v2
	v_bfe_u32 v9, v6, 16, 1
	v_add3_u32 v6, v6, v9, s0
	v_lshrrev_b32_e32 v6, 16, v6
	v_cndmask_b32_e32 v6, v7, v6, vcc
	global_store_dword v[0:1], v6, off
	s_mov_b64 s[8:9], -1
	s_mov_b64 s[0:1], 0
	s_branch .LBB15_320
.LBB15_303:
	s_mov_b64 s[8:9], -1
	s_mov_b64 s[0:1], 0
	s_mov_b64 s[2:3], s[54:55]
                                        ; implicit-def: $vgpr1
	s_branch .LBB15_457
.LBB15_304:
	s_mov_b64 s[10:11], -1
	s_mov_b64 s[8:9], 0
	s_mov_b64 s[0:1], s[52:53]
	s_branch .LBB15_389
.LBB15_305:
	s_mov_b64 s[8:9], -1
	s_mov_b64 s[0:1], 0
	s_mov_b64 s[2:3], s[54:55]
                                        ; implicit-def: $vgpr1
	s_branch .LBB15_438
.LBB15_306:
	s_mov_b64 s[10:11], -1
	s_mov_b64 s[8:9], 0
	s_mov_b64 s[0:1], s[52:53]
	s_branch .LBB15_347
.LBB15_307:
	s_mov_b64 s[8:9], -1
	s_mov_b64 s[0:1], 0
	s_mov_b64 s[2:3], s[54:55]
                                        ; implicit-def: $vgpr1
	s_branch .LBB15_433
.LBB15_308:
	s_mov_b64 s[10:11], -1
	s_mov_b64 s[8:9], 0
	s_mov_b64 s[0:1], s[52:53]
	s_branch .LBB15_330
.LBB15_309:
	s_or_saveexec_b64 s[12:13], s[12:13]
                                        ; implicit-def: $sgpr14
	s_xor_b64 exec, exec, s[12:13]
	s_cbranch_execz .LBB15_69
.LBB15_310:
	s_mov_b32 s14, 0x46000000
	v_add_f32_e64 v7, |v6|, s14
	v_and_b32_e32 v7, 0xff, v7
	v_cmp_ne_u32_e32 vcc, 0, v7
	s_andn2_b64 s[10:11], s[10:11], exec
	s_and_b64 s[16:17], vcc, exec
	s_mov_b32 s14, 0
	s_or_b64 s[10:11], s[10:11], s[16:17]
	s_or_b64 exec, exec, s[12:13]
	v_mov_b32_e32 v9, s14
	s_and_saveexec_b64 s[12:13], s[10:11]
	s_cbranch_execnz .LBB15_70
	s_branch .LBB15_71
.LBB15_311:
	s_mov_b64 s[8:9], -1
	s_mov_b64 s[0:1], 0
	s_mov_b64 s[2:3], s[54:55]
                                        ; implicit-def: $vgpr1
	s_branch .LBB15_316
.LBB15_312:
	s_mov_b64 s[10:11], -1
	s_mov_b64 s[8:9], 0
	s_mov_b64 s[0:1], s[52:53]
	s_branch .LBB15_326
.LBB15_313:
	s_or_saveexec_b64 s[12:13], s[12:13]
                                        ; implicit-def: $sgpr14
	s_xor_b64 exec, exec, s[12:13]
	s_cbranch_execz .LBB15_82
.LBB15_314:
	s_mov_b32 s14, 0x42800000
	v_add_f32_e64 v7, |v6|, s14
	v_and_b32_e32 v7, 0xff, v7
	v_cmp_ne_u32_e32 vcc, 0, v7
	s_andn2_b64 s[10:11], s[10:11], exec
	s_and_b64 s[16:17], vcc, exec
	s_mov_b32 s14, 0
	s_or_b64 s[10:11], s[10:11], s[16:17]
	s_or_b64 exec, exec, s[12:13]
	v_mov_b32_e32 v9, s14
	s_and_saveexec_b64 s[12:13], s[10:11]
	s_cbranch_execnz .LBB15_83
	s_branch .LBB15_84
.LBB15_315:
	s_mov_b64 s[2:3], -1
                                        ; implicit-def: $vgpr1
	s_mov_b64 s[0:1], 0
.LBB15_316:
	s_and_b64 vcc, exec, s[8:9]
	s_cbranch_vccz .LBB15_432
; %bb.317:
	v_cmp_eq_u16_e32 vcc, 44, v5
	s_cbranch_vccz .LBB15_431
; %bb.318:
	global_load_ubyte v1, v[2:3], off
	s_movk_i32 s2, 0xff
	v_mov_b32_e32 v7, 0x7e00
	s_mov_b64 s[0:1], -1
	s_waitcnt vmcnt(0)
	v_lshlrev_b32_e32 v6, 23, v1
	v_cvt_f16_f32_e32 v6, v6
	v_cmp_ne_u32_e32 vcc, s2, v1
	s_mov_b64 s[2:3], 0
	v_cndmask_b32_e32 v6, v7, v6, vcc
	v_cmp_ne_u32_e32 vcc, 0, v1
	v_cndmask_b32_e32 v1, 0, v6, vcc
	s_branch .LBB15_432
.LBB15_319:
	s_mov_b64 s[10:11], -1
	s_mov_b64 s[8:9], 0
	s_mov_b64 s[0:1], s[52:53]
.LBB15_320:
	s_and_b64 vcc, exec, s[10:11]
	s_cbranch_vccz .LBB15_325
; %bb.321:
	v_mov_b32_e32 v6, 44
	v_cmp_eq_u16_sdwa s[10:11], s75, v6 src0_sel:BYTE_0 src1_sel:DWORD
	s_mov_b64 s[0:1], -1
	s_and_b64 vcc, exec, s[10:11]
	s_cbranch_vccz .LBB15_325
; %bb.322:
	v_cvt_f32_f16_e32 v6, v2
	s_movk_i32 s0, 0xff
	v_mov_b32_e32 v9, 0xff
	v_bfe_u32 v7, v6, 23, 8
	v_cmp_ne_u32_e32 vcc, s0, v7
	s_and_saveexec_b64 s[8:9], vcc
; %bb.323:
	s_mov_b32 s0, 0x3fffff
	v_lshrrev_b32_e32 v9, 23, v6
	v_and_b32_e32 v10, 0x400000, v6
	v_and_or_b32 v6, v6, s0, v7
	v_cmp_ne_u32_e32 vcc, 0, v10
	v_cmp_ne_u32_e64 s[0:1], 0, v6
	s_and_b64 s[0:1], vcc, s[0:1]
	v_cndmask_b32_e64 v6, 0, 1, s[0:1]
	v_add_u32_e32 v9, v9, v6
; %bb.324:
	s_or_b64 exec, exec, s[8:9]
	s_mov_b64 s[8:9], -1
	s_mov_b64 s[0:1], 0
	global_store_byte v[0:1], v9, off
.LBB15_325:
	s_mov_b64 s[10:11], 0
.LBB15_326:
	s_and_b64 vcc, exec, s[10:11]
	s_cbranch_vccz .LBB15_329
; %bb.327:
	v_mov_b32_e32 v6, 29
	v_cmp_eq_u16_sdwa s[10:11], s75, v6 src0_sel:BYTE_0 src1_sel:DWORD
	s_mov_b64 s[0:1], -1
	s_and_b64 vcc, exec, s[10:11]
	s_cbranch_vccz .LBB15_329
; %bb.328:
	v_cvt_f32_f16_e32 v6, v2
	v_mov_b32_e32 v7, 0
	s_mov_b64 s[8:9], -1
	s_mov_b64 s[0:1], 0
	v_cvt_u32_f32_e32 v6, v6
	s_mov_b64 s[10:11], 0
	global_store_dwordx2 v[0:1], v[6:7], off
	s_branch .LBB15_330
.LBB15_329:
	s_mov_b64 s[10:11], 0
.LBB15_330:
	s_and_b64 vcc, exec, s[10:11]
	s_cbranch_vccz .LBB15_346
; %bb.331:
	v_mov_b32_e32 v6, 27
	v_cmp_lt_i16_sdwa s[10:11], s75, v6 src0_sel:BYTE_0 src1_sel:DWORD
	s_mov_b64 s[8:9], -1
	s_and_b64 vcc, exec, s[10:11]
	s_cbranch_vccnz .LBB15_337
; %bb.332:
	v_cmp_gt_i16_sdwa s[10:11], s75, v6 src0_sel:BYTE_0 src1_sel:DWORD
	s_and_b64 vcc, exec, s[10:11]
	s_cbranch_vccz .LBB15_334
; %bb.333:
	v_cvt_f32_f16_e32 v6, v2
	s_mov_b64 s[8:9], 0
	v_cvt_u32_f32_e32 v6, v6
	global_store_dword v[0:1], v6, off
.LBB15_334:
	s_andn2_b64 vcc, exec, s[8:9]
	s_cbranch_vccnz .LBB15_336
; %bb.335:
	v_cvt_u16_f16_e32 v6, v2
	global_store_short v[0:1], v6, off
.LBB15_336:
	s_mov_b64 s[8:9], 0
.LBB15_337:
	s_andn2_b64 vcc, exec, s[8:9]
	s_cbranch_vccnz .LBB15_345
; %bb.338:
	v_cvt_f32_f16_e32 v6, v2
	s_mov_b32 s8, 0x43800000
	v_mov_b32_e32 v9, 0x80
	v_and_b32_e32 v7, 0x7fffffff, v6
	v_cmp_gt_u32_e32 vcc, s8, v7
	s_and_saveexec_b64 s[8:9], vcc
	s_cbranch_execz .LBB15_344
; %bb.339:
	s_mov_b32 s10, 0x3bffffff
	v_cmp_lt_u32_e32 vcc, s10, v7
	s_mov_b64 s[10:11], 0
                                        ; implicit-def: $vgpr7
	s_and_saveexec_b64 s[12:13], vcc
	s_xor_b64 s[12:13], exec, s[12:13]
	s_cbranch_execz .LBB15_573
; %bb.340:
	v_bfe_u32 v7, v6, 20, 1
	s_mov_b32 s14, 0x487ffff
	v_add3_u32 v7, v6, v7, s14
	s_mov_b64 s[10:11], exec
	v_lshrrev_b32_e32 v7, 20, v7
	s_or_saveexec_b64 s[12:13], s[12:13]
                                        ; implicit-def: $sgpr14
	s_xor_b64 exec, exec, s[12:13]
	s_cbranch_execnz .LBB15_574
.LBB15_341:
	s_or_b64 exec, exec, s[12:13]
	v_mov_b32_e32 v9, s14
	s_and_saveexec_b64 s[12:13], s[10:11]
.LBB15_342:
	v_lshrrev_b32_e32 v6, 24, v6
	s_movk_i32 s10, 0x80
	v_and_or_b32 v9, v6, s10, v7
.LBB15_343:
	s_or_b64 exec, exec, s[12:13]
.LBB15_344:
	s_or_b64 exec, exec, s[8:9]
	global_store_byte v[0:1], v9, off
.LBB15_345:
	s_mov_b64 s[8:9], -1
.LBB15_346:
	s_mov_b64 s[10:11], 0
.LBB15_347:
	s_and_b64 vcc, exec, s[10:11]
	s_cbranch_vccz .LBB15_388
; %bb.348:
	v_mov_b32_e32 v6, 22
	v_cmp_gt_i16_sdwa s[12:13], s75, v6 src0_sel:BYTE_0 src1_sel:DWORD
	s_mov_b64 s[10:11], -1
	s_and_b64 vcc, exec, s[12:13]
	s_cbranch_vccz .LBB15_380
; %bb.349:
	v_mov_b32_e32 v6, 24
	v_cmp_lt_i16_sdwa s[10:11], s75, v6 src0_sel:BYTE_0 src1_sel:DWORD
	s_mov_b64 s[8:9], -1
	s_and_b64 vcc, exec, s[10:11]
	s_cbranch_vccnz .LBB15_369
; %bb.350:
	v_cmp_gt_i16_sdwa s[10:11], s75, v6 src0_sel:BYTE_0 src1_sel:DWORD
	s_and_b64 vcc, exec, s[10:11]
	s_cbranch_vccz .LBB15_358
; %bb.351:
	v_cvt_f32_f16_e32 v6, v2
	s_mov_b32 s8, 0x47800000
	v_mov_b32_e32 v9, 0x80
	v_and_b32_e32 v7, 0x7fffffff, v6
	v_cmp_gt_u32_e32 vcc, s8, v7
	s_and_saveexec_b64 s[8:9], vcc
	s_cbranch_execz .LBB15_357
; %bb.352:
	s_mov_b32 s10, 0x37ffffff
	v_cmp_lt_u32_e32 vcc, s10, v7
	s_mov_b64 s[10:11], 0
                                        ; implicit-def: $vgpr7
	s_and_saveexec_b64 s[12:13], vcc
	s_xor_b64 s[12:13], exec, s[12:13]
	s_cbranch_execz .LBB15_576
; %bb.353:
	v_bfe_u32 v7, v6, 21, 1
	s_mov_b32 s14, 0x88fffff
	v_add3_u32 v7, v6, v7, s14
	s_mov_b64 s[10:11], exec
	v_lshrrev_b32_e32 v7, 21, v7
	s_or_saveexec_b64 s[12:13], s[12:13]
                                        ; implicit-def: $sgpr14
	s_xor_b64 exec, exec, s[12:13]
	s_cbranch_execnz .LBB15_577
.LBB15_354:
	s_or_b64 exec, exec, s[12:13]
	v_mov_b32_e32 v9, s14
	s_and_saveexec_b64 s[12:13], s[10:11]
.LBB15_355:
	v_lshrrev_b32_e32 v6, 24, v6
	s_movk_i32 s10, 0x80
	v_and_or_b32 v9, v6, s10, v7
.LBB15_356:
	s_or_b64 exec, exec, s[12:13]
.LBB15_357:
	s_or_b64 exec, exec, s[8:9]
	s_mov_b64 s[8:9], 0
	global_store_byte v[0:1], v9, off
.LBB15_358:
	s_and_b64 vcc, exec, s[8:9]
	s_cbranch_vccz .LBB15_368
; %bb.359:
	v_cvt_f32_f16_e32 v6, v2
	s_mov_b32 s8, 0x43f00000
                                        ; implicit-def: $vgpr7
	v_and_b32_e32 v9, 0x7fffffff, v6
	v_cmp_gt_u32_e32 vcc, s8, v9
	s_and_saveexec_b64 s[8:9], vcc
	s_xor_b64 s[8:9], exec, s[8:9]
	s_cbranch_execz .LBB15_365
; %bb.360:
	s_mov_b32 s10, 0x3c7fffff
	v_cmp_lt_u32_e32 vcc, s10, v9
                                        ; implicit-def: $vgpr7
	s_and_saveexec_b64 s[10:11], vcc
	s_xor_b64 s[10:11], exec, s[10:11]
; %bb.361:
	v_bfe_u32 v7, v6, 20, 1
	s_mov_b32 s12, 0x407ffff
	v_add3_u32 v7, v6, v7, s12
	v_lshrrev_b32_e32 v9, 20, v7
	v_and_b32_e32 v7, 0xff00000, v7
	s_mov_b32 s12, 0x7f00000
	v_mov_b32_e32 v10, 0x7e
	v_cmp_ne_u32_e32 vcc, s12, v7
	v_cndmask_b32_e32 v7, v10, v9, vcc
; %bb.362:
	s_andn2_saveexec_b64 s[10:11], s[10:11]
; %bb.363:
	s_mov_b32 s12, 0x46800000
	v_add_f32_e64 v7, |v6|, s12
; %bb.364:
	s_or_b64 exec, exec, s[10:11]
                                        ; implicit-def: $vgpr9
.LBB15_365:
	s_andn2_saveexec_b64 s[8:9], s[8:9]
; %bb.366:
	s_mov_b32 s10, 0x7f800000
	v_mov_b32_e32 v7, 0x7e
	v_mov_b32_e32 v10, 0x7f
	v_cmp_lt_u32_e32 vcc, s10, v9
	v_cndmask_b32_e32 v7, v7, v10, vcc
; %bb.367:
	s_or_b64 exec, exec, s[8:9]
	v_lshrrev_b32_e32 v6, 24, v6
	s_movk_i32 s8, 0x80
	v_and_or_b32 v6, v6, s8, v7
	global_store_byte v[0:1], v6, off
.LBB15_368:
	s_mov_b64 s[8:9], 0
.LBB15_369:
	s_andn2_b64 vcc, exec, s[8:9]
	s_cbranch_vccnz .LBB15_379
; %bb.370:
	v_cvt_f32_f16_e32 v6, v2
	s_mov_b32 s8, 0x47800000
                                        ; implicit-def: $vgpr7
	v_and_b32_e32 v9, 0x7fffffff, v6
	v_cmp_gt_u32_e32 vcc, s8, v9
	s_and_saveexec_b64 s[8:9], vcc
	s_xor_b64 s[8:9], exec, s[8:9]
	s_cbranch_execz .LBB15_376
; %bb.371:
	s_mov_b32 s10, 0x387fffff
	v_cmp_lt_u32_e32 vcc, s10, v9
                                        ; implicit-def: $vgpr7
	s_and_saveexec_b64 s[10:11], vcc
	s_xor_b64 s[10:11], exec, s[10:11]
; %bb.372:
	v_bfe_u32 v7, v6, 21, 1
	s_mov_b32 s12, 0x80fffff
	v_add3_u32 v7, v6, v7, s12
	v_lshrrev_b32_e32 v7, 21, v7
; %bb.373:
	s_andn2_saveexec_b64 s[10:11], s[10:11]
; %bb.374:
	s_mov_b32 s12, 0x43000000
	v_add_f32_e64 v7, |v6|, s12
; %bb.375:
	s_or_b64 exec, exec, s[10:11]
                                        ; implicit-def: $vgpr9
.LBB15_376:
	s_andn2_saveexec_b64 s[8:9], s[8:9]
; %bb.377:
	s_mov_b32 s10, 0x7f800000
	v_mov_b32_e32 v7, 0x7c
	v_mov_b32_e32 v10, 0x7f
	v_cmp_lt_u32_e32 vcc, s10, v9
	v_cndmask_b32_e32 v7, v7, v10, vcc
; %bb.378:
	s_or_b64 exec, exec, s[8:9]
	v_lshrrev_b32_e32 v6, 24, v6
	s_movk_i32 s8, 0x80
	v_and_or_b32 v6, v6, s8, v7
	global_store_byte v[0:1], v6, off
.LBB15_379:
	s_mov_b64 s[10:11], 0
	s_mov_b64 s[8:9], -1
.LBB15_380:
	s_andn2_b64 vcc, exec, s[10:11]
	s_cbranch_vccnz .LBB15_388
; %bb.381:
	v_mov_b32_e32 v6, 14
	v_cmp_gt_i16_sdwa s[12:13], s75, v6 src0_sel:BYTE_0 src1_sel:DWORD
	s_mov_b64 s[10:11], -1
	s_and_b64 vcc, exec, s[12:13]
	s_cbranch_vccz .LBB15_385
; %bb.382:
	v_mov_b32_e32 v6, 15
	v_cmp_eq_u16_sdwa s[10:11], s75, v6 src0_sel:BYTE_0 src1_sel:DWORD
	s_mov_b64 s[0:1], -1
	s_and_b64 vcc, exec, s[10:11]
	s_cbranch_vccz .LBB15_384
; %bb.383:
	v_cvt_f32_f16_e32 v6, v2
	s_movk_i32 s0, 0x7fff
	v_mov_b32_e32 v7, 0x7fc0
	v_cmp_o_f16_e32 vcc, v2, v2
	v_bfe_u32 v9, v6, 16, 1
	v_add3_u32 v6, v6, v9, s0
	v_lshrrev_b32_e32 v6, 16, v6
	v_cndmask_b32_e32 v6, v7, v6, vcc
	global_store_short v[0:1], v6, off
	s_mov_b64 s[8:9], -1
	s_mov_b64 s[0:1], 0
.LBB15_384:
	s_mov_b64 s[10:11], 0
.LBB15_385:
	s_and_b64 vcc, exec, s[10:11]
	s_cbranch_vccz .LBB15_388
; %bb.386:
	v_mov_b32_e32 v6, 11
	v_cmp_eq_u16_sdwa s[10:11], s75, v6 src0_sel:BYTE_0 src1_sel:DWORD
	s_mov_b64 s[0:1], -1
	s_and_b64 vcc, exec, s[10:11]
	s_cbranch_vccz .LBB15_388
; %bb.387:
	v_cmp_ne_u16_e32 vcc, 0, v3
	v_cndmask_b32_e64 v3, 0, 1, vcc
	s_mov_b64 s[8:9], -1
	s_mov_b64 s[0:1], 0
	global_store_byte v[0:1], v3, off
.LBB15_388:
	s_mov_b64 s[10:11], 0
.LBB15_389:
	s_and_b64 vcc, exec, s[10:11]
	s_cbranch_vccz .LBB15_428
; %bb.390:
	v_mov_b32_e32 v3, 5
	v_cmp_lt_i16_sdwa s[10:11], s75, v3 src0_sel:BYTE_0 src1_sel:DWORD
	s_mov_b64 s[8:9], -1
	s_and_b64 vcc, exec, s[10:11]
	s_cbranch_vccnz .LBB15_411
; %bb.391:
	v_mov_b32_e32 v3, 8
	v_cmp_lt_i16_sdwa s[10:11], s75, v3 src0_sel:BYTE_0 src1_sel:DWORD
	s_and_b64 vcc, exec, s[10:11]
	s_cbranch_vccnz .LBB15_401
; %bb.392:
	v_mov_b32_e32 v3, 9
	v_cmp_lt_i16_sdwa s[10:11], s75, v3 src0_sel:BYTE_0 src1_sel:DWORD
	s_and_b64 vcc, exec, s[10:11]
	s_cbranch_vccnz .LBB15_398
; %bb.393:
	v_cmp_gt_i16_sdwa s[10:11], s75, v3 src0_sel:BYTE_0 src1_sel:DWORD
	s_and_b64 vcc, exec, s[10:11]
	s_cbranch_vccz .LBB15_395
; %bb.394:
	v_cvt_f32_f16_e32 v3, v2
	v_mov_b32_e32 v12, 0
	v_mov_b32_e32 v13, v12
	s_mov_b64 s[8:9], 0
	v_cvt_f64_f32_e32 v[10:11], v3
	global_store_dwordx4 v[0:1], v[10:13], off
.LBB15_395:
	s_andn2_b64 vcc, exec, s[8:9]
	s_cbranch_vccnz .LBB15_397
; %bb.396:
	v_cvt_f32_f16_e32 v6, v2
	v_mov_b32_e32 v7, 0
	global_store_dwordx2 v[0:1], v[6:7], off
.LBB15_397:
	s_mov_b64 s[8:9], 0
.LBB15_398:
	s_andn2_b64 vcc, exec, s[8:9]
	s_cbranch_vccnz .LBB15_400
; %bb.399:
	v_and_b32_e32 v3, 0xffff, v2
	global_store_dword v[0:1], v3, off
.LBB15_400:
	s_mov_b64 s[8:9], 0
.LBB15_401:
	s_andn2_b64 vcc, exec, s[8:9]
	s_cbranch_vccnz .LBB15_410
; %bb.402:
	v_mov_b32_e32 v3, 6
	v_cmp_lt_i16_sdwa s[10:11], s75, v3 src0_sel:BYTE_0 src1_sel:DWORD
	s_mov_b64 s[8:9], -1
	s_and_b64 vcc, exec, s[10:11]
	s_cbranch_vccnz .LBB15_408
; %bb.403:
	v_cmp_gt_i16_sdwa s[10:11], s75, v3 src0_sel:BYTE_0 src1_sel:DWORD
	s_and_b64 vcc, exec, s[10:11]
	s_cbranch_vccz .LBB15_405
; %bb.404:
	v_cvt_f32_f16_e32 v3, v2
	s_mov_b64 s[8:9], 0
	v_cvt_f64_f32_e32 v[6:7], v3
	global_store_dwordx2 v[0:1], v[6:7], off
.LBB15_405:
	s_andn2_b64 vcc, exec, s[8:9]
	s_cbranch_vccnz .LBB15_407
; %bb.406:
	v_cvt_f32_f16_e32 v3, v2
	global_store_dword v[0:1], v3, off
.LBB15_407:
	s_mov_b64 s[8:9], 0
.LBB15_408:
	s_andn2_b64 vcc, exec, s[8:9]
	s_cbranch_vccnz .LBB15_410
; %bb.409:
	global_store_short v[0:1], v2, off
.LBB15_410:
	s_mov_b64 s[8:9], 0
.LBB15_411:
	s_andn2_b64 vcc, exec, s[8:9]
	s_cbranch_vccnz .LBB15_427
; %bb.412:
	v_mov_b32_e32 v3, 2
	v_cmp_lt_i16_sdwa s[10:11], s75, v3 src0_sel:BYTE_0 src1_sel:DWORD
	s_mov_b64 s[8:9], -1
	s_and_b64 vcc, exec, s[10:11]
	s_cbranch_vccnz .LBB15_422
; %bb.413:
	v_mov_b32_e32 v3, 3
	v_cmp_lt_i16_sdwa s[10:11], s75, v3 src0_sel:BYTE_0 src1_sel:DWORD
	s_and_b64 vcc, exec, s[10:11]
	s_cbranch_vccnz .LBB15_419
; %bb.414:
	v_cmp_gt_i16_sdwa s[10:11], s75, v3 src0_sel:BYTE_0 src1_sel:DWORD
	s_and_b64 vcc, exec, s[10:11]
	s_cbranch_vccz .LBB15_416
; %bb.415:
	v_cvt_f32_f16_e32 v3, v2
	s_mov_b64 s[8:9], 0
	v_cvt_i32_f32_e32 v6, v3
	v_ashrrev_i32_e32 v7, 31, v6
	global_store_dwordx2 v[0:1], v[6:7], off
.LBB15_416:
	s_andn2_b64 vcc, exec, s[8:9]
	s_cbranch_vccnz .LBB15_418
; %bb.417:
	v_cvt_f32_f16_e32 v3, v2
	v_cvt_i32_f32_e32 v3, v3
	global_store_dword v[0:1], v3, off
.LBB15_418:
	s_mov_b64 s[8:9], 0
.LBB15_419:
	s_andn2_b64 vcc, exec, s[8:9]
	s_cbranch_vccnz .LBB15_421
; %bb.420:
	v_cvt_i16_f16_e32 v3, v2
	global_store_short v[0:1], v3, off
.LBB15_421:
	s_mov_b64 s[8:9], 0
.LBB15_422:
	s_andn2_b64 vcc, exec, s[8:9]
	s_cbranch_vccnz .LBB15_427
; %bb.423:
	v_mov_b32_e32 v3, 0
	v_cmp_gt_i16_sdwa s[10:11], s75, v3 src0_sel:BYTE_0 src1_sel:DWORD
	s_mov_b64 s[8:9], -1
	s_and_b64 vcc, exec, s[10:11]
	s_cbranch_vccz .LBB15_425
; %bb.424:
	v_cvt_i16_f16_e32 v3, v2
	s_mov_b64 s[8:9], 0
	global_store_byte v[0:1], v3, off
.LBB15_425:
	s_andn2_b64 vcc, exec, s[8:9]
	s_cbranch_vccnz .LBB15_427
; %bb.426:
	v_cvt_f32_f16_e32 v2, v2
	v_cvt_i32_f32_e32 v2, v2
	global_store_byte v[0:1], v2, off
.LBB15_427:
	s_mov_b64 s[8:9], -1
.LBB15_428:
	s_andn2_b64 vcc, exec, s[8:9]
	s_cbranch_vccnz .LBB15_430
; %bb.429:
	v_add_u32_e32 v8, 0x80, v8
	s_mov_b64 s[8:9], -1
	s_branch .LBB15_543
.LBB15_430:
	s_mov_b64 s[8:9], 0
	s_branch .LBB15_542
.LBB15_431:
	s_mov_b64 s[2:3], -1
                                        ; implicit-def: $vgpr1
.LBB15_432:
	s_mov_b64 s[8:9], 0
.LBB15_433:
	s_and_b64 vcc, exec, s[8:9]
	s_cbranch_vccz .LBB15_437
; %bb.434:
	v_cmp_eq_u16_e32 vcc, 29, v5
	s_cbranch_vccz .LBB15_436
; %bb.435:
	global_load_dwordx2 v[6:7], v[2:3], off
	s_mov_b64 s[0:1], -1
	s_mov_b64 s[2:3], 0
	s_mov_b64 s[8:9], 0
	s_waitcnt vmcnt(0)
	v_ffbh_u32_e32 v1, v7
	v_min_u32_e32 v1, 32, v1
	v_lshlrev_b64 v[6:7], v1, v[6:7]
	v_min_u32_e32 v6, 1, v6
	v_or_b32_e32 v6, v7, v6
	v_cvt_f32_u32_e32 v6, v6
	v_sub_u32_e32 v1, 32, v1
	v_ldexp_f32 v1, v6, v1
	v_cvt_f16_f32_e32 v1, v1
	s_branch .LBB15_438
.LBB15_436:
	s_mov_b64 s[2:3], -1
                                        ; implicit-def: $vgpr1
.LBB15_437:
	s_mov_b64 s[8:9], 0
.LBB15_438:
	s_and_b64 vcc, exec, s[8:9]
	s_cbranch_vccz .LBB15_456
; %bb.439:
	v_cmp_gt_i16_e32 vcc, 27, v5
	s_cbranch_vccnz .LBB15_442
; %bb.440:
	v_cmp_lt_i16_e32 vcc, 27, v5
	s_cbranch_vccz .LBB15_443
; %bb.441:
	global_load_dword v1, v[2:3], off
	s_mov_b64 s[0:1], 0
	s_waitcnt vmcnt(0)
	v_cvt_f32_u32_e32 v1, v1
	v_cvt_f16_f32_e32 v1, v1
	s_branch .LBB15_444
.LBB15_442:
	s_mov_b64 s[0:1], -1
                                        ; implicit-def: $vgpr1
	s_branch .LBB15_447
.LBB15_443:
	s_mov_b64 s[0:1], -1
                                        ; implicit-def: $vgpr1
.LBB15_444:
	s_andn2_b64 vcc, exec, s[0:1]
	s_cbranch_vccnz .LBB15_446
; %bb.445:
	global_load_ushort v1, v[2:3], off
	s_waitcnt vmcnt(0)
	v_cvt_f16_u16_e32 v1, v1
.LBB15_446:
	s_mov_b64 s[0:1], 0
.LBB15_447:
	s_andn2_b64 vcc, exec, s[0:1]
	s_cbranch_vccnz .LBB15_455
; %bb.448:
	global_load_ubyte v6, v[2:3], off
	s_movk_i32 s0, 0x7f
                                        ; implicit-def: $sgpr12
	s_waitcnt vmcnt(0)
	v_cmp_lt_i16_e32 vcc, s0, v6
	s_mov_b64 s[0:1], 0
	s_and_saveexec_b64 s[8:9], vcc
	s_xor_b64 s[8:9], exec, s[8:9]
	s_cbranch_execz .LBB15_469
; %bb.449:
	s_movk_i32 s0, 0x80
	v_cmp_eq_u16_e32 vcc, s0, v6
	s_mov_b64 s[0:1], -1
                                        ; implicit-def: $sgpr12
	s_and_saveexec_b64 s[10:11], vcc
; %bb.450:
	s_movk_i32 s12, 0x7e00
	s_xor_b64 s[0:1], exec, -1
; %bb.451:
	s_or_b64 exec, exec, s[10:11]
	s_and_b64 s[0:1], s[0:1], exec
	s_or_saveexec_b64 s[8:9], s[8:9]
	v_mov_b32_e32 v1, s12
	s_xor_b64 exec, exec, s[8:9]
	s_cbranch_execnz .LBB15_470
.LBB15_452:
	s_or_b64 exec, exec, s[8:9]
	s_and_saveexec_b64 s[8:9], s[0:1]
	s_cbranch_execz .LBB15_454
.LBB15_453:
	v_lshlrev_b32_e32 v1, 24, v6
	v_and_b32_e32 v6, 0xffff, v6
	v_and_b32_e32 v7, 7, v6
	v_ffbh_u32_e32 v10, v7
	v_min_u32_e32 v10, 32, v10
	v_subrev_u32_e32 v11, 28, v10
	v_bfe_u32 v9, v6, 3, 4
	v_lshlrev_b32_e32 v6, v11, v6
	v_sub_u32_e32 v10, 29, v10
	v_and_b32_e32 v6, 7, v6
	v_cmp_eq_u32_e32 vcc, 0, v9
	v_cndmask_b32_e32 v9, v9, v10, vcc
	v_cndmask_b32_e32 v6, v7, v6, vcc
	v_mov_b32_e32 v7, 0x3b800000
	v_lshlrev_b32_e32 v6, 20, v6
	v_and_b32_e32 v1, 0x80000000, v1
	v_lshl_add_u32 v7, v9, 23, v7
	v_or3_b32 v1, v1, v7, v6
	v_cvt_f16_f32_e32 v1, v1
.LBB15_454:
	s_or_b64 exec, exec, s[8:9]
.LBB15_455:
	s_mov_b64 s[0:1], -1
.LBB15_456:
	s_mov_b64 s[8:9], 0
.LBB15_457:
	s_and_b64 vcc, exec, s[8:9]
	s_cbranch_vccz .LBB15_492
; %bb.458:
	v_cmp_lt_i16_e32 vcc, 22, v5
	s_cbranch_vccz .LBB15_468
; %bb.459:
	v_cmp_gt_i16_e32 vcc, 24, v5
	s_cbranch_vccnz .LBB15_471
; %bb.460:
	v_cmp_lt_i16_e32 vcc, 24, v5
	s_cbranch_vccz .LBB15_472
; %bb.461:
	global_load_ubyte v6, v[2:3], off
	s_movk_i32 s0, 0x7f
                                        ; implicit-def: $sgpr12
	s_waitcnt vmcnt(0)
	v_cmp_lt_i16_e32 vcc, s0, v6
	s_mov_b64 s[0:1], 0
	s_and_saveexec_b64 s[8:9], vcc
	s_xor_b64 s[8:9], exec, s[8:9]
	s_cbranch_execz .LBB15_484
; %bb.462:
	s_movk_i32 s0, 0x80
	v_cmp_eq_u16_e32 vcc, s0, v6
	s_mov_b64 s[0:1], -1
                                        ; implicit-def: $sgpr12
	s_and_saveexec_b64 s[10:11], vcc
; %bb.463:
	s_movk_i32 s12, 0x7e00
	s_xor_b64 s[0:1], exec, -1
; %bb.464:
	s_or_b64 exec, exec, s[10:11]
	s_and_b64 s[0:1], s[0:1], exec
	s_or_saveexec_b64 s[8:9], s[8:9]
	v_mov_b32_e32 v1, s12
	s_xor_b64 exec, exec, s[8:9]
	s_cbranch_execnz .LBB15_485
.LBB15_465:
	s_or_b64 exec, exec, s[8:9]
	s_and_saveexec_b64 s[8:9], s[0:1]
	s_cbranch_execz .LBB15_467
.LBB15_466:
	v_lshlrev_b32_e32 v1, 24, v6
	v_and_b32_e32 v6, 0xffff, v6
	v_and_b32_e32 v7, 3, v6
	v_ffbh_u32_e32 v10, v7
	v_min_u32_e32 v10, 32, v10
	v_subrev_u32_e32 v11, 29, v10
	v_bfe_u32 v9, v6, 2, 5
	v_lshlrev_b32_e32 v6, v11, v6
	v_sub_u32_e32 v10, 30, v10
	v_and_b32_e32 v6, 3, v6
	v_cmp_eq_u32_e32 vcc, 0, v9
	v_cndmask_b32_e32 v9, v9, v10, vcc
	v_cndmask_b32_e32 v6, v7, v6, vcc
	v_mov_b32_e32 v7, 0x37800000
	v_lshlrev_b32_e32 v6, 21, v6
	v_and_b32_e32 v1, 0x80000000, v1
	v_lshl_add_u32 v7, v9, 23, v7
	v_or3_b32 v1, v1, v7, v6
	v_cvt_f16_f32_e32 v1, v1
.LBB15_467:
	s_or_b64 exec, exec, s[8:9]
	s_mov_b64 s[0:1], 0
	s_branch .LBB15_473
.LBB15_468:
	s_mov_b64 s[8:9], -1
                                        ; implicit-def: $vgpr1
	s_branch .LBB15_479
.LBB15_469:
	s_or_saveexec_b64 s[8:9], s[8:9]
	v_mov_b32_e32 v1, s12
	s_xor_b64 exec, exec, s[8:9]
	s_cbranch_execz .LBB15_452
.LBB15_470:
	v_cmp_ne_u16_e32 vcc, 0, v6
	s_andn2_b64 s[0:1], s[0:1], exec
	s_and_b64 s[10:11], vcc, exec
	s_or_b64 s[0:1], s[0:1], s[10:11]
	v_mov_b32_e32 v1, v6
	s_or_b64 exec, exec, s[8:9]
	s_and_saveexec_b64 s[8:9], s[0:1]
	s_cbranch_execnz .LBB15_453
	s_branch .LBB15_454
.LBB15_471:
	s_mov_b64 s[0:1], -1
                                        ; implicit-def: $vgpr1
	s_branch .LBB15_476
.LBB15_472:
	s_mov_b64 s[0:1], -1
                                        ; implicit-def: $vgpr1
.LBB15_473:
	s_and_b64 vcc, exec, s[0:1]
	s_cbranch_vccz .LBB15_475
; %bb.474:
	global_load_ubyte v1, v[2:3], off
	s_mov_b32 s0, 0x7f800000
	s_waitcnt vmcnt(0)
	v_lshlrev_b32_e32 v1, 24, v1
	v_and_b32_e32 v6, 0x7f000000, v1
	v_ffbh_u32_e32 v7, v6
	v_min_u32_e32 v7, 32, v7
	v_sub_u32_e64 v7, v7, 4 clamp
	v_lshlrev_b32_e32 v10, v7, v6
	v_lshlrev_b32_e32 v7, 23, v7
	v_lshrrev_b32_e32 v10, 4, v10
	v_add_u32_e32 v9, 0x1000000, v6
	v_sub_u32_e32 v7, v10, v7
	v_ashrrev_i32_e32 v9, 8, v9
	v_add_u32_e32 v7, 0x3c000000, v7
	v_and_or_b32 v7, v9, s0, v7
	v_cmp_ne_u32_e32 vcc, 0, v6
	v_cndmask_b32_e32 v6, 0, v7, vcc
	s_brev_b32 s0, 1
	v_and_or_b32 v1, v1, s0, v6
	v_cvt_f16_f32_e32 v1, v1
.LBB15_475:
	s_mov_b64 s[0:1], 0
.LBB15_476:
	s_andn2_b64 vcc, exec, s[0:1]
	s_cbranch_vccnz .LBB15_478
; %bb.477:
	global_load_ubyte v1, v[2:3], off
	s_movk_i32 s0, 0x7f00
	s_brev_b32 s1, 16
	s_waitcnt vmcnt(0)
	v_lshlrev_b16_e32 v6, 8, v1
	v_lshlrev_b32_e32 v1, 25, v1
	v_lshrrev_b32_e32 v7, 4, v1
	v_and_or_b32 v9, v6, s0, 0.5
	v_or_b32_e32 v7, 0x70000000, v7
	v_add_f32_e32 v9, -0.5, v9
	v_mul_f32_e32 v7, 0x7800000, v7
	v_cmp_gt_u32_e32 vcc, s1, v1
	v_bfe_i32 v6, v6, 0, 16
	v_cndmask_b32_e32 v1, v7, v9, vcc
	s_brev_b32 s0, 1
	v_and_or_b32 v1, v6, s0, v1
	v_cvt_f16_f32_e32 v1, v1
.LBB15_478:
	s_mov_b64 s[8:9], 0
	s_mov_b64 s[0:1], -1
.LBB15_479:
	s_andn2_b64 vcc, exec, s[8:9]
	s_cbranch_vccnz .LBB15_492
; %bb.480:
	v_cmp_lt_i16_e32 vcc, 14, v5
	s_cbranch_vccz .LBB15_483
; %bb.481:
	v_cmp_eq_u16_e32 vcc, 15, v5
	s_cbranch_vccz .LBB15_486
; %bb.482:
	global_load_ushort v1, v[2:3], off
	s_mov_b64 s[0:1], -1
	s_mov_b64 s[2:3], 0
	s_waitcnt vmcnt(0)
	v_lshlrev_b32_e32 v1, 16, v1
	v_cvt_f16_f32_e32 v1, v1
	s_branch .LBB15_487
.LBB15_483:
	s_mov_b64 s[8:9], -1
                                        ; implicit-def: $vgpr1
	s_branch .LBB15_488
.LBB15_484:
	s_or_saveexec_b64 s[8:9], s[8:9]
	v_mov_b32_e32 v1, s12
	s_xor_b64 exec, exec, s[8:9]
	s_cbranch_execz .LBB15_465
.LBB15_485:
	v_cmp_ne_u16_e32 vcc, 0, v6
	s_andn2_b64 s[0:1], s[0:1], exec
	s_and_b64 s[10:11], vcc, exec
	s_or_b64 s[0:1], s[0:1], s[10:11]
	v_mov_b32_e32 v1, v6
	s_or_b64 exec, exec, s[8:9]
	s_and_saveexec_b64 s[8:9], s[0:1]
	s_cbranch_execnz .LBB15_466
	s_branch .LBB15_467
.LBB15_486:
	s_mov_b64 s[2:3], -1
                                        ; implicit-def: $vgpr1
.LBB15_487:
	s_mov_b64 s[8:9], 0
.LBB15_488:
	s_and_b64 vcc, exec, s[8:9]
	s_cbranch_vccz .LBB15_492
; %bb.489:
	v_cmp_eq_u16_e32 vcc, 11, v5
	s_cbranch_vccz .LBB15_491
; %bb.490:
	global_load_ubyte v1, v[2:3], off
	v_mov_b32_e32 v6, 0x3c00
	s_mov_b64 s[0:1], -1
	s_mov_b64 s[2:3], 0
	s_waitcnt vmcnt(0)
	v_cmp_ne_u16_e32 vcc, 0, v1
	v_cndmask_b32_e32 v1, 0, v6, vcc
	s_branch .LBB15_492
.LBB15_491:
	s_mov_b64 s[2:3], -1
                                        ; implicit-def: $vgpr1
.LBB15_492:
	s_branch .LBB15_295
.LBB15_493:
	v_cmp_gt_i16_e32 vcc, 5, v5
	s_cbranch_vccnz .LBB15_498
; %bb.494:
	v_cmp_gt_i16_e32 vcc, 8, v5
	s_cbranch_vccnz .LBB15_499
; %bb.495:
	;; [unrolled: 3-line block ×3, first 2 shown]
	v_cmp_lt_i16_e32 vcc, 9, v5
	s_cbranch_vccz .LBB15_501
; %bb.497:
	global_load_dwordx2 v[6:7], v[2:3], off
	s_mov_b64 s[0:1], 0
	s_waitcnt vmcnt(0)
	v_cvt_f32_f64_e32 v1, v[6:7]
	v_cvt_f16_f32_e32 v1, v1
	s_branch .LBB15_502
.LBB15_498:
	s_mov_b64 s[0:1], -1
                                        ; implicit-def: $vgpr1
	s_branch .LBB15_520
.LBB15_499:
	s_mov_b64 s[0:1], -1
                                        ; implicit-def: $vgpr1
	s_branch .LBB15_508
.LBB15_500:
	s_mov_b64 s[0:1], -1
                                        ; implicit-def: $vgpr1
	s_branch .LBB15_505
.LBB15_501:
	s_mov_b64 s[0:1], -1
                                        ; implicit-def: $vgpr1
.LBB15_502:
	s_andn2_b64 vcc, exec, s[0:1]
	s_cbranch_vccnz .LBB15_504
; %bb.503:
	global_load_dword v1, v[2:3], off
	s_waitcnt vmcnt(0)
	v_cvt_f16_f32_e32 v1, v1
.LBB15_504:
	s_mov_b64 s[0:1], 0
.LBB15_505:
	s_andn2_b64 vcc, exec, s[0:1]
	s_cbranch_vccnz .LBB15_507
; %bb.506:
	global_load_dword v1, v[2:3], off
.LBB15_507:
	s_mov_b64 s[0:1], 0
.LBB15_508:
	s_andn2_b64 vcc, exec, s[0:1]
	s_cbranch_vccnz .LBB15_519
; %bb.509:
	v_cmp_gt_i16_e32 vcc, 6, v5
	s_cbranch_vccnz .LBB15_512
; %bb.510:
	v_cmp_lt_i16_e32 vcc, 6, v5
	s_cbranch_vccz .LBB15_513
; %bb.511:
	global_load_dwordx2 v[6:7], v[2:3], off
	s_mov_b64 s[0:1], 0
	s_waitcnt vmcnt(0)
	v_cvt_f32_f64_e32 v1, v[6:7]
	v_cvt_f16_f32_e32 v1, v1
	s_branch .LBB15_514
.LBB15_512:
	s_mov_b64 s[0:1], -1
                                        ; implicit-def: $vgpr1
	s_branch .LBB15_517
.LBB15_513:
	s_mov_b64 s[0:1], -1
                                        ; implicit-def: $vgpr1
.LBB15_514:
	s_andn2_b64 vcc, exec, s[0:1]
	s_cbranch_vccnz .LBB15_516
; %bb.515:
	global_load_dword v1, v[2:3], off
	s_waitcnt vmcnt(0)
	v_cvt_f16_f32_e32 v1, v1
.LBB15_516:
	s_mov_b64 s[0:1], 0
.LBB15_517:
	s_andn2_b64 vcc, exec, s[0:1]
	s_cbranch_vccnz .LBB15_519
; %bb.518:
	global_load_ushort v1, v[2:3], off
.LBB15_519:
	s_mov_b64 s[0:1], 0
.LBB15_520:
	s_andn2_b64 vcc, exec, s[0:1]
	s_cbranch_vccnz .LBB15_540
; %bb.521:
	v_cmp_gt_i16_e32 vcc, 2, v5
	s_cbranch_vccnz .LBB15_525
; %bb.522:
	v_cmp_gt_i16_e32 vcc, 3, v5
	s_cbranch_vccnz .LBB15_526
; %bb.523:
	v_cmp_lt_i16_e32 vcc, 3, v5
	s_cbranch_vccz .LBB15_527
; %bb.524:
	global_load_dwordx2 v[6:7], v[2:3], off
	s_mov_b64 s[0:1], 0
	s_waitcnt vmcnt(0)
	v_xor_b32_e32 v9, v6, v7
	v_ffbh_i32_e32 v1, v7
	v_ashrrev_i32_e32 v9, 31, v9
	v_add_u32_e32 v1, -1, v1
	v_add_u32_e32 v9, 32, v9
	v_min_u32_e32 v1, v1, v9
	v_lshlrev_b64 v[6:7], v1, v[6:7]
	v_min_u32_e32 v6, 1, v6
	v_or_b32_e32 v6, v7, v6
	v_cvt_f32_i32_e32 v6, v6
	v_sub_u32_e32 v1, 32, v1
	v_ldexp_f32 v1, v6, v1
	v_cvt_f16_f32_e32 v1, v1
	s_branch .LBB15_528
.LBB15_525:
	s_mov_b64 s[0:1], -1
                                        ; implicit-def: $vgpr1
	s_branch .LBB15_534
.LBB15_526:
	s_mov_b64 s[0:1], -1
                                        ; implicit-def: $vgpr1
	s_branch .LBB15_531
.LBB15_527:
	s_mov_b64 s[0:1], -1
                                        ; implicit-def: $vgpr1
.LBB15_528:
	s_andn2_b64 vcc, exec, s[0:1]
	s_cbranch_vccnz .LBB15_530
; %bb.529:
	global_load_dword v1, v[2:3], off
	s_waitcnt vmcnt(0)
	v_cvt_f32_i32_e32 v1, v1
	v_cvt_f16_f32_e32 v1, v1
.LBB15_530:
	s_mov_b64 s[0:1], 0
.LBB15_531:
	s_andn2_b64 vcc, exec, s[0:1]
	s_cbranch_vccnz .LBB15_533
; %bb.532:
	global_load_ushort v1, v[2:3], off
	s_waitcnt vmcnt(0)
	v_cvt_f16_i16_e32 v1, v1
.LBB15_533:
	s_mov_b64 s[0:1], 0
.LBB15_534:
	s_andn2_b64 vcc, exec, s[0:1]
	s_cbranch_vccnz .LBB15_540
; %bb.535:
	v_cmp_lt_i16_e32 vcc, 0, v5
	s_cbranch_vccz .LBB15_537
; %bb.536:
	global_load_sbyte v1, v[2:3], off
	s_mov_b64 s[0:1], 0
	s_waitcnt vmcnt(0)
	v_cvt_f16_i16_e32 v1, v1
	s_branch .LBB15_538
.LBB15_537:
	s_mov_b64 s[0:1], -1
                                        ; implicit-def: $vgpr1
.LBB15_538:
	s_andn2_b64 vcc, exec, s[0:1]
	s_cbranch_vccnz .LBB15_540
; %bb.539:
	global_load_ubyte v1, v[2:3], off
	s_waitcnt vmcnt(0)
	v_cvt_f16_u16_e32 v1, v1
.LBB15_540:
	s_branch .LBB15_296
.LBB15_541:
	s_mov_b64 s[8:9], 0
	s_mov_b64 s[0:1], s[52:53]
.LBB15_542:
                                        ; implicit-def: $vgpr8
.LBB15_543:
	s_andn2_b64 s[10:11], s[52:53], exec
	s_and_b64 s[0:1], s[0:1], exec
	s_or_b64 s[60:61], s[10:11], s[0:1]
	s_andn2_b64 s[0:1], s[54:55], exec
	s_and_b64 s[2:3], s[2:3], exec
	s_or_b64 s[58:59], s[0:1], s[2:3]
	s_orn2_b64 s[0:1], s[8:9], exec
.LBB15_544:
	s_or_b64 exec, exec, s[62:63]
	s_mov_b64 s[2:3], 0
	s_mov_b64 s[8:9], 0
	;; [unrolled: 1-line block ×3, first 2 shown]
                                        ; implicit-def: $vgpr2_vgpr3
                                        ; implicit-def: $vgpr0
                                        ; implicit-def: $vgpr6
	s_and_saveexec_b64 s[62:63], s[0:1]
	s_cbranch_execz .LBB15_921
; %bb.545:
	v_cmp_gt_i32_e32 vcc, s72, v8
	s_mov_b64 s[2:3], -1
	s_mov_b64 s[66:67], s[58:59]
	s_mov_b64 s[68:69], s[60:61]
	s_and_saveexec_b64 s[64:65], vcc
	s_cbranch_execz .LBB15_820
; %bb.546:
	s_andn2_b64 vcc, exec, s[40:41]
	s_cbranch_vccnz .LBB15_552
; %bb.547:
	s_mov_b32 s66, 0
	s_andn2_b64 vcc, exec, s[50:51]
	v_mov_b32_e32 v2, 0
	v_mov_b32_e32 v0, 0
	s_cbranch_vccnz .LBB15_558
; %bb.548:
	s_add_i32 s76, s73, 1
	s_cmp_eq_u32 s74, 2
	s_cbranch_scc1 .LBB15_553
; %bb.549:
	s_and_b32 s66, s76, 28
	s_mov_b32 s67, 0
	v_mov_b32_e32 v0, 0
	s_mov_b64 s[68:69], s[34:35]
	s_mov_b64 s[70:71], s[48:49]
	v_mov_b32_e32 v3, v8
	v_mov_b32_e32 v2, 0
.LBB15_550:                             ; =>This Inner Loop Header: Depth=1
	s_load_dwordx8 s[16:23], s[68:69], 0x4
	s_load_dwordx4 s[0:3], s[68:69], 0x24
	s_load_dwordx8 s[8:15], s[70:71], 0x0
	s_add_u32 s68, s68, 48
	s_addc_u32 s69, s69, 0
	s_waitcnt vmcnt(0) lgkmcnt(0)
	v_mul_hi_u32 v1, s17, v3
	v_add_u32_e32 v1, v3, v1
	v_lshrrev_b32_e32 v1, s18, v1
	v_mul_lo_u32 v6, v1, s16
	v_mul_hi_u32 v7, s20, v1
	v_sub_u32_e32 v3, v3, v6
	v_add_u32_e32 v6, v1, v7
	v_lshrrev_b32_e32 v6, s21, v6
	v_mul_lo_u32 v9, v6, s19
	v_mul_hi_u32 v10, s23, v6
	v_sub_u32_e32 v1, v1, v9
	v_add_u32_e32 v9, v6, v10
	v_mul_lo_u32 v7, v3, s9
	v_mul_lo_u32 v3, v3, s8
	;; [unrolled: 1-line block ×4, first 2 shown]
	v_lshrrev_b32_e32 v9, s0, v9
	v_add3_u32 v0, v3, v0, v1
	v_mul_hi_u32 v3, s2, v9
	v_add_u32_e32 v3, v9, v3
	v_lshrrev_b32_e32 v3, s3, v3
	s_add_i32 s67, s67, 4
	v_add3_u32 v1, v7, v2, v10
	v_mul_lo_u32 v2, v9, s22
	v_mul_lo_u32 v7, v3, s1
	s_add_u32 s70, s70, 32
	v_sub_u32_e32 v2, v6, v2
	v_sub_u32_e32 v7, v9, v7
	s_addc_u32 s71, s71, 0
	v_mul_lo_u32 v6, v2, s12
	v_mul_lo_u32 v2, v2, s13
	;; [unrolled: 1-line block ×4, first 2 shown]
	s_cmp_eq_u32 s66, s67
	v_add3_u32 v2, v2, v1, v7
	v_add3_u32 v0, v6, v0, v9
	s_cbranch_scc0 .LBB15_550
; %bb.551:
	v_mov_b32_e32 v1, v2
	s_branch .LBB15_554
.LBB15_552:
	s_mov_b64 s[0:1], -1
                                        ; implicit-def: $vgpr2
                                        ; implicit-def: $vgpr0
	s_branch .LBB15_559
.LBB15_553:
	s_mov_b32 s67, s66
	s_waitcnt vmcnt(0)
	v_pk_mov_b32 v[0:1], s[66:67], s[66:67] op_sel:[0,1]
                                        ; implicit-def: $vgpr2
	v_mov_b32_e32 v3, v8
.LBB15_554:
	s_and_b32 s8, s76, 3
	s_cmp_eq_u32 s8, 0
	s_cbranch_scc1 .LBB15_558
; %bb.555:
	s_lshl_b32 s0, s66, 3
	s_add_u32 s0, s0, s34
	s_addc_u32 s1, s35, 0
	s_add_u32 s0, s0, 0xc4
	s_addc_u32 s1, s1, 0
	s_mul_i32 s2, s66, 12
	s_add_u32 s2, s34, s2
	s_addc_u32 s3, s35, 0
.LBB15_556:                             ; =>This Inner Loop Header: Depth=1
	s_load_dwordx2 s[10:11], s[2:3], 0x4
	s_load_dword s9, s[2:3], 0xc
	s_load_dwordx2 s[12:13], s[0:1], 0x0
	v_mov_b32_e32 v2, v1
	s_add_u32 s2, s2, 12
	s_waitcnt lgkmcnt(0)
	v_mul_hi_u32 v1, s11, v3
	v_add_u32_e32 v1, v3, v1
	v_lshrrev_b32_e32 v1, s9, v1
	s_addc_u32 s3, s3, 0
	v_mul_lo_u32 v6, v1, s10
	s_add_u32 s0, s0, 8
	v_sub_u32_e32 v9, v3, v6
	v_mov_b32_e32 v3, v1
	s_addc_u32 s1, s1, 0
	s_add_i32 s8, s8, -1
	v_mad_u64_u32 v[6:7], s[10:11], v9, s13, v[2:3]
	v_mad_u64_u32 v[0:1], s[10:11], v9, s12, v[0:1]
	s_cmp_lg_u32 s8, 0
	v_mov_b32_e32 v1, v6
	s_cbranch_scc1 .LBB15_556
; %bb.557:
	v_mov_b32_e32 v2, v1
.LBB15_558:
	s_mov_b64 s[0:1], 0
.LBB15_559:
	s_andn2_b64 vcc, exec, s[0:1]
	s_cbranch_vccnz .LBB15_562
; %bb.560:
	v_mul_hi_u32 v0, s29, v8
	v_add_u32_e32 v0, v8, v0
	s_waitcnt vmcnt(0)
	v_lshrrev_b32_e32 v1, s30, v0
	v_mul_lo_u32 v0, v1, s28
	v_sub_u32_e32 v0, v8, v0
	v_mul_lo_u32 v2, v0, s37
	s_andn2_b64 vcc, exec, s[46:47]
	v_mul_lo_u32 v0, v0, s36
	s_cbranch_vccnz .LBB15_562
; %bb.561:
	v_mul_hi_u32 v3, s44, v1
	v_add_u32_e32 v3, v1, v3
	v_lshrrev_b32_e32 v3, s45, v3
	v_mul_lo_u32 v3, v3, s31
	v_sub_u32_e32 v3, v1, v3
	v_mad_u64_u32 v[0:1], s[0:1], v3, s38, v[0:1]
	v_mad_u64_u32 v[2:3], s[0:1], v3, s39, v[2:3]
.LBB15_562:
	s_waitcnt vmcnt(0)
	v_mov_b32_e32 v1, s27
	v_add_co_u32_e32 v2, vcc, s26, v2
	v_addc_co_u32_e32 v3, vcc, 0, v1, vcc
	v_cmp_gt_i16_e32 vcc, 11, v5
	s_cbranch_vccnz .LBB15_569
; %bb.563:
	v_cmp_lt_i16_e32 vcc, 25, v5
	s_cbranch_vccz .LBB15_570
; %bb.564:
	v_cmp_lt_i16_e32 vcc, 28, v5
	s_cbranch_vccz .LBB15_571
; %bb.565:
	v_cmp_lt_i16_e32 vcc, 43, v5
	s_cbranch_vccz .LBB15_572
; %bb.566:
	v_cmp_lt_i16_e32 vcc, 45, v5
	s_cbranch_vccz .LBB15_575
; %bb.567:
	v_cmp_eq_u16_e32 vcc, 46, v5
	s_mov_b64 s[8:9], 0
	s_cbranch_vccz .LBB15_578
; %bb.568:
	global_load_dword v1, v[2:3], off
	s_mov_b64 s[0:1], -1
	s_mov_b64 s[2:3], 0
	s_waitcnt vmcnt(0)
	v_lshlrev_b32_e32 v1, 16, v1
	v_cvt_f16_f32_e32 v1, v1
	s_branch .LBB15_579
.LBB15_569:
	s_mov_b64 s[8:9], -1
	s_mov_b64 s[0:1], 0
                                        ; implicit-def: $vgpr1
	s_mov_b64 s[2:3], s[58:59]
	s_branch .LBB15_644
.LBB15_570:
	s_mov_b64 s[8:9], -1
	s_mov_b64 s[0:1], 0
	s_mov_b64 s[2:3], s[58:59]
                                        ; implicit-def: $vgpr1
	s_branch .LBB15_608
.LBB15_571:
	s_mov_b64 s[8:9], -1
	s_mov_b64 s[0:1], 0
	s_mov_b64 s[2:3], s[58:59]
                                        ; implicit-def: $vgpr1
	s_branch .LBB15_589
.LBB15_572:
	s_mov_b64 s[8:9], -1
	s_mov_b64 s[0:1], 0
	s_mov_b64 s[2:3], s[58:59]
                                        ; implicit-def: $vgpr1
	s_branch .LBB15_584
.LBB15_573:
	s_or_saveexec_b64 s[12:13], s[12:13]
                                        ; implicit-def: $sgpr14
	s_xor_b64 exec, exec, s[12:13]
	s_cbranch_execz .LBB15_341
.LBB15_574:
	s_mov_b32 s14, 0x46000000
	v_add_f32_e64 v7, |v6|, s14
	v_and_b32_e32 v7, 0xff, v7
	v_cmp_ne_u32_e32 vcc, 0, v7
	s_andn2_b64 s[10:11], s[10:11], exec
	s_and_b64 s[16:17], vcc, exec
	s_mov_b32 s14, 0
	s_or_b64 s[10:11], s[10:11], s[16:17]
	s_or_b64 exec, exec, s[12:13]
	v_mov_b32_e32 v9, s14
	s_and_saveexec_b64 s[12:13], s[10:11]
	s_cbranch_execnz .LBB15_342
	s_branch .LBB15_343
.LBB15_575:
	s_mov_b64 s[8:9], -1
	s_mov_b64 s[0:1], 0
	s_mov_b64 s[2:3], s[58:59]
                                        ; implicit-def: $vgpr1
	s_branch .LBB15_579
.LBB15_576:
	s_or_saveexec_b64 s[12:13], s[12:13]
                                        ; implicit-def: $sgpr14
	s_xor_b64 exec, exec, s[12:13]
	s_cbranch_execz .LBB15_354
.LBB15_577:
	s_mov_b32 s14, 0x42800000
	v_add_f32_e64 v7, |v6|, s14
	v_and_b32_e32 v7, 0xff, v7
	v_cmp_ne_u32_e32 vcc, 0, v7
	s_andn2_b64 s[10:11], s[10:11], exec
	s_and_b64 s[16:17], vcc, exec
	s_mov_b32 s14, 0
	s_or_b64 s[10:11], s[10:11], s[16:17]
	s_or_b64 exec, exec, s[12:13]
	v_mov_b32_e32 v9, s14
	s_and_saveexec_b64 s[12:13], s[10:11]
	s_cbranch_execnz .LBB15_355
	s_branch .LBB15_356
.LBB15_578:
	s_mov_b64 s[2:3], -1
                                        ; implicit-def: $vgpr1
	s_mov_b64 s[0:1], 0
.LBB15_579:
	s_and_b64 vcc, exec, s[8:9]
	s_cbranch_vccz .LBB15_583
; %bb.580:
	v_cmp_eq_u16_e32 vcc, 44, v5
	s_cbranch_vccz .LBB15_582
; %bb.581:
	global_load_ubyte v1, v[2:3], off
	s_movk_i32 s2, 0xff
	v_mov_b32_e32 v7, 0x7e00
	s_mov_b64 s[0:1], -1
	s_waitcnt vmcnt(0)
	v_lshlrev_b32_e32 v6, 23, v1
	v_cvt_f16_f32_e32 v6, v6
	v_cmp_ne_u32_e32 vcc, s2, v1
	s_mov_b64 s[2:3], 0
	v_cndmask_b32_e32 v6, v7, v6, vcc
	v_cmp_ne_u32_e32 vcc, 0, v1
	v_cndmask_b32_e32 v1, 0, v6, vcc
	s_branch .LBB15_583
.LBB15_582:
	s_mov_b64 s[2:3], -1
                                        ; implicit-def: $vgpr1
.LBB15_583:
	s_mov_b64 s[8:9], 0
.LBB15_584:
	s_and_b64 vcc, exec, s[8:9]
	s_cbranch_vccz .LBB15_588
; %bb.585:
	v_cmp_eq_u16_e32 vcc, 29, v5
	s_cbranch_vccz .LBB15_587
; %bb.586:
	global_load_dwordx2 v[6:7], v[2:3], off
	s_mov_b64 s[0:1], -1
	s_mov_b64 s[2:3], 0
	s_mov_b64 s[8:9], 0
	s_waitcnt vmcnt(0)
	v_ffbh_u32_e32 v1, v7
	v_min_u32_e32 v1, 32, v1
	v_lshlrev_b64 v[6:7], v1, v[6:7]
	v_min_u32_e32 v6, 1, v6
	v_or_b32_e32 v6, v7, v6
	v_cvt_f32_u32_e32 v6, v6
	v_sub_u32_e32 v1, 32, v1
	v_ldexp_f32 v1, v6, v1
	v_cvt_f16_f32_e32 v1, v1
	s_branch .LBB15_589
.LBB15_587:
	s_mov_b64 s[2:3], -1
                                        ; implicit-def: $vgpr1
.LBB15_588:
	s_mov_b64 s[8:9], 0
.LBB15_589:
	s_and_b64 vcc, exec, s[8:9]
	s_cbranch_vccz .LBB15_607
; %bb.590:
	v_cmp_gt_i16_e32 vcc, 27, v5
	s_cbranch_vccnz .LBB15_593
; %bb.591:
	v_cmp_lt_i16_e32 vcc, 27, v5
	s_cbranch_vccz .LBB15_594
; %bb.592:
	global_load_dword v1, v[2:3], off
	s_mov_b64 s[0:1], 0
	s_waitcnt vmcnt(0)
	v_cvt_f32_u32_e32 v1, v1
	v_cvt_f16_f32_e32 v1, v1
	s_branch .LBB15_595
.LBB15_593:
	s_mov_b64 s[0:1], -1
                                        ; implicit-def: $vgpr1
	s_branch .LBB15_598
.LBB15_594:
	s_mov_b64 s[0:1], -1
                                        ; implicit-def: $vgpr1
.LBB15_595:
	s_andn2_b64 vcc, exec, s[0:1]
	s_cbranch_vccnz .LBB15_597
; %bb.596:
	global_load_ushort v1, v[2:3], off
	s_waitcnt vmcnt(0)
	v_cvt_f16_u16_e32 v1, v1
.LBB15_597:
	s_mov_b64 s[0:1], 0
.LBB15_598:
	s_andn2_b64 vcc, exec, s[0:1]
	s_cbranch_vccnz .LBB15_606
; %bb.599:
	global_load_ubyte v6, v[2:3], off
	s_movk_i32 s0, 0x7f
                                        ; implicit-def: $sgpr12
	s_waitcnt vmcnt(0)
	v_cmp_lt_i16_e32 vcc, s0, v6
	s_mov_b64 s[0:1], 0
	s_and_saveexec_b64 s[8:9], vcc
	s_xor_b64 s[8:9], exec, s[8:9]
	s_cbranch_execz .LBB15_620
; %bb.600:
	s_movk_i32 s0, 0x80
	v_cmp_eq_u16_e32 vcc, s0, v6
	s_mov_b64 s[0:1], -1
                                        ; implicit-def: $sgpr12
	s_and_saveexec_b64 s[10:11], vcc
; %bb.601:
	s_movk_i32 s12, 0x7e00
	s_xor_b64 s[0:1], exec, -1
; %bb.602:
	s_or_b64 exec, exec, s[10:11]
	s_and_b64 s[0:1], s[0:1], exec
	s_or_saveexec_b64 s[8:9], s[8:9]
	v_mov_b32_e32 v1, s12
	s_xor_b64 exec, exec, s[8:9]
	s_cbranch_execnz .LBB15_621
.LBB15_603:
	s_or_b64 exec, exec, s[8:9]
	s_and_saveexec_b64 s[8:9], s[0:1]
	s_cbranch_execz .LBB15_605
.LBB15_604:
	v_lshlrev_b32_e32 v1, 24, v6
	v_and_b32_e32 v6, 0xffff, v6
	v_and_b32_e32 v7, 7, v6
	v_ffbh_u32_e32 v10, v7
	v_min_u32_e32 v10, 32, v10
	v_subrev_u32_e32 v11, 28, v10
	v_bfe_u32 v9, v6, 3, 4
	v_lshlrev_b32_e32 v6, v11, v6
	v_sub_u32_e32 v10, 29, v10
	v_and_b32_e32 v6, 7, v6
	v_cmp_eq_u32_e32 vcc, 0, v9
	v_cndmask_b32_e32 v9, v9, v10, vcc
	v_cndmask_b32_e32 v6, v7, v6, vcc
	v_mov_b32_e32 v7, 0x3b800000
	v_lshlrev_b32_e32 v6, 20, v6
	v_and_b32_e32 v1, 0x80000000, v1
	v_lshl_add_u32 v7, v9, 23, v7
	v_or3_b32 v1, v1, v7, v6
	v_cvt_f16_f32_e32 v1, v1
.LBB15_605:
	s_or_b64 exec, exec, s[8:9]
.LBB15_606:
	s_mov_b64 s[0:1], -1
.LBB15_607:
	s_mov_b64 s[8:9], 0
.LBB15_608:
	s_and_b64 vcc, exec, s[8:9]
	s_cbranch_vccz .LBB15_643
; %bb.609:
	v_cmp_lt_i16_e32 vcc, 22, v5
	s_cbranch_vccz .LBB15_619
; %bb.610:
	v_cmp_gt_i16_e32 vcc, 24, v5
	s_cbranch_vccnz .LBB15_622
; %bb.611:
	v_cmp_lt_i16_e32 vcc, 24, v5
	s_cbranch_vccz .LBB15_623
; %bb.612:
	global_load_ubyte v6, v[2:3], off
	s_movk_i32 s0, 0x7f
                                        ; implicit-def: $sgpr12
	s_waitcnt vmcnt(0)
	v_cmp_lt_i16_e32 vcc, s0, v6
	s_mov_b64 s[0:1], 0
	s_and_saveexec_b64 s[8:9], vcc
	s_xor_b64 s[8:9], exec, s[8:9]
	s_cbranch_execz .LBB15_635
; %bb.613:
	s_movk_i32 s0, 0x80
	v_cmp_eq_u16_e32 vcc, s0, v6
	s_mov_b64 s[0:1], -1
                                        ; implicit-def: $sgpr12
	s_and_saveexec_b64 s[10:11], vcc
; %bb.614:
	s_movk_i32 s12, 0x7e00
	s_xor_b64 s[0:1], exec, -1
; %bb.615:
	s_or_b64 exec, exec, s[10:11]
	s_and_b64 s[0:1], s[0:1], exec
	s_or_saveexec_b64 s[8:9], s[8:9]
	v_mov_b32_e32 v1, s12
	s_xor_b64 exec, exec, s[8:9]
	s_cbranch_execnz .LBB15_636
.LBB15_616:
	s_or_b64 exec, exec, s[8:9]
	s_and_saveexec_b64 s[8:9], s[0:1]
	s_cbranch_execz .LBB15_618
.LBB15_617:
	v_lshlrev_b32_e32 v1, 24, v6
	v_and_b32_e32 v6, 0xffff, v6
	v_and_b32_e32 v7, 3, v6
	v_ffbh_u32_e32 v10, v7
	v_min_u32_e32 v10, 32, v10
	v_subrev_u32_e32 v11, 29, v10
	v_bfe_u32 v9, v6, 2, 5
	v_lshlrev_b32_e32 v6, v11, v6
	v_sub_u32_e32 v10, 30, v10
	v_and_b32_e32 v6, 3, v6
	v_cmp_eq_u32_e32 vcc, 0, v9
	v_cndmask_b32_e32 v9, v9, v10, vcc
	v_cndmask_b32_e32 v6, v7, v6, vcc
	v_mov_b32_e32 v7, 0x37800000
	v_lshlrev_b32_e32 v6, 21, v6
	v_and_b32_e32 v1, 0x80000000, v1
	v_lshl_add_u32 v7, v9, 23, v7
	v_or3_b32 v1, v1, v7, v6
	v_cvt_f16_f32_e32 v1, v1
.LBB15_618:
	s_or_b64 exec, exec, s[8:9]
	s_mov_b64 s[0:1], 0
	s_branch .LBB15_624
.LBB15_619:
	s_mov_b64 s[8:9], -1
                                        ; implicit-def: $vgpr1
	s_branch .LBB15_630
.LBB15_620:
	s_or_saveexec_b64 s[8:9], s[8:9]
	v_mov_b32_e32 v1, s12
	s_xor_b64 exec, exec, s[8:9]
	s_cbranch_execz .LBB15_603
.LBB15_621:
	v_cmp_ne_u16_e32 vcc, 0, v6
	s_andn2_b64 s[0:1], s[0:1], exec
	s_and_b64 s[10:11], vcc, exec
	s_or_b64 s[0:1], s[0:1], s[10:11]
	v_mov_b32_e32 v1, v6
	s_or_b64 exec, exec, s[8:9]
	s_and_saveexec_b64 s[8:9], s[0:1]
	s_cbranch_execnz .LBB15_604
	s_branch .LBB15_605
.LBB15_622:
	s_mov_b64 s[0:1], -1
                                        ; implicit-def: $vgpr1
	s_branch .LBB15_627
.LBB15_623:
	s_mov_b64 s[0:1], -1
                                        ; implicit-def: $vgpr1
.LBB15_624:
	s_and_b64 vcc, exec, s[0:1]
	s_cbranch_vccz .LBB15_626
; %bb.625:
	global_load_ubyte v1, v[2:3], off
	s_mov_b32 s0, 0x7f800000
	s_waitcnt vmcnt(0)
	v_lshlrev_b32_e32 v1, 24, v1
	v_and_b32_e32 v6, 0x7f000000, v1
	v_ffbh_u32_e32 v7, v6
	v_min_u32_e32 v7, 32, v7
	v_sub_u32_e64 v7, v7, 4 clamp
	v_lshlrev_b32_e32 v10, v7, v6
	v_lshlrev_b32_e32 v7, 23, v7
	v_lshrrev_b32_e32 v10, 4, v10
	v_add_u32_e32 v9, 0x1000000, v6
	v_sub_u32_e32 v7, v10, v7
	v_ashrrev_i32_e32 v9, 8, v9
	v_add_u32_e32 v7, 0x3c000000, v7
	v_and_or_b32 v7, v9, s0, v7
	v_cmp_ne_u32_e32 vcc, 0, v6
	v_cndmask_b32_e32 v6, 0, v7, vcc
	s_brev_b32 s0, 1
	v_and_or_b32 v1, v1, s0, v6
	v_cvt_f16_f32_e32 v1, v1
.LBB15_626:
	s_mov_b64 s[0:1], 0
.LBB15_627:
	s_andn2_b64 vcc, exec, s[0:1]
	s_cbranch_vccnz .LBB15_629
; %bb.628:
	global_load_ubyte v1, v[2:3], off
	s_movk_i32 s0, 0x7f00
	s_brev_b32 s1, 16
	s_waitcnt vmcnt(0)
	v_lshlrev_b16_e32 v6, 8, v1
	v_lshlrev_b32_e32 v1, 25, v1
	v_lshrrev_b32_e32 v7, 4, v1
	v_and_or_b32 v9, v6, s0, 0.5
	v_or_b32_e32 v7, 0x70000000, v7
	v_add_f32_e32 v9, -0.5, v9
	v_mul_f32_e32 v7, 0x7800000, v7
	v_cmp_gt_u32_e32 vcc, s1, v1
	v_bfe_i32 v6, v6, 0, 16
	v_cndmask_b32_e32 v1, v7, v9, vcc
	s_brev_b32 s0, 1
	v_and_or_b32 v1, v6, s0, v1
	v_cvt_f16_f32_e32 v1, v1
.LBB15_629:
	s_mov_b64 s[8:9], 0
	s_mov_b64 s[0:1], -1
.LBB15_630:
	s_andn2_b64 vcc, exec, s[8:9]
	s_cbranch_vccnz .LBB15_643
; %bb.631:
	v_cmp_lt_i16_e32 vcc, 14, v5
	s_cbranch_vccz .LBB15_634
; %bb.632:
	v_cmp_eq_u16_e32 vcc, 15, v5
	s_cbranch_vccz .LBB15_637
; %bb.633:
	global_load_ushort v1, v[2:3], off
	s_mov_b64 s[0:1], -1
	s_mov_b64 s[2:3], 0
	s_waitcnt vmcnt(0)
	v_lshlrev_b32_e32 v1, 16, v1
	v_cvt_f16_f32_e32 v1, v1
	s_branch .LBB15_638
.LBB15_634:
	s_mov_b64 s[8:9], -1
                                        ; implicit-def: $vgpr1
	s_branch .LBB15_639
.LBB15_635:
	s_or_saveexec_b64 s[8:9], s[8:9]
	v_mov_b32_e32 v1, s12
	s_xor_b64 exec, exec, s[8:9]
	s_cbranch_execz .LBB15_616
.LBB15_636:
	v_cmp_ne_u16_e32 vcc, 0, v6
	s_andn2_b64 s[0:1], s[0:1], exec
	s_and_b64 s[10:11], vcc, exec
	s_or_b64 s[0:1], s[0:1], s[10:11]
	v_mov_b32_e32 v1, v6
	s_or_b64 exec, exec, s[8:9]
	s_and_saveexec_b64 s[8:9], s[0:1]
	s_cbranch_execnz .LBB15_617
	s_branch .LBB15_618
.LBB15_637:
	s_mov_b64 s[2:3], -1
                                        ; implicit-def: $vgpr1
.LBB15_638:
	s_mov_b64 s[8:9], 0
.LBB15_639:
	s_and_b64 vcc, exec, s[8:9]
	s_cbranch_vccz .LBB15_643
; %bb.640:
	v_cmp_eq_u16_e32 vcc, 11, v5
	s_cbranch_vccz .LBB15_642
; %bb.641:
	global_load_ubyte v1, v[2:3], off
	v_mov_b32_e32 v6, 0x3c00
	s_mov_b64 s[0:1], -1
	s_mov_b64 s[2:3], 0
	s_waitcnt vmcnt(0)
	v_cmp_ne_u16_e32 vcc, 0, v1
	v_cndmask_b32_e32 v1, 0, v6, vcc
	s_branch .LBB15_643
.LBB15_642:
	s_mov_b64 s[2:3], -1
                                        ; implicit-def: $vgpr1
.LBB15_643:
	s_mov_b64 s[8:9], 0
.LBB15_644:
	s_and_b64 vcc, exec, s[8:9]
	s_cbranch_vccz .LBB15_693
; %bb.645:
	v_cmp_gt_i16_e32 vcc, 5, v5
	s_cbranch_vccnz .LBB15_650
; %bb.646:
	v_cmp_gt_i16_e32 vcc, 8, v5
	s_cbranch_vccnz .LBB15_651
	;; [unrolled: 3-line block ×3, first 2 shown]
; %bb.648:
	v_cmp_lt_i16_e32 vcc, 9, v5
	s_cbranch_vccz .LBB15_653
; %bb.649:
	global_load_dwordx2 v[6:7], v[2:3], off
	s_mov_b64 s[0:1], 0
	s_waitcnt vmcnt(0)
	v_cvt_f32_f64_e32 v1, v[6:7]
	v_cvt_f16_f32_e32 v1, v1
	s_branch .LBB15_654
.LBB15_650:
	s_mov_b64 s[0:1], -1
                                        ; implicit-def: $vgpr1
	s_branch .LBB15_672
.LBB15_651:
	s_mov_b64 s[0:1], -1
                                        ; implicit-def: $vgpr1
	s_branch .LBB15_660
.LBB15_652:
	s_mov_b64 s[0:1], -1
                                        ; implicit-def: $vgpr1
	s_branch .LBB15_657
.LBB15_653:
	s_mov_b64 s[0:1], -1
                                        ; implicit-def: $vgpr1
.LBB15_654:
	s_andn2_b64 vcc, exec, s[0:1]
	s_cbranch_vccnz .LBB15_656
; %bb.655:
	global_load_dword v1, v[2:3], off
	s_waitcnt vmcnt(0)
	v_cvt_f16_f32_e32 v1, v1
.LBB15_656:
	s_mov_b64 s[0:1], 0
.LBB15_657:
	s_andn2_b64 vcc, exec, s[0:1]
	s_cbranch_vccnz .LBB15_659
; %bb.658:
	global_load_dword v1, v[2:3], off
.LBB15_659:
	s_mov_b64 s[0:1], 0
.LBB15_660:
	s_andn2_b64 vcc, exec, s[0:1]
	s_cbranch_vccnz .LBB15_671
; %bb.661:
	v_cmp_gt_i16_e32 vcc, 6, v5
	s_cbranch_vccnz .LBB15_664
; %bb.662:
	v_cmp_lt_i16_e32 vcc, 6, v5
	s_cbranch_vccz .LBB15_665
; %bb.663:
	global_load_dwordx2 v[6:7], v[2:3], off
	s_mov_b64 s[0:1], 0
	s_waitcnt vmcnt(0)
	v_cvt_f32_f64_e32 v1, v[6:7]
	v_cvt_f16_f32_e32 v1, v1
	s_branch .LBB15_666
.LBB15_664:
	s_mov_b64 s[0:1], -1
                                        ; implicit-def: $vgpr1
	s_branch .LBB15_669
.LBB15_665:
	s_mov_b64 s[0:1], -1
                                        ; implicit-def: $vgpr1
.LBB15_666:
	s_andn2_b64 vcc, exec, s[0:1]
	s_cbranch_vccnz .LBB15_668
; %bb.667:
	global_load_dword v1, v[2:3], off
	s_waitcnt vmcnt(0)
	v_cvt_f16_f32_e32 v1, v1
.LBB15_668:
	s_mov_b64 s[0:1], 0
.LBB15_669:
	s_andn2_b64 vcc, exec, s[0:1]
	s_cbranch_vccnz .LBB15_671
; %bb.670:
	global_load_ushort v1, v[2:3], off
.LBB15_671:
	s_mov_b64 s[0:1], 0
.LBB15_672:
	s_andn2_b64 vcc, exec, s[0:1]
	s_cbranch_vccnz .LBB15_692
; %bb.673:
	v_cmp_gt_i16_e32 vcc, 2, v5
	s_cbranch_vccnz .LBB15_677
; %bb.674:
	v_cmp_gt_i16_e32 vcc, 3, v5
	s_cbranch_vccnz .LBB15_678
; %bb.675:
	v_cmp_lt_i16_e32 vcc, 3, v5
	s_cbranch_vccz .LBB15_679
; %bb.676:
	global_load_dwordx2 v[6:7], v[2:3], off
	s_mov_b64 s[0:1], 0
	s_waitcnt vmcnt(0)
	v_xor_b32_e32 v9, v6, v7
	v_ffbh_i32_e32 v1, v7
	v_ashrrev_i32_e32 v9, 31, v9
	v_add_u32_e32 v1, -1, v1
	v_add_u32_e32 v9, 32, v9
	v_min_u32_e32 v1, v1, v9
	v_lshlrev_b64 v[6:7], v1, v[6:7]
	v_min_u32_e32 v6, 1, v6
	v_or_b32_e32 v6, v7, v6
	v_cvt_f32_i32_e32 v6, v6
	v_sub_u32_e32 v1, 32, v1
	v_ldexp_f32 v1, v6, v1
	v_cvt_f16_f32_e32 v1, v1
	s_branch .LBB15_680
.LBB15_677:
	s_mov_b64 s[0:1], -1
                                        ; implicit-def: $vgpr1
	s_branch .LBB15_686
.LBB15_678:
	s_mov_b64 s[0:1], -1
                                        ; implicit-def: $vgpr1
	s_branch .LBB15_683
.LBB15_679:
	s_mov_b64 s[0:1], -1
                                        ; implicit-def: $vgpr1
.LBB15_680:
	s_andn2_b64 vcc, exec, s[0:1]
	s_cbranch_vccnz .LBB15_682
; %bb.681:
	global_load_dword v1, v[2:3], off
	s_waitcnt vmcnt(0)
	v_cvt_f32_i32_e32 v1, v1
	v_cvt_f16_f32_e32 v1, v1
.LBB15_682:
	s_mov_b64 s[0:1], 0
.LBB15_683:
	s_andn2_b64 vcc, exec, s[0:1]
	s_cbranch_vccnz .LBB15_685
; %bb.684:
	global_load_ushort v1, v[2:3], off
	s_waitcnt vmcnt(0)
	v_cvt_f16_i16_e32 v1, v1
.LBB15_685:
	s_mov_b64 s[0:1], 0
.LBB15_686:
	s_andn2_b64 vcc, exec, s[0:1]
	s_cbranch_vccnz .LBB15_692
; %bb.687:
	v_cmp_lt_i16_e32 vcc, 0, v5
	s_cbranch_vccz .LBB15_689
; %bb.688:
	global_load_sbyte v1, v[2:3], off
	s_mov_b64 s[0:1], 0
	s_waitcnt vmcnt(0)
	v_cvt_f16_i16_e32 v1, v1
	s_branch .LBB15_690
.LBB15_689:
	s_mov_b64 s[0:1], -1
                                        ; implicit-def: $vgpr1
.LBB15_690:
	s_andn2_b64 vcc, exec, s[0:1]
	s_cbranch_vccnz .LBB15_692
; %bb.691:
	global_load_ubyte v1, v[2:3], off
	s_waitcnt vmcnt(0)
	v_cvt_f16_u16_e32 v1, v1
.LBB15_692:
	s_mov_b64 s[0:1], -1
.LBB15_693:
	s_andn2_b64 vcc, exec, s[0:1]
	s_cbranch_vccnz .LBB15_701
; %bb.694:
	s_waitcnt vmcnt(0)
	v_and_b32_e32 v3, 0x7fff, v1
	v_mov_b32_e32 v1, s25
	v_add_co_u32_e32 v0, vcc, s24, v0
	v_mov_b32_e32 v6, 11
	v_addc_co_u32_e32 v1, vcc, 0, v1, vcc
	v_cmp_lt_i16_sdwa s[0:1], s75, v6 src0_sel:BYTE_0 src1_sel:DWORD
	v_or_b32_e32 v2, v3, v4
	s_and_b64 vcc, exec, s[0:1]
	s_cbranch_vccnz .LBB15_702
; %bb.695:
	v_mov_b32_e32 v6, 25
	v_cmp_gt_i16_sdwa s[0:1], s75, v6 src0_sel:BYTE_0 src1_sel:DWORD
	s_and_b64 vcc, exec, s[0:1]
	s_cbranch_vccz .LBB15_703
; %bb.696:
	v_mov_b32_e32 v6, 28
	v_cmp_gt_i16_sdwa s[0:1], s75, v6 src0_sel:BYTE_0 src1_sel:DWORD
	s_and_b64 vcc, exec, s[0:1]
	s_cbranch_vccz .LBB15_704
	;; [unrolled: 5-line block ×4, first 2 shown]
; %bb.699:
	v_mov_b32_e32 v6, 46
	v_cmp_eq_u16_sdwa s[8:9], s75, v6 src0_sel:BYTE_0 src1_sel:DWORD
	s_mov_b64 s[10:11], 0
	s_mov_b64 s[0:1], -1
	s_and_b64 vcc, exec, s[8:9]
	s_mov_b64 s[8:9], 0
	s_cbranch_vccz .LBB15_707
; %bb.700:
	v_cvt_f32_f16_e32 v6, v2
	s_movk_i32 s0, 0x7fff
	v_mov_b32_e32 v7, 0x7fc0
	v_cmp_o_f16_e32 vcc, v2, v2
	v_bfe_u32 v9, v6, 16, 1
	v_add3_u32 v6, v6, v9, s0
	v_lshrrev_b32_e32 v6, 16, v6
	v_cndmask_b32_e32 v6, v7, v6, vcc
	global_store_dword v[0:1], v6, off
	s_mov_b64 s[8:9], -1
	s_mov_b64 s[0:1], 0
	s_branch .LBB15_707
.LBB15_701:
	s_mov_b64 s[8:9], 0
	s_mov_b64 s[0:1], s[60:61]
	s_branch .LBB15_818
.LBB15_702:
	s_mov_b64 s[10:11], -1
	s_mov_b64 s[8:9], 0
	s_mov_b64 s[0:1], s[60:61]
	s_branch .LBB15_776
.LBB15_703:
	s_mov_b64 s[10:11], -1
	s_mov_b64 s[8:9], 0
	s_mov_b64 s[0:1], s[60:61]
	s_branch .LBB15_734
.LBB15_704:
	s_mov_b64 s[10:11], -1
	s_mov_b64 s[8:9], 0
	s_mov_b64 s[0:1], s[60:61]
	s_branch .LBB15_717
.LBB15_705:
	s_mov_b64 s[10:11], -1
	s_mov_b64 s[8:9], 0
	s_mov_b64 s[0:1], s[60:61]
	s_branch .LBB15_713
.LBB15_706:
	s_mov_b64 s[10:11], -1
	s_mov_b64 s[8:9], 0
	s_mov_b64 s[0:1], s[60:61]
.LBB15_707:
	s_and_b64 vcc, exec, s[10:11]
	s_cbranch_vccz .LBB15_712
; %bb.708:
	v_mov_b32_e32 v6, 44
	v_cmp_eq_u16_sdwa s[10:11], s75, v6 src0_sel:BYTE_0 src1_sel:DWORD
	s_mov_b64 s[0:1], -1
	s_and_b64 vcc, exec, s[10:11]
	s_cbranch_vccz .LBB15_712
; %bb.709:
	v_cvt_f32_f16_e32 v6, v2
	s_movk_i32 s0, 0xff
	v_mov_b32_e32 v9, 0xff
	v_bfe_u32 v7, v6, 23, 8
	v_cmp_ne_u32_e32 vcc, s0, v7
	s_and_saveexec_b64 s[8:9], vcc
; %bb.710:
	s_mov_b32 s0, 0x3fffff
	v_lshrrev_b32_e32 v9, 23, v6
	v_and_b32_e32 v10, 0x400000, v6
	v_and_or_b32 v6, v6, s0, v7
	v_cmp_ne_u32_e32 vcc, 0, v10
	v_cmp_ne_u32_e64 s[0:1], 0, v6
	s_and_b64 s[0:1], vcc, s[0:1]
	v_cndmask_b32_e64 v6, 0, 1, s[0:1]
	v_add_u32_e32 v9, v9, v6
; %bb.711:
	s_or_b64 exec, exec, s[8:9]
	s_mov_b64 s[8:9], -1
	s_mov_b64 s[0:1], 0
	global_store_byte v[0:1], v9, off
.LBB15_712:
	s_mov_b64 s[10:11], 0
.LBB15_713:
	s_and_b64 vcc, exec, s[10:11]
	s_cbranch_vccz .LBB15_716
; %bb.714:
	v_mov_b32_e32 v6, 29
	v_cmp_eq_u16_sdwa s[10:11], s75, v6 src0_sel:BYTE_0 src1_sel:DWORD
	s_mov_b64 s[0:1], -1
	s_and_b64 vcc, exec, s[10:11]
	s_cbranch_vccz .LBB15_716
; %bb.715:
	v_cvt_f32_f16_e32 v6, v2
	v_mov_b32_e32 v7, 0
	s_mov_b64 s[8:9], -1
	s_mov_b64 s[0:1], 0
	v_cvt_u32_f32_e32 v6, v6
	s_mov_b64 s[10:11], 0
	global_store_dwordx2 v[0:1], v[6:7], off
	s_branch .LBB15_717
.LBB15_716:
	s_mov_b64 s[10:11], 0
.LBB15_717:
	s_and_b64 vcc, exec, s[10:11]
	s_cbranch_vccz .LBB15_733
; %bb.718:
	v_mov_b32_e32 v6, 27
	v_cmp_lt_i16_sdwa s[10:11], s75, v6 src0_sel:BYTE_0 src1_sel:DWORD
	s_mov_b64 s[8:9], -1
	s_and_b64 vcc, exec, s[10:11]
	s_cbranch_vccnz .LBB15_724
; %bb.719:
	v_cmp_gt_i16_sdwa s[10:11], s75, v6 src0_sel:BYTE_0 src1_sel:DWORD
	s_and_b64 vcc, exec, s[10:11]
	s_cbranch_vccz .LBB15_721
; %bb.720:
	v_cvt_f32_f16_e32 v6, v2
	s_mov_b64 s[8:9], 0
	v_cvt_u32_f32_e32 v6, v6
	global_store_dword v[0:1], v6, off
.LBB15_721:
	s_andn2_b64 vcc, exec, s[8:9]
	s_cbranch_vccnz .LBB15_723
; %bb.722:
	v_cvt_u16_f16_e32 v6, v2
	global_store_short v[0:1], v6, off
.LBB15_723:
	s_mov_b64 s[8:9], 0
.LBB15_724:
	s_andn2_b64 vcc, exec, s[8:9]
	s_cbranch_vccnz .LBB15_732
; %bb.725:
	v_cvt_f32_f16_e32 v6, v2
	s_mov_b32 s8, 0x43800000
	v_mov_b32_e32 v9, 0x80
	v_and_b32_e32 v7, 0x7fffffff, v6
	v_cmp_gt_u32_e32 vcc, s8, v7
	s_and_saveexec_b64 s[8:9], vcc
	s_cbranch_execz .LBB15_731
; %bb.726:
	s_mov_b32 s10, 0x3bffffff
	v_cmp_lt_u32_e32 vcc, s10, v7
	s_mov_b64 s[10:11], 0
                                        ; implicit-def: $vgpr7
	s_and_saveexec_b64 s[12:13], vcc
	s_xor_b64 s[12:13], exec, s[12:13]
	s_cbranch_execz .LBB15_849
; %bb.727:
	v_bfe_u32 v7, v6, 20, 1
	s_mov_b32 s14, 0x487ffff
	v_add3_u32 v7, v6, v7, s14
	s_mov_b64 s[10:11], exec
	v_lshrrev_b32_e32 v7, 20, v7
	s_or_saveexec_b64 s[12:13], s[12:13]
                                        ; implicit-def: $sgpr14
	s_xor_b64 exec, exec, s[12:13]
	s_cbranch_execnz .LBB15_850
.LBB15_728:
	s_or_b64 exec, exec, s[12:13]
	v_mov_b32_e32 v9, s14
	s_and_saveexec_b64 s[12:13], s[10:11]
.LBB15_729:
	v_lshrrev_b32_e32 v6, 24, v6
	s_movk_i32 s10, 0x80
	v_and_or_b32 v9, v6, s10, v7
.LBB15_730:
	s_or_b64 exec, exec, s[12:13]
.LBB15_731:
	s_or_b64 exec, exec, s[8:9]
	global_store_byte v[0:1], v9, off
.LBB15_732:
	s_mov_b64 s[8:9], -1
.LBB15_733:
	s_mov_b64 s[10:11], 0
.LBB15_734:
	s_and_b64 vcc, exec, s[10:11]
	s_cbranch_vccz .LBB15_775
; %bb.735:
	v_mov_b32_e32 v6, 22
	v_cmp_gt_i16_sdwa s[12:13], s75, v6 src0_sel:BYTE_0 src1_sel:DWORD
	s_mov_b64 s[10:11], -1
	s_and_b64 vcc, exec, s[12:13]
	s_cbranch_vccz .LBB15_767
; %bb.736:
	v_mov_b32_e32 v6, 24
	v_cmp_lt_i16_sdwa s[10:11], s75, v6 src0_sel:BYTE_0 src1_sel:DWORD
	s_mov_b64 s[8:9], -1
	s_and_b64 vcc, exec, s[10:11]
	s_cbranch_vccnz .LBB15_756
; %bb.737:
	v_cmp_gt_i16_sdwa s[10:11], s75, v6 src0_sel:BYTE_0 src1_sel:DWORD
	s_and_b64 vcc, exec, s[10:11]
	s_cbranch_vccz .LBB15_745
; %bb.738:
	v_cvt_f32_f16_e32 v6, v2
	s_mov_b32 s8, 0x47800000
	v_mov_b32_e32 v9, 0x80
	v_and_b32_e32 v7, 0x7fffffff, v6
	v_cmp_gt_u32_e32 vcc, s8, v7
	s_and_saveexec_b64 s[8:9], vcc
	s_cbranch_execz .LBB15_744
; %bb.739:
	s_mov_b32 s10, 0x37ffffff
	v_cmp_lt_u32_e32 vcc, s10, v7
	s_mov_b64 s[10:11], 0
                                        ; implicit-def: $vgpr7
	s_and_saveexec_b64 s[12:13], vcc
	s_xor_b64 s[12:13], exec, s[12:13]
	s_cbranch_execz .LBB15_852
; %bb.740:
	v_bfe_u32 v7, v6, 21, 1
	s_mov_b32 s14, 0x88fffff
	v_add3_u32 v7, v6, v7, s14
	s_mov_b64 s[10:11], exec
	v_lshrrev_b32_e32 v7, 21, v7
	s_or_saveexec_b64 s[12:13], s[12:13]
                                        ; implicit-def: $sgpr14
	s_xor_b64 exec, exec, s[12:13]
	s_cbranch_execnz .LBB15_853
.LBB15_741:
	s_or_b64 exec, exec, s[12:13]
	v_mov_b32_e32 v9, s14
	s_and_saveexec_b64 s[12:13], s[10:11]
.LBB15_742:
	v_lshrrev_b32_e32 v6, 24, v6
	s_movk_i32 s10, 0x80
	v_and_or_b32 v9, v6, s10, v7
.LBB15_743:
	s_or_b64 exec, exec, s[12:13]
.LBB15_744:
	s_or_b64 exec, exec, s[8:9]
	s_mov_b64 s[8:9], 0
	global_store_byte v[0:1], v9, off
.LBB15_745:
	s_and_b64 vcc, exec, s[8:9]
	s_cbranch_vccz .LBB15_755
; %bb.746:
	v_cvt_f32_f16_e32 v6, v2
	s_mov_b32 s8, 0x43f00000
                                        ; implicit-def: $vgpr7
	v_and_b32_e32 v9, 0x7fffffff, v6
	v_cmp_gt_u32_e32 vcc, s8, v9
	s_and_saveexec_b64 s[8:9], vcc
	s_xor_b64 s[8:9], exec, s[8:9]
	s_cbranch_execz .LBB15_752
; %bb.747:
	s_mov_b32 s10, 0x3c7fffff
	v_cmp_lt_u32_e32 vcc, s10, v9
                                        ; implicit-def: $vgpr7
	s_and_saveexec_b64 s[10:11], vcc
	s_xor_b64 s[10:11], exec, s[10:11]
; %bb.748:
	v_bfe_u32 v7, v6, 20, 1
	s_mov_b32 s12, 0x407ffff
	v_add3_u32 v7, v6, v7, s12
	v_lshrrev_b32_e32 v9, 20, v7
	v_and_b32_e32 v7, 0xff00000, v7
	s_mov_b32 s12, 0x7f00000
	v_mov_b32_e32 v10, 0x7e
	v_cmp_ne_u32_e32 vcc, s12, v7
	v_cndmask_b32_e32 v7, v10, v9, vcc
; %bb.749:
	s_andn2_saveexec_b64 s[10:11], s[10:11]
; %bb.750:
	s_mov_b32 s12, 0x46800000
	v_add_f32_e64 v7, |v6|, s12
; %bb.751:
	s_or_b64 exec, exec, s[10:11]
                                        ; implicit-def: $vgpr9
.LBB15_752:
	s_andn2_saveexec_b64 s[8:9], s[8:9]
; %bb.753:
	s_mov_b32 s10, 0x7f800000
	v_mov_b32_e32 v7, 0x7e
	v_mov_b32_e32 v10, 0x7f
	v_cmp_lt_u32_e32 vcc, s10, v9
	v_cndmask_b32_e32 v7, v7, v10, vcc
; %bb.754:
	s_or_b64 exec, exec, s[8:9]
	v_lshrrev_b32_e32 v6, 24, v6
	s_movk_i32 s8, 0x80
	v_and_or_b32 v6, v6, s8, v7
	global_store_byte v[0:1], v6, off
.LBB15_755:
	s_mov_b64 s[8:9], 0
.LBB15_756:
	s_andn2_b64 vcc, exec, s[8:9]
	s_cbranch_vccnz .LBB15_766
; %bb.757:
	v_cvt_f32_f16_e32 v6, v2
	s_mov_b32 s8, 0x47800000
                                        ; implicit-def: $vgpr7
	v_and_b32_e32 v9, 0x7fffffff, v6
	v_cmp_gt_u32_e32 vcc, s8, v9
	s_and_saveexec_b64 s[8:9], vcc
	s_xor_b64 s[8:9], exec, s[8:9]
	s_cbranch_execz .LBB15_763
; %bb.758:
	s_mov_b32 s10, 0x387fffff
	v_cmp_lt_u32_e32 vcc, s10, v9
                                        ; implicit-def: $vgpr7
	s_and_saveexec_b64 s[10:11], vcc
	s_xor_b64 s[10:11], exec, s[10:11]
; %bb.759:
	v_bfe_u32 v7, v6, 21, 1
	s_mov_b32 s12, 0x80fffff
	v_add3_u32 v7, v6, v7, s12
	v_lshrrev_b32_e32 v7, 21, v7
; %bb.760:
	s_andn2_saveexec_b64 s[10:11], s[10:11]
; %bb.761:
	s_mov_b32 s12, 0x43000000
	v_add_f32_e64 v7, |v6|, s12
; %bb.762:
	s_or_b64 exec, exec, s[10:11]
                                        ; implicit-def: $vgpr9
.LBB15_763:
	s_andn2_saveexec_b64 s[8:9], s[8:9]
; %bb.764:
	s_mov_b32 s10, 0x7f800000
	v_mov_b32_e32 v7, 0x7c
	v_mov_b32_e32 v10, 0x7f
	v_cmp_lt_u32_e32 vcc, s10, v9
	v_cndmask_b32_e32 v7, v7, v10, vcc
; %bb.765:
	s_or_b64 exec, exec, s[8:9]
	v_lshrrev_b32_e32 v6, 24, v6
	s_movk_i32 s8, 0x80
	v_and_or_b32 v6, v6, s8, v7
	global_store_byte v[0:1], v6, off
.LBB15_766:
	s_mov_b64 s[10:11], 0
	s_mov_b64 s[8:9], -1
.LBB15_767:
	s_andn2_b64 vcc, exec, s[10:11]
	s_cbranch_vccnz .LBB15_775
; %bb.768:
	v_mov_b32_e32 v6, 14
	v_cmp_gt_i16_sdwa s[12:13], s75, v6 src0_sel:BYTE_0 src1_sel:DWORD
	s_mov_b64 s[10:11], -1
	s_and_b64 vcc, exec, s[12:13]
	s_cbranch_vccz .LBB15_772
; %bb.769:
	v_mov_b32_e32 v6, 15
	v_cmp_eq_u16_sdwa s[10:11], s75, v6 src0_sel:BYTE_0 src1_sel:DWORD
	s_mov_b64 s[0:1], -1
	s_and_b64 vcc, exec, s[10:11]
	s_cbranch_vccz .LBB15_771
; %bb.770:
	v_cvt_f32_f16_e32 v6, v2
	s_movk_i32 s0, 0x7fff
	v_mov_b32_e32 v7, 0x7fc0
	v_cmp_o_f16_e32 vcc, v2, v2
	v_bfe_u32 v9, v6, 16, 1
	v_add3_u32 v6, v6, v9, s0
	v_lshrrev_b32_e32 v6, 16, v6
	v_cndmask_b32_e32 v6, v7, v6, vcc
	global_store_short v[0:1], v6, off
	s_mov_b64 s[8:9], -1
	s_mov_b64 s[0:1], 0
.LBB15_771:
	s_mov_b64 s[10:11], 0
.LBB15_772:
	s_and_b64 vcc, exec, s[10:11]
	s_cbranch_vccz .LBB15_775
; %bb.773:
	v_mov_b32_e32 v6, 11
	v_cmp_eq_u16_sdwa s[10:11], s75, v6 src0_sel:BYTE_0 src1_sel:DWORD
	s_mov_b64 s[0:1], -1
	s_and_b64 vcc, exec, s[10:11]
	s_cbranch_vccz .LBB15_775
; %bb.774:
	v_cmp_ne_u16_e32 vcc, 0, v3
	v_cndmask_b32_e64 v3, 0, 1, vcc
	s_mov_b64 s[8:9], -1
	s_mov_b64 s[0:1], 0
	global_store_byte v[0:1], v3, off
.LBB15_775:
	s_mov_b64 s[10:11], 0
.LBB15_776:
	s_and_b64 vcc, exec, s[10:11]
	s_cbranch_vccz .LBB15_815
; %bb.777:
	v_mov_b32_e32 v3, 5
	v_cmp_lt_i16_sdwa s[10:11], s75, v3 src0_sel:BYTE_0 src1_sel:DWORD
	s_mov_b64 s[8:9], -1
	s_and_b64 vcc, exec, s[10:11]
	s_cbranch_vccnz .LBB15_798
; %bb.778:
	v_mov_b32_e32 v3, 8
	v_cmp_lt_i16_sdwa s[10:11], s75, v3 src0_sel:BYTE_0 src1_sel:DWORD
	s_and_b64 vcc, exec, s[10:11]
	s_cbranch_vccnz .LBB15_788
; %bb.779:
	v_mov_b32_e32 v3, 9
	v_cmp_lt_i16_sdwa s[10:11], s75, v3 src0_sel:BYTE_0 src1_sel:DWORD
	s_and_b64 vcc, exec, s[10:11]
	s_cbranch_vccnz .LBB15_785
; %bb.780:
	v_cmp_gt_i16_sdwa s[10:11], s75, v3 src0_sel:BYTE_0 src1_sel:DWORD
	s_and_b64 vcc, exec, s[10:11]
	s_cbranch_vccz .LBB15_782
; %bb.781:
	v_cvt_f32_f16_e32 v3, v2
	v_mov_b32_e32 v12, 0
	v_mov_b32_e32 v13, v12
	s_mov_b64 s[8:9], 0
	v_cvt_f64_f32_e32 v[10:11], v3
	global_store_dwordx4 v[0:1], v[10:13], off
.LBB15_782:
	s_andn2_b64 vcc, exec, s[8:9]
	s_cbranch_vccnz .LBB15_784
; %bb.783:
	v_cvt_f32_f16_e32 v6, v2
	v_mov_b32_e32 v7, 0
	global_store_dwordx2 v[0:1], v[6:7], off
.LBB15_784:
	s_mov_b64 s[8:9], 0
.LBB15_785:
	s_andn2_b64 vcc, exec, s[8:9]
	s_cbranch_vccnz .LBB15_787
; %bb.786:
	v_and_b32_e32 v3, 0xffff, v2
	global_store_dword v[0:1], v3, off
.LBB15_787:
	s_mov_b64 s[8:9], 0
.LBB15_788:
	s_andn2_b64 vcc, exec, s[8:9]
	s_cbranch_vccnz .LBB15_797
; %bb.789:
	v_mov_b32_e32 v3, 6
	v_cmp_lt_i16_sdwa s[10:11], s75, v3 src0_sel:BYTE_0 src1_sel:DWORD
	s_mov_b64 s[8:9], -1
	s_and_b64 vcc, exec, s[10:11]
	s_cbranch_vccnz .LBB15_795
; %bb.790:
	v_cmp_gt_i16_sdwa s[10:11], s75, v3 src0_sel:BYTE_0 src1_sel:DWORD
	s_and_b64 vcc, exec, s[10:11]
	s_cbranch_vccz .LBB15_792
; %bb.791:
	v_cvt_f32_f16_e32 v3, v2
	s_mov_b64 s[8:9], 0
	v_cvt_f64_f32_e32 v[6:7], v3
	global_store_dwordx2 v[0:1], v[6:7], off
.LBB15_792:
	s_andn2_b64 vcc, exec, s[8:9]
	s_cbranch_vccnz .LBB15_794
; %bb.793:
	v_cvt_f32_f16_e32 v3, v2
	global_store_dword v[0:1], v3, off
.LBB15_794:
	s_mov_b64 s[8:9], 0
.LBB15_795:
	s_andn2_b64 vcc, exec, s[8:9]
	s_cbranch_vccnz .LBB15_797
; %bb.796:
	global_store_short v[0:1], v2, off
.LBB15_797:
	s_mov_b64 s[8:9], 0
.LBB15_798:
	s_andn2_b64 vcc, exec, s[8:9]
	s_cbranch_vccnz .LBB15_814
; %bb.799:
	v_mov_b32_e32 v3, 2
	v_cmp_lt_i16_sdwa s[10:11], s75, v3 src0_sel:BYTE_0 src1_sel:DWORD
	s_mov_b64 s[8:9], -1
	s_and_b64 vcc, exec, s[10:11]
	s_cbranch_vccnz .LBB15_809
; %bb.800:
	v_mov_b32_e32 v3, 3
	v_cmp_lt_i16_sdwa s[10:11], s75, v3 src0_sel:BYTE_0 src1_sel:DWORD
	s_and_b64 vcc, exec, s[10:11]
	s_cbranch_vccnz .LBB15_806
; %bb.801:
	v_cmp_gt_i16_sdwa s[10:11], s75, v3 src0_sel:BYTE_0 src1_sel:DWORD
	s_and_b64 vcc, exec, s[10:11]
	s_cbranch_vccz .LBB15_803
; %bb.802:
	v_cvt_f32_f16_e32 v3, v2
	s_mov_b64 s[8:9], 0
	v_cvt_i32_f32_e32 v6, v3
	v_ashrrev_i32_e32 v7, 31, v6
	global_store_dwordx2 v[0:1], v[6:7], off
.LBB15_803:
	s_andn2_b64 vcc, exec, s[8:9]
	s_cbranch_vccnz .LBB15_805
; %bb.804:
	v_cvt_f32_f16_e32 v3, v2
	v_cvt_i32_f32_e32 v3, v3
	global_store_dword v[0:1], v3, off
.LBB15_805:
	s_mov_b64 s[8:9], 0
.LBB15_806:
	s_andn2_b64 vcc, exec, s[8:9]
	s_cbranch_vccnz .LBB15_808
; %bb.807:
	v_cvt_i16_f16_e32 v3, v2
	global_store_short v[0:1], v3, off
.LBB15_808:
	s_mov_b64 s[8:9], 0
.LBB15_809:
	s_andn2_b64 vcc, exec, s[8:9]
	s_cbranch_vccnz .LBB15_814
; %bb.810:
	v_mov_b32_e32 v3, 0
	v_cmp_gt_i16_sdwa s[10:11], s75, v3 src0_sel:BYTE_0 src1_sel:DWORD
	s_mov_b64 s[8:9], -1
	s_and_b64 vcc, exec, s[10:11]
	s_cbranch_vccz .LBB15_812
; %bb.811:
	v_cvt_i16_f16_e32 v3, v2
	s_mov_b64 s[8:9], 0
	global_store_byte v[0:1], v3, off
.LBB15_812:
	s_andn2_b64 vcc, exec, s[8:9]
	s_cbranch_vccnz .LBB15_814
; %bb.813:
	v_cvt_f32_f16_e32 v2, v2
	v_cvt_i32_f32_e32 v2, v2
	global_store_byte v[0:1], v2, off
.LBB15_814:
	s_mov_b64 s[8:9], -1
.LBB15_815:
	s_andn2_b64 vcc, exec, s[8:9]
	s_cbranch_vccnz .LBB15_817
; %bb.816:
	v_add_u32_e32 v8, 0x80, v8
	s_mov_b64 s[8:9], -1
	s_branch .LBB15_819
.LBB15_817:
	s_mov_b64 s[8:9], 0
.LBB15_818:
                                        ; implicit-def: $vgpr8
.LBB15_819:
	s_andn2_b64 s[10:11], s[60:61], exec
	s_and_b64 s[0:1], s[0:1], exec
	s_or_b64 s[68:69], s[10:11], s[0:1]
	s_andn2_b64 s[0:1], s[58:59], exec
	s_and_b64 s[2:3], s[2:3], exec
	s_or_b64 s[66:67], s[0:1], s[2:3]
	s_orn2_b64 s[2:3], s[8:9], exec
.LBB15_820:
	s_or_b64 exec, exec, s[64:65]
	s_mov_b64 s[0:1], 0
	s_mov_b64 s[8:9], 0
	;; [unrolled: 1-line block ×3, first 2 shown]
                                        ; implicit-def: $vgpr2_vgpr3
                                        ; implicit-def: $vgpr0
                                        ; implicit-def: $vgpr6
	s_and_saveexec_b64 s[64:65], s[2:3]
	s_cbranch_execz .LBB15_920
; %bb.821:
	v_cmp_gt_i32_e32 vcc, s72, v8
	s_mov_b64 s[2:3], 0
	s_mov_b64 s[12:13], s[66:67]
                                        ; implicit-def: $vgpr2_vgpr3
                                        ; implicit-def: $vgpr0
                                        ; implicit-def: $vgpr6
	s_and_saveexec_b64 s[70:71], vcc
	s_cbranch_execz .LBB15_919
; %bb.822:
	s_andn2_b64 vcc, exec, s[40:41]
	s_cbranch_vccnz .LBB15_828
; %bb.823:
	s_mov_b32 s72, 0
	s_andn2_b64 vcc, exec, s[50:51]
	v_mov_b32_e32 v2, 0
	v_mov_b32_e32 v0, 0
	s_cbranch_vccnz .LBB15_834
; %bb.824:
	s_add_i32 s76, s73, 1
	s_cmp_eq_u32 s74, 2
	s_cbranch_scc1 .LBB15_829
; %bb.825:
	s_and_b32 s72, s76, 28
	s_mov_b32 s73, 0
	v_mov_b32_e32 v0, 0
	s_mov_b64 s[50:51], s[34:35]
	v_mov_b32_e32 v3, v8
	v_mov_b32_e32 v2, 0
.LBB15_826:                             ; =>This Inner Loop Header: Depth=1
	s_load_dwordx8 s[16:23], s[50:51], 0x4
	s_load_dwordx4 s[0:3], s[50:51], 0x24
	s_load_dwordx8 s[8:15], s[48:49], 0x0
	s_add_u32 s50, s50, 48
	s_addc_u32 s51, s51, 0
	s_waitcnt vmcnt(0) lgkmcnt(0)
	v_mul_hi_u32 v1, s17, v3
	v_add_u32_e32 v1, v3, v1
	v_lshrrev_b32_e32 v1, s18, v1
	v_mul_lo_u32 v6, v1, s16
	v_mul_hi_u32 v7, s20, v1
	v_sub_u32_e32 v3, v3, v6
	v_add_u32_e32 v6, v1, v7
	v_lshrrev_b32_e32 v6, s21, v6
	v_mul_lo_u32 v9, v6, s19
	v_mul_hi_u32 v10, s23, v6
	v_sub_u32_e32 v1, v1, v9
	v_add_u32_e32 v9, v6, v10
	v_mul_lo_u32 v7, v3, s9
	v_mul_lo_u32 v3, v3, s8
	;; [unrolled: 1-line block ×4, first 2 shown]
	v_lshrrev_b32_e32 v9, s0, v9
	v_add3_u32 v0, v3, v0, v1
	v_mul_hi_u32 v3, s2, v9
	v_add_u32_e32 v3, v9, v3
	v_lshrrev_b32_e32 v3, s3, v3
	s_add_i32 s73, s73, 4
	v_add3_u32 v1, v7, v2, v10
	v_mul_lo_u32 v2, v9, s22
	v_mul_lo_u32 v7, v3, s1
	s_add_u32 s48, s48, 32
	v_sub_u32_e32 v2, v6, v2
	v_sub_u32_e32 v7, v9, v7
	s_addc_u32 s49, s49, 0
	v_mul_lo_u32 v6, v2, s12
	v_mul_lo_u32 v2, v2, s13
	;; [unrolled: 1-line block ×4, first 2 shown]
	s_cmp_eq_u32 s72, s73
	v_add3_u32 v2, v2, v1, v7
	v_add3_u32 v0, v6, v0, v9
	s_cbranch_scc0 .LBB15_826
; %bb.827:
	v_mov_b32_e32 v1, v2
	s_branch .LBB15_830
.LBB15_828:
	s_mov_b64 s[0:1], -1
                                        ; implicit-def: $vgpr2
                                        ; implicit-def: $vgpr0
	s_branch .LBB15_835
.LBB15_829:
	s_mov_b32 s73, s72
	s_waitcnt vmcnt(0)
	v_pk_mov_b32 v[0:1], s[72:73], s[72:73] op_sel:[0,1]
                                        ; implicit-def: $vgpr2
	v_mov_b32_e32 v3, v8
.LBB15_830:
	s_and_b32 s8, s76, 3
	s_cmp_eq_u32 s8, 0
	s_cbranch_scc1 .LBB15_834
; %bb.831:
	s_lshl_b32 s0, s72, 3
	s_add_u32 s0, s0, s34
	s_addc_u32 s1, s35, 0
	s_add_u32 s0, s0, 0xc4
	s_addc_u32 s1, s1, 0
	s_mul_i32 s2, s72, 12
	s_add_u32 s2, s34, s2
	s_addc_u32 s3, s35, 0
.LBB15_832:                             ; =>This Inner Loop Header: Depth=1
	s_load_dwordx2 s[10:11], s[2:3], 0x4
	s_load_dword s9, s[2:3], 0xc
	s_load_dwordx2 s[12:13], s[0:1], 0x0
	v_mov_b32_e32 v2, v1
	s_add_u32 s2, s2, 12
	s_waitcnt lgkmcnt(0)
	v_mul_hi_u32 v1, s11, v3
	v_add_u32_e32 v1, v3, v1
	v_lshrrev_b32_e32 v1, s9, v1
	s_addc_u32 s3, s3, 0
	v_mul_lo_u32 v6, v1, s10
	s_add_u32 s0, s0, 8
	v_sub_u32_e32 v9, v3, v6
	v_mov_b32_e32 v3, v1
	s_addc_u32 s1, s1, 0
	s_add_i32 s8, s8, -1
	v_mad_u64_u32 v[6:7], s[10:11], v9, s13, v[2:3]
	v_mad_u64_u32 v[0:1], s[10:11], v9, s12, v[0:1]
	s_cmp_lg_u32 s8, 0
	v_mov_b32_e32 v1, v6
	s_cbranch_scc1 .LBB15_832
; %bb.833:
	v_mov_b32_e32 v2, v1
.LBB15_834:
	s_mov_b64 s[0:1], 0
.LBB15_835:
	s_andn2_b64 vcc, exec, s[0:1]
	s_cbranch_vccnz .LBB15_838
; %bb.836:
	v_mul_hi_u32 v0, s29, v8
	v_add_u32_e32 v0, v8, v0
	s_waitcnt vmcnt(0)
	v_lshrrev_b32_e32 v1, s30, v0
	v_mul_lo_u32 v0, v1, s28
	v_sub_u32_e32 v0, v8, v0
	v_mul_lo_u32 v2, v0, s37
	s_andn2_b64 vcc, exec, s[46:47]
	v_mul_lo_u32 v0, v0, s36
	s_cbranch_vccnz .LBB15_838
; %bb.837:
	v_mul_hi_u32 v3, s44, v1
	v_add_u32_e32 v3, v1, v3
	v_lshrrev_b32_e32 v3, s45, v3
	v_mul_lo_u32 v3, v3, s31
	v_sub_u32_e32 v3, v1, v3
	v_mad_u64_u32 v[0:1], s[0:1], v3, s38, v[0:1]
	v_mad_u64_u32 v[2:3], s[0:1], v3, s39, v[2:3]
.LBB15_838:
	s_waitcnt vmcnt(0)
	v_mov_b32_e32 v1, s27
	v_add_co_u32_e32 v2, vcc, s26, v2
	v_addc_co_u32_e32 v3, vcc, 0, v1, vcc
	v_cmp_gt_i16_e32 vcc, 11, v5
	s_cbranch_vccnz .LBB15_845
; %bb.839:
	v_cmp_lt_i16_e32 vcc, 25, v5
	s_mov_b64 s[2:3], 0
	s_cbranch_vccz .LBB15_846
; %bb.840:
	v_cmp_lt_i16_e32 vcc, 28, v5
	s_cbranch_vccz .LBB15_847
; %bb.841:
	v_cmp_lt_i16_e32 vcc, 43, v5
	;; [unrolled: 3-line block ×3, first 2 shown]
	s_cbranch_vccz .LBB15_851
; %bb.843:
	v_cmp_eq_u16_e32 vcc, 46, v5
	s_mov_b64 s[10:11], 0
	s_cbranch_vccz .LBB15_854
; %bb.844:
	global_load_dword v1, v[2:3], off
	s_mov_b64 s[0:1], 0
	s_mov_b64 s[8:9], -1
	s_waitcnt vmcnt(0)
	v_lshlrev_b32_e32 v1, 16, v1
	v_cvt_f16_f32_e32 v6, v1
	s_branch .LBB15_855
.LBB15_845:
	s_mov_b64 s[12:13], -1
	s_mov_b64 s[8:9], 0
	s_mov_b64 s[2:3], 0
	;; [unrolled: 1-line block ×3, first 2 shown]
                                        ; implicit-def: $vgpr6
	s_branch .LBB15_918
.LBB15_846:
	s_mov_b64 s[10:11], -1
	s_mov_b64 s[8:9], 0
	s_mov_b64 s[0:1], s[66:67]
                                        ; implicit-def: $vgpr6
	s_branch .LBB15_884
.LBB15_847:
	s_mov_b64 s[10:11], -1
	s_mov_b64 s[8:9], 0
	s_mov_b64 s[0:1], s[66:67]
                                        ; implicit-def: $vgpr6
	s_branch .LBB15_865
.LBB15_848:
	s_mov_b64 s[10:11], -1
	s_mov_b64 s[8:9], 0
	s_mov_b64 s[0:1], s[66:67]
                                        ; implicit-def: $vgpr6
	s_branch .LBB15_860
.LBB15_849:
	s_or_saveexec_b64 s[12:13], s[12:13]
                                        ; implicit-def: $sgpr14
	s_xor_b64 exec, exec, s[12:13]
	s_cbranch_execz .LBB15_728
.LBB15_850:
	s_mov_b32 s14, 0x46000000
	v_add_f32_e64 v7, |v6|, s14
	v_and_b32_e32 v7, 0xff, v7
	v_cmp_ne_u32_e32 vcc, 0, v7
	s_andn2_b64 s[10:11], s[10:11], exec
	s_and_b64 s[16:17], vcc, exec
	s_mov_b32 s14, 0
	s_or_b64 s[10:11], s[10:11], s[16:17]
	s_or_b64 exec, exec, s[12:13]
	v_mov_b32_e32 v9, s14
	s_and_saveexec_b64 s[12:13], s[10:11]
	s_cbranch_execnz .LBB15_729
	s_branch .LBB15_730
.LBB15_851:
	s_mov_b64 s[10:11], -1
	s_mov_b64 s[8:9], 0
	s_mov_b64 s[0:1], s[66:67]
                                        ; implicit-def: $vgpr6
	s_branch .LBB15_855
.LBB15_852:
	s_or_saveexec_b64 s[12:13], s[12:13]
                                        ; implicit-def: $sgpr14
	s_xor_b64 exec, exec, s[12:13]
	s_cbranch_execz .LBB15_741
.LBB15_853:
	s_mov_b32 s14, 0x42800000
	v_add_f32_e64 v7, |v6|, s14
	v_and_b32_e32 v7, 0xff, v7
	v_cmp_ne_u32_e32 vcc, 0, v7
	s_andn2_b64 s[10:11], s[10:11], exec
	s_and_b64 s[16:17], vcc, exec
	s_mov_b32 s14, 0
	s_or_b64 s[10:11], s[10:11], s[16:17]
	s_or_b64 exec, exec, s[12:13]
	v_mov_b32_e32 v9, s14
	s_and_saveexec_b64 s[12:13], s[10:11]
	s_cbranch_execnz .LBB15_742
	s_branch .LBB15_743
.LBB15_854:
	s_mov_b64 s[0:1], -1
                                        ; implicit-def: $vgpr6
	s_mov_b64 s[8:9], 0
.LBB15_855:
	s_and_b64 vcc, exec, s[10:11]
	s_cbranch_vccz .LBB15_859
; %bb.856:
	v_cmp_eq_u16_e32 vcc, 44, v5
	s_cbranch_vccz .LBB15_858
; %bb.857:
	global_load_ubyte v1, v[2:3], off
	s_movk_i32 s8, 0xff
	v_mov_b32_e32 v7, 0x7e00
	s_mov_b64 s[0:1], 0
	s_waitcnt vmcnt(0)
	v_lshlrev_b32_e32 v6, 23, v1
	v_cvt_f16_f32_e32 v6, v6
	v_cmp_ne_u32_e32 vcc, s8, v1
	s_mov_b64 s[8:9], -1
	v_cndmask_b32_e32 v6, v7, v6, vcc
	v_cmp_ne_u32_e32 vcc, 0, v1
	v_cndmask_b32_e32 v6, 0, v6, vcc
	s_branch .LBB15_859
.LBB15_858:
	s_mov_b64 s[0:1], -1
                                        ; implicit-def: $vgpr6
.LBB15_859:
	s_mov_b64 s[10:11], 0
.LBB15_860:
	s_and_b64 vcc, exec, s[10:11]
	s_cbranch_vccz .LBB15_864
; %bb.861:
	v_cmp_eq_u16_e32 vcc, 29, v5
	s_cbranch_vccz .LBB15_863
; %bb.862:
	global_load_dwordx2 v[6:7], v[2:3], off
	s_mov_b64 s[0:1], 0
	s_mov_b64 s[8:9], -1
	s_mov_b64 s[10:11], 0
	s_waitcnt vmcnt(0)
	v_ffbh_u32_e32 v1, v7
	v_min_u32_e32 v1, 32, v1
	v_lshlrev_b64 v[6:7], v1, v[6:7]
	v_min_u32_e32 v6, 1, v6
	v_or_b32_e32 v6, v7, v6
	v_cvt_f32_u32_e32 v6, v6
	v_sub_u32_e32 v1, 32, v1
	v_ldexp_f32 v1, v6, v1
	v_cvt_f16_f32_e32 v6, v1
	s_branch .LBB15_865
.LBB15_863:
	s_mov_b64 s[0:1], -1
                                        ; implicit-def: $vgpr6
.LBB15_864:
	s_mov_b64 s[10:11], 0
.LBB15_865:
	s_and_b64 vcc, exec, s[10:11]
	s_cbranch_vccz .LBB15_883
; %bb.866:
	v_cmp_gt_i16_e32 vcc, 27, v5
	s_cbranch_vccnz .LBB15_869
; %bb.867:
	v_cmp_lt_i16_e32 vcc, 27, v5
	s_cbranch_vccz .LBB15_870
; %bb.868:
	global_load_dword v1, v[2:3], off
	s_mov_b64 s[8:9], 0
	s_waitcnt vmcnt(0)
	v_cvt_f32_u32_e32 v1, v1
	v_cvt_f16_f32_e32 v6, v1
	s_branch .LBB15_871
.LBB15_869:
	s_mov_b64 s[8:9], -1
                                        ; implicit-def: $vgpr6
	s_branch .LBB15_874
.LBB15_870:
	s_mov_b64 s[8:9], -1
                                        ; implicit-def: $vgpr6
.LBB15_871:
	s_andn2_b64 vcc, exec, s[8:9]
	s_cbranch_vccnz .LBB15_873
; %bb.872:
	global_load_ushort v1, v[2:3], off
	s_waitcnt vmcnt(0)
	v_cvt_f16_u16_e32 v6, v1
.LBB15_873:
	s_mov_b64 s[8:9], 0
.LBB15_874:
	s_andn2_b64 vcc, exec, s[8:9]
	s_cbranch_vccnz .LBB15_882
; %bb.875:
	global_load_ubyte v1, v[2:3], off
	s_movk_i32 s8, 0x7f
                                        ; implicit-def: $sgpr14
	s_waitcnt vmcnt(0)
	v_cmp_lt_i16_e32 vcc, s8, v1
	s_mov_b64 s[8:9], 0
	s_and_saveexec_b64 s[10:11], vcc
	s_xor_b64 s[10:11], exec, s[10:11]
	s_cbranch_execz .LBB15_896
; %bb.876:
	s_movk_i32 s8, 0x80
	v_cmp_eq_u16_e32 vcc, s8, v1
	s_mov_b64 s[8:9], -1
                                        ; implicit-def: $sgpr14
	s_and_saveexec_b64 s[12:13], vcc
; %bb.877:
	s_movk_i32 s14, 0x7e00
	s_xor_b64 s[8:9], exec, -1
; %bb.878:
	s_or_b64 exec, exec, s[12:13]
	s_and_b64 s[8:9], s[8:9], exec
	s_or_saveexec_b64 s[10:11], s[10:11]
	v_mov_b32_e32 v6, s14
	s_xor_b64 exec, exec, s[10:11]
	s_cbranch_execnz .LBB15_897
.LBB15_879:
	s_or_b64 exec, exec, s[10:11]
	s_and_saveexec_b64 s[10:11], s[8:9]
	s_cbranch_execz .LBB15_881
.LBB15_880:
	v_lshlrev_b32_e32 v6, 24, v1
	v_and_b32_e32 v1, 0xffff, v1
	v_and_b32_e32 v7, 7, v1
	v_ffbh_u32_e32 v9, v7
	v_min_u32_e32 v9, 32, v9
	v_subrev_u32_e32 v10, 28, v9
	v_bfe_u32 v8, v1, 3, 4
	v_lshlrev_b32_e32 v1, v10, v1
	v_sub_u32_e32 v9, 29, v9
	v_and_b32_e32 v1, 7, v1
	v_cmp_eq_u32_e32 vcc, 0, v8
	v_cndmask_b32_e32 v8, v8, v9, vcc
	v_cndmask_b32_e32 v1, v7, v1, vcc
	v_mov_b32_e32 v7, 0x3b800000
	v_lshlrev_b32_e32 v1, 20, v1
	v_and_b32_e32 v6, 0x80000000, v6
	v_lshl_add_u32 v7, v8, 23, v7
	v_or3_b32 v1, v6, v7, v1
	v_cvt_f16_f32_e32 v6, v1
.LBB15_881:
	s_or_b64 exec, exec, s[10:11]
.LBB15_882:
	s_mov_b64 s[8:9], -1
.LBB15_883:
	s_mov_b64 s[10:11], 0
.LBB15_884:
	s_and_b64 vcc, exec, s[10:11]
	s_cbranch_vccz .LBB15_917
; %bb.885:
	v_cmp_lt_i16_e32 vcc, 22, v5
	s_cbranch_vccz .LBB15_895
; %bb.886:
	v_cmp_gt_i16_e32 vcc, 24, v5
	s_cbranch_vccnz .LBB15_898
; %bb.887:
	v_cmp_lt_i16_e32 vcc, 24, v5
	s_cbranch_vccz .LBB15_899
; %bb.888:
	global_load_ubyte v1, v[2:3], off
	s_movk_i32 s2, 0x7f
                                        ; implicit-def: $sgpr12
	s_waitcnt vmcnt(0)
	v_cmp_lt_i16_e32 vcc, s2, v1
	s_mov_b64 s[2:3], 0
	s_and_saveexec_b64 s[8:9], vcc
	s_xor_b64 s[8:9], exec, s[8:9]
	s_cbranch_execz .LBB15_911
; %bb.889:
	s_movk_i32 s2, 0x80
	v_cmp_eq_u16_e32 vcc, s2, v1
	s_mov_b64 s[2:3], -1
                                        ; implicit-def: $sgpr12
	s_and_saveexec_b64 s[10:11], vcc
; %bb.890:
	s_movk_i32 s12, 0x7e00
	s_xor_b64 s[2:3], exec, -1
; %bb.891:
	s_or_b64 exec, exec, s[10:11]
	s_and_b64 s[2:3], s[2:3], exec
	s_or_saveexec_b64 s[8:9], s[8:9]
	v_mov_b32_e32 v6, s12
	s_xor_b64 exec, exec, s[8:9]
	s_cbranch_execnz .LBB15_912
.LBB15_892:
	s_or_b64 exec, exec, s[8:9]
	s_and_saveexec_b64 s[8:9], s[2:3]
	s_cbranch_execz .LBB15_894
.LBB15_893:
	v_lshlrev_b32_e32 v6, 24, v1
	v_and_b32_e32 v1, 0xffff, v1
	v_and_b32_e32 v7, 3, v1
	v_ffbh_u32_e32 v9, v7
	v_min_u32_e32 v9, 32, v9
	v_subrev_u32_e32 v10, 29, v9
	v_bfe_u32 v8, v1, 2, 5
	v_lshlrev_b32_e32 v1, v10, v1
	v_sub_u32_e32 v9, 30, v9
	v_and_b32_e32 v1, 3, v1
	v_cmp_eq_u32_e32 vcc, 0, v8
	v_cndmask_b32_e32 v8, v8, v9, vcc
	v_cndmask_b32_e32 v1, v7, v1, vcc
	v_mov_b32_e32 v7, 0x37800000
	v_lshlrev_b32_e32 v1, 21, v1
	v_and_b32_e32 v6, 0x80000000, v6
	v_lshl_add_u32 v7, v8, 23, v7
	v_or3_b32 v1, v6, v7, v1
	v_cvt_f16_f32_e32 v6, v1
.LBB15_894:
	s_or_b64 exec, exec, s[8:9]
	s_mov_b64 s[2:3], 0
	s_branch .LBB15_900
.LBB15_895:
	s_mov_b64 s[2:3], -1
                                        ; implicit-def: $vgpr6
	s_branch .LBB15_906
.LBB15_896:
	s_or_saveexec_b64 s[10:11], s[10:11]
	v_mov_b32_e32 v6, s14
	s_xor_b64 exec, exec, s[10:11]
	s_cbranch_execz .LBB15_879
.LBB15_897:
	v_cmp_ne_u16_e32 vcc, 0, v1
	s_andn2_b64 s[8:9], s[8:9], exec
	s_and_b64 s[12:13], vcc, exec
	s_or_b64 s[8:9], s[8:9], s[12:13]
	v_mov_b32_e32 v6, v1
	s_or_b64 exec, exec, s[10:11]
	s_and_saveexec_b64 s[10:11], s[8:9]
	s_cbranch_execnz .LBB15_880
	s_branch .LBB15_881
.LBB15_898:
	s_mov_b64 s[2:3], -1
                                        ; implicit-def: $vgpr6
	s_branch .LBB15_903
.LBB15_899:
	s_mov_b64 s[2:3], -1
                                        ; implicit-def: $vgpr6
.LBB15_900:
	s_and_b64 vcc, exec, s[2:3]
	s_cbranch_vccz .LBB15_902
; %bb.901:
	global_load_ubyte v1, v[2:3], off
	s_mov_b32 s2, 0x7f800000
	s_waitcnt vmcnt(0)
	v_lshlrev_b32_e32 v1, 24, v1
	v_and_b32_e32 v6, 0x7f000000, v1
	v_ffbh_u32_e32 v7, v6
	v_min_u32_e32 v7, 32, v7
	v_sub_u32_e64 v7, v7, 4 clamp
	v_lshlrev_b32_e32 v9, v7, v6
	v_lshlrev_b32_e32 v7, 23, v7
	v_lshrrev_b32_e32 v9, 4, v9
	v_add_u32_e32 v8, 0x1000000, v6
	v_sub_u32_e32 v7, v9, v7
	v_ashrrev_i32_e32 v8, 8, v8
	v_add_u32_e32 v7, 0x3c000000, v7
	v_and_or_b32 v7, v8, s2, v7
	v_cmp_ne_u32_e32 vcc, 0, v6
	v_cndmask_b32_e32 v6, 0, v7, vcc
	s_brev_b32 s2, 1
	v_and_or_b32 v1, v1, s2, v6
	v_cvt_f16_f32_e32 v6, v1
.LBB15_902:
	s_mov_b64 s[2:3], 0
.LBB15_903:
	s_andn2_b64 vcc, exec, s[2:3]
	s_cbranch_vccnz .LBB15_905
; %bb.904:
	global_load_ubyte v1, v[2:3], off
	s_movk_i32 s2, 0x7f00
	s_brev_b32 s3, 16
	s_waitcnt vmcnt(0)
	v_lshlrev_b16_e32 v6, 8, v1
	v_lshlrev_b32_e32 v1, 25, v1
	v_lshrrev_b32_e32 v7, 4, v1
	v_and_or_b32 v8, v6, s2, 0.5
	v_or_b32_e32 v7, 0x70000000, v7
	v_add_f32_e32 v8, -0.5, v8
	v_mul_f32_e32 v7, 0x7800000, v7
	v_cmp_gt_u32_e32 vcc, s3, v1
	v_bfe_i32 v6, v6, 0, 16
	v_cndmask_b32_e32 v1, v7, v8, vcc
	s_brev_b32 s2, 1
	v_and_or_b32 v1, v6, s2, v1
	v_cvt_f16_f32_e32 v6, v1
.LBB15_905:
	s_mov_b64 s[2:3], 0
	s_mov_b64 s[8:9], -1
.LBB15_906:
	s_andn2_b64 vcc, exec, s[2:3]
	s_mov_b64 s[2:3], 0
	s_cbranch_vccnz .LBB15_917
; %bb.907:
	v_cmp_lt_i16_e32 vcc, 14, v5
	s_cbranch_vccz .LBB15_910
; %bb.908:
	v_cmp_eq_u16_e32 vcc, 15, v5
	s_cbranch_vccz .LBB15_913
; %bb.909:
	global_load_ushort v1, v[2:3], off
	s_mov_b64 s[0:1], 0
	s_mov_b64 s[8:9], -1
	s_waitcnt vmcnt(0)
	v_lshlrev_b32_e32 v1, 16, v1
	v_cvt_f16_f32_e32 v6, v1
	s_branch .LBB15_914
.LBB15_910:
	s_mov_b64 s[10:11], -1
                                        ; implicit-def: $vgpr6
	s_branch .LBB15_915
.LBB15_911:
	s_or_saveexec_b64 s[8:9], s[8:9]
	v_mov_b32_e32 v6, s12
	s_xor_b64 exec, exec, s[8:9]
	s_cbranch_execz .LBB15_892
.LBB15_912:
	v_cmp_ne_u16_e32 vcc, 0, v1
	s_andn2_b64 s[2:3], s[2:3], exec
	s_and_b64 s[10:11], vcc, exec
	s_or_b64 s[2:3], s[2:3], s[10:11]
	v_mov_b32_e32 v6, v1
	s_or_b64 exec, exec, s[8:9]
	s_and_saveexec_b64 s[8:9], s[2:3]
	s_cbranch_execnz .LBB15_893
	s_branch .LBB15_894
.LBB15_913:
	s_mov_b64 s[0:1], -1
                                        ; implicit-def: $vgpr6
.LBB15_914:
	s_mov_b64 s[10:11], 0
.LBB15_915:
	s_and_b64 vcc, exec, s[10:11]
	s_cbranch_vccz .LBB15_917
; %bb.916:
	v_cmp_ne_u16_e32 vcc, 11, v5
	s_andn2_b64 s[0:1], s[0:1], exec
	s_and_b64 s[10:11], vcc, exec
	s_mov_b64 s[2:3], -1
	s_or_b64 s[0:1], s[0:1], s[10:11]
                                        ; implicit-def: $vgpr6
.LBB15_917:
	s_mov_b64 s[12:13], 0
.LBB15_918:
	s_and_b64 s[10:11], s[8:9], exec
	s_and_b64 s[8:9], s[12:13], exec
	s_andn2_b64 s[12:13], s[66:67], exec
	s_and_b64 s[0:1], s[0:1], exec
	s_and_b64 s[2:3], s[2:3], exec
	s_or_b64 s[12:13], s[12:13], s[0:1]
.LBB15_919:
	s_or_b64 exec, exec, s[70:71]
	s_and_b64 s[0:1], s[2:3], exec
	s_andn2_b64 s[2:3], s[66:67], exec
	s_and_b64 s[12:13], s[12:13], exec
	s_and_b64 s[10:11], s[10:11], exec
	;; [unrolled: 1-line block ×3, first 2 shown]
	s_or_b64 s[66:67], s[2:3], s[12:13]
.LBB15_920:
	s_or_b64 exec, exec, s[64:65]
	s_andn2_b64 s[2:3], s[60:61], exec
	s_and_b64 s[12:13], s[68:69], exec
	s_or_b64 s[60:61], s[2:3], s[12:13]
	s_and_b64 s[2:3], s[0:1], exec
	s_andn2_b64 s[0:1], s[58:59], exec
	s_and_b64 s[12:13], s[66:67], exec
	s_and_b64 s[10:11], s[10:11], exec
	;; [unrolled: 1-line block ×3, first 2 shown]
	s_or_b64 s[58:59], s[0:1], s[12:13]
.LBB15_921:
	s_or_b64 exec, exec, s[62:63]
	s_andn2_b64 s[0:1], s[52:53], exec
	s_and_b64 s[12:13], s[60:61], exec
	s_or_b64 s[52:53], s[0:1], s[12:13]
	s_and_b64 s[0:1], s[10:11], exec
	s_and_b64 s[10:11], s[8:9], exec
	;; [unrolled: 1-line block ×3, first 2 shown]
	s_andn2_b64 s[2:3], s[54:55], exec
	s_and_b64 s[8:9], s[58:59], exec
	s_or_b64 s[54:55], s[2:3], s[8:9]
	s_or_b64 exec, exec, s[56:57]
	s_mov_b64 s[2:3], 0
	s_and_saveexec_b64 s[8:9], s[54:55]
	s_cbranch_execz .LBB15_276
.LBB15_922:
	s_mov_b64 s[2:3], exec
	s_andn2_b64 s[60:61], s[60:61], exec
	s_trap 2
                                        ; implicit-def: $vgpr6
	s_or_b64 exec, exec, s[8:9]
	s_and_saveexec_b64 s[8:9], s[60:61]
	s_xor_b64 s[8:9], exec, s[8:9]
	s_cbranch_execnz .LBB15_277
.LBB15_923:
	s_or_b64 exec, exec, s[8:9]
	s_and_saveexec_b64 s[8:9], s[10:11]
	s_cbranch_execz .LBB15_969
.LBB15_924:
	v_cmp_gt_i16_e32 vcc, 5, v5
	s_cbranch_vccnz .LBB15_929
; %bb.925:
	v_cmp_gt_i16_e32 vcc, 8, v5
	s_cbranch_vccnz .LBB15_930
; %bb.926:
	;; [unrolled: 3-line block ×3, first 2 shown]
	v_cmp_lt_i16_e32 vcc, 9, v5
	s_cbranch_vccz .LBB15_932
; %bb.928:
	global_load_dwordx2 v[6:7], v[2:3], off
	s_mov_b64 s[10:11], 0
	s_waitcnt vmcnt(0)
	v_cvt_f32_f64_e32 v1, v[6:7]
	v_cvt_f16_f32_e32 v6, v1
	s_branch .LBB15_933
.LBB15_929:
                                        ; implicit-def: $vgpr6
	s_branch .LBB15_950
.LBB15_930:
                                        ; implicit-def: $vgpr6
	s_branch .LBB15_939
.LBB15_931:
	s_mov_b64 s[10:11], -1
                                        ; implicit-def: $vgpr6
	s_branch .LBB15_936
.LBB15_932:
	s_mov_b64 s[10:11], -1
                                        ; implicit-def: $vgpr6
.LBB15_933:
	s_andn2_b64 vcc, exec, s[10:11]
	s_cbranch_vccnz .LBB15_935
; %bb.934:
	global_load_dword v1, v[2:3], off
	s_waitcnt vmcnt(0)
	v_cvt_f16_f32_e32 v6, v1
.LBB15_935:
	s_mov_b64 s[10:11], 0
.LBB15_936:
	s_andn2_b64 vcc, exec, s[10:11]
	s_cbranch_vccnz .LBB15_938
; %bb.937:
	global_load_dword v6, v[2:3], off
.LBB15_938:
	s_cbranch_execnz .LBB15_949
.LBB15_939:
	v_cmp_gt_i16_e32 vcc, 6, v5
	s_cbranch_vccnz .LBB15_942
; %bb.940:
	v_cmp_lt_i16_e32 vcc, 6, v5
	s_cbranch_vccz .LBB15_943
; %bb.941:
	global_load_dwordx2 v[6:7], v[2:3], off
	s_mov_b64 s[10:11], 0
	s_waitcnt vmcnt(0)
	v_cvt_f32_f64_e32 v1, v[6:7]
	v_cvt_f16_f32_e32 v6, v1
	s_branch .LBB15_944
.LBB15_942:
	s_mov_b64 s[10:11], -1
                                        ; implicit-def: $vgpr6
	s_branch .LBB15_947
.LBB15_943:
	s_mov_b64 s[10:11], -1
                                        ; implicit-def: $vgpr6
.LBB15_944:
	s_andn2_b64 vcc, exec, s[10:11]
	s_cbranch_vccnz .LBB15_946
; %bb.945:
	global_load_dword v1, v[2:3], off
	s_waitcnt vmcnt(0)
	v_cvt_f16_f32_e32 v6, v1
.LBB15_946:
	s_mov_b64 s[10:11], 0
.LBB15_947:
	s_andn2_b64 vcc, exec, s[10:11]
	s_cbranch_vccnz .LBB15_949
; %bb.948:
	global_load_ushort v6, v[2:3], off
.LBB15_949:
	s_cbranch_execnz .LBB15_968
.LBB15_950:
	v_cmp_gt_i16_e32 vcc, 2, v5
	s_cbranch_vccnz .LBB15_954
; %bb.951:
	v_cmp_gt_i16_e32 vcc, 3, v5
	s_cbranch_vccnz .LBB15_955
; %bb.952:
	v_cmp_lt_i16_e32 vcc, 3, v5
	s_cbranch_vccz .LBB15_956
; %bb.953:
	global_load_dwordx2 v[6:7], v[2:3], off
	s_mov_b64 s[10:11], 0
	s_waitcnt vmcnt(0)
	v_xor_b32_e32 v8, v6, v7
	v_ffbh_i32_e32 v1, v7
	v_ashrrev_i32_e32 v8, 31, v8
	v_add_u32_e32 v1, -1, v1
	v_add_u32_e32 v8, 32, v8
	v_min_u32_e32 v1, v1, v8
	v_lshlrev_b64 v[6:7], v1, v[6:7]
	v_min_u32_e32 v6, 1, v6
	v_or_b32_e32 v6, v7, v6
	v_cvt_f32_i32_e32 v6, v6
	v_sub_u32_e32 v1, 32, v1
	v_ldexp_f32 v1, v6, v1
	v_cvt_f16_f32_e32 v6, v1
	s_branch .LBB15_957
.LBB15_954:
                                        ; implicit-def: $vgpr6
	s_branch .LBB15_963
.LBB15_955:
	s_mov_b64 s[10:11], -1
                                        ; implicit-def: $vgpr6
	s_branch .LBB15_960
.LBB15_956:
	s_mov_b64 s[10:11], -1
                                        ; implicit-def: $vgpr6
.LBB15_957:
	s_andn2_b64 vcc, exec, s[10:11]
	s_cbranch_vccnz .LBB15_959
; %bb.958:
	global_load_dword v1, v[2:3], off
	s_waitcnt vmcnt(0)
	v_cvt_f32_i32_e32 v1, v1
	v_cvt_f16_f32_e32 v6, v1
.LBB15_959:
	s_mov_b64 s[10:11], 0
.LBB15_960:
	s_andn2_b64 vcc, exec, s[10:11]
	s_cbranch_vccnz .LBB15_962
; %bb.961:
	global_load_ushort v1, v[2:3], off
	s_waitcnt vmcnt(0)
	v_cvt_f16_i16_e32 v6, v1
.LBB15_962:
	s_cbranch_execnz .LBB15_968
.LBB15_963:
	v_cmp_lt_i16_e32 vcc, 0, v5
	s_cbranch_vccz .LBB15_965
; %bb.964:
	global_load_sbyte v1, v[2:3], off
	s_mov_b64 s[10:11], 0
	s_waitcnt vmcnt(0)
	v_cvt_f16_i16_e32 v6, v1
	s_branch .LBB15_966
.LBB15_965:
	s_mov_b64 s[10:11], -1
                                        ; implicit-def: $vgpr6
.LBB15_966:
	s_andn2_b64 vcc, exec, s[10:11]
	s_cbranch_vccnz .LBB15_968
; %bb.967:
	global_load_ubyte v1, v[2:3], off
	s_waitcnt vmcnt(0)
	v_cvt_f16_u16_e32 v6, v1
.LBB15_968:
	s_or_b64 s[0:1], s[0:1], exec
.LBB15_969:
	s_or_b64 exec, exec, s[8:9]
	s_mov_b64 s[12:13], 0
	s_mov_b64 s[10:11], 0
                                        ; implicit-def: $vgpr5
                                        ; implicit-def: $vgpr2_vgpr3
                                        ; implicit-def: $vgpr1
                                        ; implicit-def: $vgpr7
	s_and_saveexec_b64 s[8:9], s[0:1]
	s_cbranch_execz .LBB15_987
; %bb.970:
	v_mov_b32_e32 v3, s25
	v_add_co_u32_e32 v2, vcc, s24, v0
	v_mov_b32_e32 v0, 0xff
	v_addc_co_u32_e32 v3, vcc, 0, v3, vcc
	v_and_b32_e32 v5, s75, v0
	s_waitcnt vmcnt(0)
	v_and_b32_e32 v7, 0x7fff, v6
	v_cmp_gt_i16_e32 vcc, 11, v5
	v_or_b32_e32 v1, v7, v4
	s_cbranch_vccnz .LBB15_990
; %bb.971:
	v_cmp_lt_i16_e32 vcc, 25, v5
	s_mov_b64 s[12:13], -1
	s_mov_b64 s[0:1], s[52:53]
	s_cbranch_vccz .LBB15_1008
; %bb.972:
	v_cmp_lt_i16_e32 vcc, 28, v5
	s_mov_b64 s[10:11], -1
	s_mov_b64 s[0:1], s[52:53]
	s_cbranch_vccz .LBB15_992
; %bb.973:
	v_cmp_lt_i16_e32 vcc, 43, v5
	s_mov_b64 s[0:1], s[52:53]
	s_cbranch_vccz .LBB15_984
; %bb.974:
	v_cmp_lt_i16_e32 vcc, 45, v5
	s_mov_b64 s[0:1], s[52:53]
	s_cbranch_vccz .LBB15_978
; %bb.975:
	v_cmp_eq_u16_e32 vcc, 46, v5
	s_mov_b64 s[0:1], -1
	s_cbranch_vccz .LBB15_977
; %bb.976:
	v_cvt_f32_f16_e32 v0, v1
	s_movk_i32 s0, 0x7fff
	v_mov_b32_e32 v4, 0x7fc0
	v_cmp_o_f16_e32 vcc, v1, v1
	v_bfe_u32 v6, v0, 16, 1
	v_add3_u32 v0, v0, v6, s0
	v_lshrrev_b32_e32 v0, 16, v0
	v_cndmask_b32_e32 v0, v4, v0, vcc
	global_store_dword v[2:3], v0, off
	s_mov_b64 s[0:1], 0
.LBB15_977:
	s_mov_b64 s[10:11], 0
.LBB15_978:
	s_and_b64 vcc, exec, s[10:11]
	s_cbranch_vccz .LBB15_983
; %bb.979:
	v_cmp_eq_u16_e32 vcc, 44, v5
	s_mov_b64 s[0:1], -1
	s_cbranch_vccz .LBB15_983
; %bb.980:
	v_cvt_f32_f16_e32 v0, v1
	s_movk_i32 s0, 0xff
	v_mov_b32_e32 v6, 0xff
	v_bfe_u32 v4, v0, 23, 8
	v_cmp_ne_u32_e32 vcc, s0, v4
	s_and_saveexec_b64 s[10:11], vcc
; %bb.981:
	s_mov_b32 s0, 0x3fffff
	v_lshrrev_b32_e32 v6, 23, v0
	v_and_b32_e32 v8, 0x400000, v0
	v_and_or_b32 v0, v0, s0, v4
	v_cmp_ne_u32_e32 vcc, 0, v8
	v_cmp_ne_u32_e64 s[0:1], 0, v0
	s_and_b64 s[0:1], vcc, s[0:1]
	v_cndmask_b32_e64 v0, 0, 1, s[0:1]
	v_add_u32_e32 v6, v6, v0
; %bb.982:
	s_or_b64 exec, exec, s[10:11]
	s_mov_b64 s[0:1], 0
	global_store_byte v[2:3], v6, off
.LBB15_983:
	s_mov_b64 s[10:11], 0
.LBB15_984:
	s_and_b64 vcc, exec, s[10:11]
	s_cbranch_vccz .LBB15_991
; %bb.985:
	v_cmp_eq_u16_e32 vcc, 29, v5
	s_mov_b64 s[0:1], -1
	s_cbranch_vccz .LBB15_991
; %bb.986:
	v_cvt_f32_f16_e32 v0, v1
	v_mov_b32_e32 v9, 0
	s_mov_b64 s[0:1], 0
	s_mov_b64 s[10:11], 0
	v_cvt_u32_f32_e32 v8, v0
	global_store_dwordx2 v[2:3], v[8:9], off
	s_branch .LBB15_992
.LBB15_987:
	s_or_b64 exec, exec, s[8:9]
	s_and_saveexec_b64 s[0:1], s[52:53]
	s_cbranch_execnz .LBB15_1050
.LBB15_988:
	s_or_b64 exec, exec, s[0:1]
	s_and_saveexec_b64 s[0:1], s[12:13]
	s_xor_b64 s[0:1], exec, s[0:1]
	s_cbranch_execz .LBB15_1051
.LBB15_989:
	v_cmp_ne_u16_e32 vcc, 0, v7
	v_cndmask_b32_e64 v0, 0, 1, vcc
	global_store_byte v[2:3], v0, off
	s_or_b64 exec, exec, s[0:1]
	s_and_saveexec_b64 s[0:1], s[10:11]
	s_xor_b64 s[0:1], exec, s[0:1]
	s_cbranch_execz .LBB15_1089
	s_branch .LBB15_1052
.LBB15_990:
	s_mov_b64 s[10:11], -1
	s_mov_b64 s[0:1], s[52:53]
	s_branch .LBB15_1049
.LBB15_991:
	s_mov_b64 s[10:11], 0
.LBB15_992:
	s_and_b64 vcc, exec, s[10:11]
	s_cbranch_vccz .LBB15_1007
; %bb.993:
	v_cmp_gt_i16_e32 vcc, 27, v5
	s_mov_b64 s[10:11], -1
	s_cbranch_vccnz .LBB15_999
; %bb.994:
	v_cmp_lt_i16_e32 vcc, 27, v5
	s_cbranch_vccz .LBB15_996
; %bb.995:
	v_cvt_f32_f16_e32 v0, v1
	s_mov_b64 s[10:11], 0
	v_cvt_u32_f32_e32 v0, v0
	global_store_dword v[2:3], v0, off
.LBB15_996:
	s_andn2_b64 vcc, exec, s[10:11]
	s_cbranch_vccnz .LBB15_998
; %bb.997:
	v_cvt_u16_f16_e32 v0, v1
	global_store_short v[2:3], v0, off
.LBB15_998:
	s_mov_b64 s[10:11], 0
.LBB15_999:
	s_andn2_b64 vcc, exec, s[10:11]
	s_cbranch_vccnz .LBB15_1007
; %bb.1000:
	v_cvt_f32_f16_e32 v0, v1
	s_mov_b32 s10, 0x43800000
	v_mov_b32_e32 v6, 0x80
	v_and_b32_e32 v4, 0x7fffffff, v0
	v_cmp_gt_u32_e32 vcc, s10, v4
	s_and_saveexec_b64 s[10:11], vcc
	s_cbranch_execz .LBB15_1006
; %bb.1001:
	s_mov_b32 s12, 0x3bffffff
	v_cmp_lt_u32_e32 vcc, s12, v4
	s_mov_b64 s[12:13], 0
                                        ; implicit-def: $vgpr4
	s_and_saveexec_b64 s[14:15], vcc
	s_xor_b64 s[14:15], exec, s[14:15]
	s_cbranch_execz .LBB15_1160
; %bb.1002:
	v_bfe_u32 v4, v0, 20, 1
	s_mov_b32 s16, 0x487ffff
	v_add3_u32 v4, v0, v4, s16
	s_mov_b64 s[12:13], exec
	v_lshrrev_b32_e32 v4, 20, v4
	s_or_saveexec_b64 s[14:15], s[14:15]
                                        ; implicit-def: $sgpr16
	s_xor_b64 exec, exec, s[14:15]
	s_cbranch_execnz .LBB15_1161
.LBB15_1003:
	s_or_b64 exec, exec, s[14:15]
	v_mov_b32_e32 v6, s16
	s_and_saveexec_b64 s[14:15], s[12:13]
.LBB15_1004:
	v_lshrrev_b32_e32 v0, 24, v0
	s_movk_i32 s12, 0x80
	v_and_or_b32 v6, v0, s12, v4
.LBB15_1005:
	s_or_b64 exec, exec, s[14:15]
.LBB15_1006:
	s_or_b64 exec, exec, s[10:11]
	global_store_byte v[2:3], v6, off
.LBB15_1007:
	s_mov_b64 s[12:13], 0
.LBB15_1008:
	s_mov_b64 s[10:11], 0
	s_and_b64 vcc, exec, s[12:13]
	s_cbranch_vccz .LBB15_1048
; %bb.1009:
	v_cmp_lt_i16_e32 vcc, 22, v5
	s_mov_b64 s[12:13], -1
	s_cbranch_vccz .LBB15_1041
; %bb.1010:
	v_cmp_gt_i16_e32 vcc, 24, v5
	s_cbranch_vccnz .LBB15_1030
; %bb.1011:
	v_cmp_lt_i16_e32 vcc, 24, v5
	s_cbranch_vccz .LBB15_1019
; %bb.1012:
	v_cvt_f32_f16_e32 v0, v1
	s_mov_b32 s12, 0x47800000
	v_mov_b32_e32 v6, 0x80
	v_and_b32_e32 v4, 0x7fffffff, v0
	v_cmp_gt_u32_e32 vcc, s12, v4
	s_and_saveexec_b64 s[12:13], vcc
	s_cbranch_execz .LBB15_1018
; %bb.1013:
	s_mov_b32 s14, 0x37ffffff
	v_cmp_lt_u32_e32 vcc, s14, v4
	s_mov_b64 s[14:15], 0
                                        ; implicit-def: $vgpr4
	s_and_saveexec_b64 s[16:17], vcc
	s_xor_b64 s[16:17], exec, s[16:17]
	s_cbranch_execz .LBB15_1285
; %bb.1014:
	v_bfe_u32 v4, v0, 21, 1
	s_mov_b32 s18, 0x88fffff
	v_add3_u32 v4, v0, v4, s18
	s_mov_b64 s[14:15], exec
	v_lshrrev_b32_e32 v4, 21, v4
	s_or_saveexec_b64 s[16:17], s[16:17]
                                        ; implicit-def: $sgpr18
	s_xor_b64 exec, exec, s[16:17]
	s_cbranch_execnz .LBB15_1286
.LBB15_1015:
	s_or_b64 exec, exec, s[16:17]
	v_mov_b32_e32 v6, s18
	s_and_saveexec_b64 s[16:17], s[14:15]
.LBB15_1016:
	v_lshrrev_b32_e32 v0, 24, v0
	s_movk_i32 s14, 0x80
	v_and_or_b32 v6, v0, s14, v4
.LBB15_1017:
	s_or_b64 exec, exec, s[16:17]
.LBB15_1018:
	s_or_b64 exec, exec, s[12:13]
	s_mov_b64 s[12:13], 0
	global_store_byte v[2:3], v6, off
.LBB15_1019:
	s_and_b64 vcc, exec, s[12:13]
	s_cbranch_vccz .LBB15_1029
; %bb.1020:
	v_cvt_f32_f16_e32 v0, v1
	s_mov_b32 s12, 0x43f00000
                                        ; implicit-def: $vgpr4
	v_and_b32_e32 v6, 0x7fffffff, v0
	v_cmp_gt_u32_e32 vcc, s12, v6
	s_and_saveexec_b64 s[12:13], vcc
	s_xor_b64 s[12:13], exec, s[12:13]
	s_cbranch_execz .LBB15_1026
; %bb.1021:
	s_mov_b32 s14, 0x3c7fffff
	v_cmp_lt_u32_e32 vcc, s14, v6
                                        ; implicit-def: $vgpr4
	s_and_saveexec_b64 s[14:15], vcc
	s_xor_b64 s[14:15], exec, s[14:15]
; %bb.1022:
	v_bfe_u32 v4, v0, 20, 1
	s_mov_b32 s16, 0x407ffff
	v_add3_u32 v4, v0, v4, s16
	v_lshrrev_b32_e32 v6, 20, v4
	v_and_b32_e32 v4, 0xff00000, v4
	s_mov_b32 s16, 0x7f00000
	v_mov_b32_e32 v8, 0x7e
	v_cmp_ne_u32_e32 vcc, s16, v4
	v_cndmask_b32_e32 v4, v8, v6, vcc
; %bb.1023:
	s_andn2_saveexec_b64 s[14:15], s[14:15]
; %bb.1024:
	s_mov_b32 s16, 0x46800000
	v_add_f32_e64 v4, |v0|, s16
; %bb.1025:
	s_or_b64 exec, exec, s[14:15]
                                        ; implicit-def: $vgpr6
.LBB15_1026:
	s_andn2_saveexec_b64 s[12:13], s[12:13]
; %bb.1027:
	s_mov_b32 s14, 0x7f800000
	v_mov_b32_e32 v4, 0x7e
	v_mov_b32_e32 v8, 0x7f
	v_cmp_lt_u32_e32 vcc, s14, v6
	v_cndmask_b32_e32 v4, v4, v8, vcc
; %bb.1028:
	s_or_b64 exec, exec, s[12:13]
	v_lshrrev_b32_e32 v0, 24, v0
	s_movk_i32 s12, 0x80
	v_and_or_b32 v0, v0, s12, v4
	global_store_byte v[2:3], v0, off
.LBB15_1029:
	s_mov_b64 s[12:13], 0
.LBB15_1030:
	s_andn2_b64 vcc, exec, s[12:13]
	s_cbranch_vccnz .LBB15_1040
; %bb.1031:
	v_cvt_f32_f16_e32 v0, v1
	s_mov_b32 s12, 0x47800000
                                        ; implicit-def: $vgpr4
	v_and_b32_e32 v6, 0x7fffffff, v0
	v_cmp_gt_u32_e32 vcc, s12, v6
	s_and_saveexec_b64 s[12:13], vcc
	s_xor_b64 s[12:13], exec, s[12:13]
	s_cbranch_execz .LBB15_1037
; %bb.1032:
	s_mov_b32 s14, 0x387fffff
	v_cmp_lt_u32_e32 vcc, s14, v6
                                        ; implicit-def: $vgpr4
	s_and_saveexec_b64 s[14:15], vcc
	s_xor_b64 s[14:15], exec, s[14:15]
; %bb.1033:
	v_bfe_u32 v4, v0, 21, 1
	s_mov_b32 s16, 0x80fffff
	v_add3_u32 v4, v0, v4, s16
	v_lshrrev_b32_e32 v4, 21, v4
; %bb.1034:
	s_andn2_saveexec_b64 s[14:15], s[14:15]
; %bb.1035:
	s_mov_b32 s16, 0x43000000
	v_add_f32_e64 v4, |v0|, s16
; %bb.1036:
	s_or_b64 exec, exec, s[14:15]
                                        ; implicit-def: $vgpr6
.LBB15_1037:
	s_andn2_saveexec_b64 s[12:13], s[12:13]
; %bb.1038:
	s_mov_b32 s14, 0x7f800000
	v_mov_b32_e32 v4, 0x7c
	v_mov_b32_e32 v8, 0x7f
	v_cmp_lt_u32_e32 vcc, s14, v6
	v_cndmask_b32_e32 v4, v4, v8, vcc
; %bb.1039:
	s_or_b64 exec, exec, s[12:13]
	v_lshrrev_b32_e32 v0, 24, v0
	s_movk_i32 s12, 0x80
	v_and_or_b32 v0, v0, s12, v4
	global_store_byte v[2:3], v0, off
.LBB15_1040:
	s_mov_b64 s[12:13], 0
.LBB15_1041:
	s_andn2_b64 vcc, exec, s[12:13]
	s_mov_b64 s[12:13], 0
	s_cbranch_vccnz .LBB15_1049
; %bb.1042:
	v_cmp_lt_i16_e32 vcc, 14, v5
	s_mov_b64 s[14:15], -1
	s_cbranch_vccz .LBB15_1046
; %bb.1043:
	v_cmp_eq_u16_e32 vcc, 15, v5
	s_mov_b64 s[0:1], -1
	s_cbranch_vccz .LBB15_1045
; %bb.1044:
	v_cvt_f32_f16_e32 v0, v1
	s_movk_i32 s0, 0x7fff
	v_mov_b32_e32 v4, 0x7fc0
	v_cmp_o_f16_e32 vcc, v1, v1
	v_bfe_u32 v6, v0, 16, 1
	v_add3_u32 v0, v0, v6, s0
	v_lshrrev_b32_e32 v0, 16, v0
	v_cndmask_b32_e32 v0, v4, v0, vcc
	global_store_short v[2:3], v0, off
	s_mov_b64 s[0:1], 0
.LBB15_1045:
	s_mov_b64 s[14:15], 0
.LBB15_1046:
	s_and_b64 vcc, exec, s[14:15]
	s_cbranch_vccz .LBB15_1049
; %bb.1047:
	v_cmp_ne_u16_e32 vcc, 11, v5
	s_andn2_b64 s[0:1], s[0:1], exec
	s_and_b64 s[14:15], vcc, exec
	s_mov_b64 s[12:13], -1
	s_or_b64 s[0:1], s[0:1], s[14:15]
	s_branch .LBB15_1049
.LBB15_1048:
	s_mov_b64 s[12:13], 0
.LBB15_1049:
	s_andn2_b64 s[14:15], s[52:53], exec
	s_and_b64 s[0:1], s[0:1], exec
	s_and_b64 s[10:11], s[10:11], exec
	;; [unrolled: 1-line block ×3, first 2 shown]
	s_or_b64 s[52:53], s[14:15], s[0:1]
	s_or_b64 exec, exec, s[8:9]
	s_and_saveexec_b64 s[0:1], s[52:53]
	s_cbranch_execz .LBB15_988
.LBB15_1050:
	s_or_b64 s[2:3], s[2:3], exec
	s_andn2_b64 s[12:13], s[12:13], exec
	s_trap 2
	s_or_b64 exec, exec, s[0:1]
	s_and_saveexec_b64 s[0:1], s[12:13]
	s_xor_b64 s[0:1], exec, s[0:1]
	s_cbranch_execnz .LBB15_989
.LBB15_1051:
	s_or_b64 exec, exec, s[0:1]
	s_and_saveexec_b64 s[0:1], s[10:11]
	s_xor_b64 s[0:1], exec, s[0:1]
	s_cbranch_execz .LBB15_1089
.LBB15_1052:
	v_cmp_gt_i16_e32 vcc, 5, v5
	s_mov_b64 s[8:9], -1
	s_cbranch_vccnz .LBB15_1073
; %bb.1053:
	v_cmp_gt_i16_e32 vcc, 8, v5
	s_cbranch_vccnz .LBB15_1063
; %bb.1054:
	v_cmp_gt_i16_e32 vcc, 9, v5
	s_cbranch_vccnz .LBB15_1060
; %bb.1055:
	v_cmp_lt_i16_e32 vcc, 9, v5
	s_cbranch_vccz .LBB15_1057
; %bb.1056:
	s_waitcnt vmcnt(0)
	v_cvt_f32_f16_e32 v0, v1
	v_mov_b32_e32 v8, 0
	v_mov_b32_e32 v9, v8
	s_mov_b64 s[8:9], 0
	v_cvt_f64_f32_e32 v[6:7], v0
	global_store_dwordx4 v[2:3], v[6:9], off
.LBB15_1057:
	s_andn2_b64 vcc, exec, s[8:9]
	s_cbranch_vccnz .LBB15_1059
; %bb.1058:
	s_waitcnt vmcnt(0)
	v_cvt_f32_f16_e32 v6, v1
	v_mov_b32_e32 v7, 0
	global_store_dwordx2 v[2:3], v[6:7], off
.LBB15_1059:
	s_mov_b64 s[8:9], 0
.LBB15_1060:
	s_andn2_b64 vcc, exec, s[8:9]
	s_cbranch_vccnz .LBB15_1062
; %bb.1061:
	s_waitcnt vmcnt(0)
	v_and_b32_e32 v0, 0xffff, v1
	global_store_dword v[2:3], v0, off
.LBB15_1062:
	s_mov_b64 s[8:9], 0
.LBB15_1063:
	s_andn2_b64 vcc, exec, s[8:9]
	s_cbranch_vccnz .LBB15_1072
; %bb.1064:
	v_cmp_gt_i16_e32 vcc, 6, v5
	s_mov_b64 s[8:9], -1
	s_cbranch_vccnz .LBB15_1070
; %bb.1065:
	v_cmp_lt_i16_e32 vcc, 6, v5
	s_cbranch_vccz .LBB15_1067
; %bb.1066:
	s_waitcnt vmcnt(0)
	v_cvt_f32_f16_e32 v0, v1
	s_mov_b64 s[8:9], 0
	v_cvt_f64_f32_e32 v[6:7], v0
	global_store_dwordx2 v[2:3], v[6:7], off
.LBB15_1067:
	s_andn2_b64 vcc, exec, s[8:9]
	s_cbranch_vccnz .LBB15_1069
; %bb.1068:
	s_waitcnt vmcnt(0)
	v_cvt_f32_f16_e32 v0, v1
	global_store_dword v[2:3], v0, off
.LBB15_1069:
	s_mov_b64 s[8:9], 0
.LBB15_1070:
	s_andn2_b64 vcc, exec, s[8:9]
	s_cbranch_vccnz .LBB15_1072
; %bb.1071:
	s_waitcnt vmcnt(0)
	global_store_short v[2:3], v1, off
.LBB15_1072:
	s_mov_b64 s[8:9], 0
.LBB15_1073:
	s_andn2_b64 vcc, exec, s[8:9]
	s_cbranch_vccnz .LBB15_1089
; %bb.1074:
	v_cmp_gt_i16_e32 vcc, 2, v5
	s_mov_b64 s[8:9], -1
	s_cbranch_vccnz .LBB15_1084
; %bb.1075:
	v_cmp_gt_i16_e32 vcc, 3, v5
	s_cbranch_vccnz .LBB15_1081
; %bb.1076:
	v_cmp_lt_i16_e32 vcc, 3, v5
	s_cbranch_vccz .LBB15_1078
; %bb.1077:
	s_waitcnt vmcnt(0)
	v_cvt_f32_f16_e32 v0, v1
	s_mov_b64 s[8:9], 0
	v_cvt_i32_f32_e32 v6, v0
	v_ashrrev_i32_e32 v7, 31, v6
	global_store_dwordx2 v[2:3], v[6:7], off
.LBB15_1078:
	s_andn2_b64 vcc, exec, s[8:9]
	s_cbranch_vccnz .LBB15_1080
; %bb.1079:
	s_waitcnt vmcnt(0)
	v_cvt_f32_f16_e32 v0, v1
	v_cvt_i32_f32_e32 v0, v0
	global_store_dword v[2:3], v0, off
.LBB15_1080:
	s_mov_b64 s[8:9], 0
.LBB15_1081:
	s_andn2_b64 vcc, exec, s[8:9]
	s_cbranch_vccnz .LBB15_1083
; %bb.1082:
	s_waitcnt vmcnt(0)
	v_cvt_i16_f16_e32 v0, v1
	global_store_short v[2:3], v0, off
.LBB15_1083:
	s_mov_b64 s[8:9], 0
.LBB15_1084:
	s_andn2_b64 vcc, exec, s[8:9]
	s_cbranch_vccnz .LBB15_1089
; %bb.1085:
	v_cmp_lt_i16_e32 vcc, 0, v5
	s_mov_b64 s[8:9], -1
	s_cbranch_vccz .LBB15_1087
; %bb.1086:
	s_waitcnt vmcnt(0)
	v_cvt_i16_f16_e32 v0, v1
	s_mov_b64 s[8:9], 0
	global_store_byte v[2:3], v0, off
.LBB15_1087:
	s_andn2_b64 vcc, exec, s[8:9]
	s_cbranch_vccnz .LBB15_1089
; %bb.1088:
	s_waitcnt vmcnt(0)
	v_cvt_f32_f16_e32 v0, v1
	v_cvt_i32_f32_e32 v0, v0
	global_store_byte v[2:3], v0, off
.LBB15_1089:
	s_or_b64 exec, exec, s[0:1]
	s_and_b64 s[28:29], s[2:3], exec
                                        ; implicit-def: $vgpr9
                                        ; implicit-def: $vgpr8
.LBB15_1090:
	s_or_saveexec_b64 s[30:31], s[42:43]
	s_mov_b64 s[0:1], 0
                                        ; implicit-def: $vgpr0_vgpr1
                                        ; implicit-def: $sgpr16
                                        ; implicit-def: $vgpr2
                                        ; implicit-def: $vgpr3
	s_xor_b64 exec, exec, s[30:31]
	s_cbranch_execz .LBB15_2046
; %bb.1091:
	v_cndmask_b32_e64 v0, 0, 1, s[40:41]
	v_cmp_ne_u32_e64 s[0:1], 1, v0
	s_andn2_b64 vcc, exec, s[40:41]
	s_cbranch_vccnz .LBB15_1098
; %bb.1092:
	s_mov_b32 s2, 0
	s_cmp_lg_u32 s33, 0
	v_mov_b32_e32 v14, 0
	s_waitcnt vmcnt(0)
	v_mov_b32_e32 v6, 0
	s_cbranch_scc0 .LBB15_1097
; %bb.1093:
	s_min_u32 s38, s74, 15
	s_add_i32 s38, s38, 1
	s_cmp_eq_u32 s74, 2
	s_cbranch_scc1 .LBB15_1099
; %bb.1094:
	s_add_u32 s6, s34, 0xc4
	s_addc_u32 s7, s35, 0
	s_and_b32 s2, s38, 28
	s_mov_b32 s3, 0
	v_mov_b32_e32 v6, 0
	s_mov_b64 s[36:37], s[34:35]
	v_mov_b32_e32 v0, v8
	v_mov_b32_e32 v14, 0
.LBB15_1095:                            ; =>This Inner Loop Header: Depth=1
	s_load_dwordx8 s[16:23], s[36:37], 0x4
	s_load_dwordx4 s[24:27], s[36:37], 0x24
	s_load_dwordx8 s[8:15], s[6:7], 0x0
	s_add_u32 s36, s36, 48
	s_addc_u32 s37, s37, 0
	s_waitcnt lgkmcnt(0)
	v_mul_hi_u32 v1, s17, v0
	v_add_u32_e32 v1, v0, v1
	v_lshrrev_b32_e32 v1, s18, v1
	v_mul_lo_u32 v2, v1, s16
	v_mul_hi_u32 v3, s20, v1
	v_sub_u32_e32 v0, v0, v2
	v_add_u32_e32 v2, v1, v3
	v_lshrrev_b32_e32 v2, s21, v2
	v_mul_lo_u32 v4, v2, s19
	v_mul_hi_u32 v5, s23, v2
	v_sub_u32_e32 v1, v1, v4
	v_add_u32_e32 v4, v2, v5
	v_mul_lo_u32 v3, v0, s9
	v_mul_lo_u32 v0, v0, s8
	;; [unrolled: 1-line block ×4, first 2 shown]
	v_lshrrev_b32_e32 v4, s24, v4
	v_add3_u32 v1, v0, v6, v1
	v_add3_u32 v3, v3, v14, v5
	v_mul_lo_u32 v0, v4, s22
	v_mul_hi_u32 v5, s26, v4
	v_sub_u32_e32 v0, v2, v0
	v_add_u32_e32 v2, v4, v5
	v_mul_lo_u32 v5, v0, s12
	v_mul_lo_u32 v6, v0, s13
	v_lshrrev_b32_e32 v0, s27, v2
	s_add_i32 s3, s3, 4
	v_mul_lo_u32 v2, v0, s25
	s_add_u32 s6, s6, 32
	v_sub_u32_e32 v2, v4, v2
	s_addc_u32 s7, s7, 0
	v_mul_lo_u32 v4, v2, s14
	v_mul_lo_u32 v2, v2, s15
	s_cmp_lg_u32 s2, s3
	v_add3_u32 v14, v6, v3, v2
	v_add3_u32 v6, v5, v1, v4
	s_cbranch_scc1 .LBB15_1095
; %bb.1096:
	v_mov_b32_e32 v7, v14
	s_and_b32 s8, s38, 3
	s_cmp_eq_u32 s8, 0
	s_cbranch_scc0 .LBB15_1100
.LBB15_1097:
	s_cbranch_execz .LBB15_1103
	s_branch .LBB15_1105
.LBB15_1098:
                                        ; implicit-def: $vgpr14
                                        ; implicit-def: $vgpr6
	s_branch .LBB15_1103
.LBB15_1099:
	s_mov_b32 s3, s2
	v_pk_mov_b32 v[6:7], s[2:3], s[2:3] op_sel:[0,1]
                                        ; implicit-def: $vgpr14
	v_mov_b32_e32 v0, v8
	s_and_b32 s8, s38, 3
	s_cmp_eq_u32 s8, 0
	s_cbranch_scc1 .LBB15_1097
.LBB15_1100:
	s_lshl_b32 s3, s2, 3
	s_add_u32 s3, s3, s34
	s_addc_u32 s7, 0, s35
	s_add_u32 s6, s3, 0xc4
	s_addc_u32 s7, s7, 0
	s_mul_i32 s2, s2, 12
	s_add_u32 s2, s34, s2
	s_addc_u32 s3, 0, s35
.LBB15_1101:                            ; =>This Inner Loop Header: Depth=1
	s_load_dwordx2 s[10:11], s[2:3], 0x4
	s_load_dword s9, s[2:3], 0xc
	s_load_dwordx2 s[12:13], s[6:7], 0x0
	s_add_u32 s2, s2, 12
	s_addc_u32 s3, s3, 0
	s_waitcnt lgkmcnt(0)
	v_mul_hi_u32 v1, s11, v0
	v_add_u32_e32 v1, v0, v1
	v_lshrrev_b32_e32 v1, s9, v1
	v_mul_lo_u32 v3, v1, s10
	v_mov_b32_e32 v2, v7
	s_add_u32 s6, s6, 8
	v_sub_u32_e32 v4, v0, v3
	s_addc_u32 s7, s7, 0
	s_add_i32 s8, s8, -1
	v_mad_u64_u32 v[2:3], s[10:11], v4, s13, v[2:3]
	v_mad_u64_u32 v[6:7], s[10:11], v4, s12, v[6:7]
	s_cmp_lg_u32 s8, 0
	v_mov_b32_e32 v0, v1
	v_mov_b32_e32 v7, v2
	s_cbranch_scc1 .LBB15_1101
; %bb.1102:
	v_mov_b32_e32 v14, v7
	s_cbranch_execnz .LBB15_1105
.LBB15_1103:
	s_load_dwordx4 s[8:11], s[34:35], 0x4
	s_load_dwordx2 s[2:3], s[34:35], 0xc4
	s_cmp_lt_u32 s33, 2
	s_waitcnt lgkmcnt(0)
	v_mul_hi_u32 v0, s9, v8
	v_add_u32_e32 v0, v8, v0
	v_lshrrev_b32_e32 v0, s10, v0
	s_waitcnt vmcnt(0)
	v_mul_lo_u32 v1, v0, s8
	v_sub_u32_e32 v1, v8, v1
	v_mul_lo_u32 v14, v1, s3
	v_mul_lo_u32 v6, v1, s2
	s_cbranch_scc1 .LBB15_1105
; %bb.1104:
	s_load_dwordx4 s[8:11], s[34:35], 0x10
	s_load_dwordx2 s[2:3], s[34:35], 0xcc
	s_waitcnt lgkmcnt(0)
	v_mul_hi_u32 v1, s9, v0
	v_add_u32_e32 v1, v0, v1
	v_lshrrev_b32_e32 v1, s10, v1
	v_mul_lo_u32 v1, v1, s8
	v_sub_u32_e32 v0, v0, v1
	v_mad_u64_u32 v[6:7], s[6:7], v0, s2, v[6:7]
	v_mad_u64_u32 v[14:15], s[2:3], v0, s3, v[14:15]
.LBB15_1105:
	s_and_b64 vcc, exec, s[0:1]
	v_add_u32_e32 v0, 0x80, v8
	s_cbranch_vccnz .LBB15_1112
; %bb.1106:
	s_mov_b32 s2, 0
	s_cmp_lg_u32 s33, 0
	v_mov_b32_e32 v12, 0
	v_mov_b32_e32 v4, 0
	s_cbranch_scc0 .LBB15_1111
; %bb.1107:
	s_min_u32 s38, s74, 15
	s_add_i32 s38, s38, 1
	s_cmp_eq_u32 s74, 2
	s_cbranch_scc1 .LBB15_1113
; %bb.1108:
	s_add_u32 s6, s34, 0xc4
	s_addc_u32 s7, s35, 0
	s_and_b32 s2, s38, 28
	s_mov_b32 s3, 0
	v_mov_b32_e32 v4, 0
	s_mov_b64 s[36:37], s[34:35]
	s_waitcnt vmcnt(0)
	v_mov_b32_e32 v1, v0
	v_mov_b32_e32 v12, 0
.LBB15_1109:                            ; =>This Inner Loop Header: Depth=1
	s_load_dwordx8 s[16:23], s[36:37], 0x4
	s_load_dwordx4 s[24:27], s[36:37], 0x24
	s_load_dwordx8 s[8:15], s[6:7], 0x0
	s_add_u32 s36, s36, 48
	s_addc_u32 s37, s37, 0
	s_waitcnt lgkmcnt(0)
	v_mul_hi_u32 v2, s17, v1
	v_add_u32_e32 v2, v1, v2
	v_lshrrev_b32_e32 v2, s18, v2
	v_mul_lo_u32 v3, v2, s16
	v_mul_hi_u32 v5, s20, v2
	v_sub_u32_e32 v1, v1, v3
	v_add_u32_e32 v3, v2, v5
	v_lshrrev_b32_e32 v3, s21, v3
	v_mul_lo_u32 v7, v3, s19
	v_mul_hi_u32 v10, s23, v3
	v_sub_u32_e32 v2, v2, v7
	v_add_u32_e32 v7, v3, v10
	v_mul_lo_u32 v5, v1, s9
	v_mul_lo_u32 v1, v1, s8
	v_mul_lo_u32 v10, v2, s11
	v_mul_lo_u32 v2, v2, s10
	v_lshrrev_b32_e32 v7, s24, v7
	v_add3_u32 v2, v1, v4, v2
	v_add3_u32 v4, v5, v12, v10
	v_mul_lo_u32 v1, v7, s22
	v_mul_hi_u32 v5, s26, v7
	v_sub_u32_e32 v1, v3, v1
	v_add_u32_e32 v3, v7, v5
	v_mul_lo_u32 v5, v1, s12
	v_mul_lo_u32 v10, v1, s13
	v_lshrrev_b32_e32 v1, s27, v3
	s_add_i32 s3, s3, 4
	v_mul_lo_u32 v3, v1, s25
	s_add_u32 s6, s6, 32
	v_sub_u32_e32 v3, v7, v3
	s_addc_u32 s7, s7, 0
	v_mul_lo_u32 v7, v3, s14
	v_mul_lo_u32 v3, v3, s15
	s_cmp_lg_u32 s2, s3
	v_add3_u32 v12, v10, v4, v3
	v_add3_u32 v4, v5, v2, v7
	s_cbranch_scc1 .LBB15_1109
; %bb.1110:
	v_mov_b32_e32 v5, v12
	s_and_b32 s8, s38, 3
	s_cmp_eq_u32 s8, 0
	s_cbranch_scc0 .LBB15_1114
.LBB15_1111:
	s_cbranch_execz .LBB15_1117
	s_branch .LBB15_1119
.LBB15_1112:
                                        ; implicit-def: $vgpr12
                                        ; implicit-def: $vgpr4
	s_branch .LBB15_1117
.LBB15_1113:
	s_mov_b32 s3, s2
	v_pk_mov_b32 v[4:5], s[2:3], s[2:3] op_sel:[0,1]
                                        ; implicit-def: $vgpr12
	s_waitcnt vmcnt(0)
	v_mov_b32_e32 v1, v0
	s_and_b32 s8, s38, 3
	s_cmp_eq_u32 s8, 0
	s_cbranch_scc1 .LBB15_1111
.LBB15_1114:
	s_lshl_b32 s3, s2, 3
	s_add_u32 s3, s3, s34
	s_addc_u32 s7, 0, s35
	s_add_u32 s6, s3, 0xc4
	s_addc_u32 s7, s7, 0
	s_mul_i32 s2, s2, 12
	s_add_u32 s2, s34, s2
	s_addc_u32 s3, 0, s35
.LBB15_1115:                            ; =>This Inner Loop Header: Depth=1
	s_load_dwordx2 s[10:11], s[2:3], 0x4
	s_load_dword s9, s[2:3], 0xc
	s_load_dwordx2 s[12:13], s[6:7], 0x0
	s_add_u32 s2, s2, 12
	v_mov_b32_e32 v2, v5
	s_waitcnt lgkmcnt(0)
	v_mul_hi_u32 v3, s11, v1
	v_add_u32_e32 v3, v1, v3
	v_lshrrev_b32_e32 v3, s9, v3
	s_addc_u32 s3, s3, 0
	v_mul_lo_u32 v5, v3, s10
	s_add_u32 s6, s6, 8
	v_sub_u32_e32 v5, v1, v5
	s_addc_u32 s7, s7, 0
	s_add_i32 s8, s8, -1
	v_mov_b32_e32 v1, v3
	v_mad_u64_u32 v[2:3], s[10:11], v5, s13, v[2:3]
	v_mad_u64_u32 v[4:5], s[10:11], v5, s12, v[4:5]
	s_cmp_lg_u32 s8, 0
	v_mov_b32_e32 v5, v2
	s_cbranch_scc1 .LBB15_1115
; %bb.1116:
	v_mov_b32_e32 v12, v5
	s_cbranch_execnz .LBB15_1119
.LBB15_1117:
	s_load_dwordx4 s[8:11], s[34:35], 0x4
	s_load_dwordx2 s[2:3], s[34:35], 0xc4
	s_cmp_lt_u32 s33, 2
	s_waitcnt vmcnt(0) lgkmcnt(0)
	v_mul_hi_u32 v1, s9, v0
	v_add_u32_e32 v1, v0, v1
	v_lshrrev_b32_e32 v1, s10, v1
	v_mul_lo_u32 v2, v1, s8
	v_sub_u32_e32 v0, v0, v2
	v_mul_lo_u32 v12, v0, s3
	v_mul_lo_u32 v4, v0, s2
	s_cbranch_scc1 .LBB15_1119
; %bb.1118:
	s_load_dwordx4 s[8:11], s[34:35], 0x10
	s_load_dwordx2 s[2:3], s[34:35], 0xcc
	s_waitcnt lgkmcnt(0)
	v_mul_hi_u32 v0, s9, v1
	v_add_u32_e32 v0, v1, v0
	v_lshrrev_b32_e32 v0, s10, v0
	v_mul_lo_u32 v0, v0, s8
	v_sub_u32_e32 v0, v1, v0
	v_mad_u64_u32 v[4:5], s[6:7], v0, s2, v[4:5]
	v_mad_u64_u32 v[12:13], s[2:3], v0, s3, v[12:13]
.LBB15_1119:
	s_and_b64 vcc, exec, s[0:1]
	v_add_u32_e32 v0, 0x100, v8
	s_cbranch_vccnz .LBB15_1126
; %bb.1120:
	s_mov_b32 s2, 0
	s_cmp_lg_u32 s33, 0
	v_mov_b32_e32 v10, 0
	v_mov_b32_e32 v2, 0
	s_cbranch_scc0 .LBB15_1125
; %bb.1121:
	s_min_u32 s38, s74, 15
	s_add_i32 s38, s38, 1
	s_cmp_eq_u32 s74, 2
	s_cbranch_scc1 .LBB15_1127
; %bb.1122:
	s_add_u32 s6, s34, 0xc4
	s_addc_u32 s7, s35, 0
	s_and_b32 s2, s38, 28
	s_mov_b32 s3, 0
	v_mov_b32_e32 v2, 0
	s_mov_b64 s[36:37], s[34:35]
	s_waitcnt vmcnt(0)
	v_mov_b32_e32 v1, v0
	v_mov_b32_e32 v10, 0
.LBB15_1123:                            ; =>This Inner Loop Header: Depth=1
	s_load_dwordx8 s[16:23], s[36:37], 0x4
	s_load_dwordx4 s[24:27], s[36:37], 0x24
	s_load_dwordx8 s[8:15], s[6:7], 0x0
	s_add_u32 s36, s36, 48
	s_addc_u32 s37, s37, 0
	s_waitcnt lgkmcnt(0)
	v_mul_hi_u32 v3, s17, v1
	v_add_u32_e32 v3, v1, v3
	v_lshrrev_b32_e32 v3, s18, v3
	v_mul_lo_u32 v5, v3, s16
	v_mul_hi_u32 v7, s20, v3
	v_sub_u32_e32 v1, v1, v5
	v_add_u32_e32 v5, v3, v7
	v_lshrrev_b32_e32 v5, s21, v5
	v_mul_lo_u32 v8, v5, s19
	v_mul_hi_u32 v11, s23, v5
	v_sub_u32_e32 v3, v3, v8
	v_add_u32_e32 v8, v5, v11
	v_mul_lo_u32 v7, v1, s9
	v_mul_lo_u32 v1, v1, s8
	;; [unrolled: 1-line block ×4, first 2 shown]
	v_lshrrev_b32_e32 v8, s24, v8
	v_add3_u32 v2, v1, v2, v3
	v_add3_u32 v3, v7, v10, v11
	v_mul_lo_u32 v1, v8, s22
	v_mul_hi_u32 v7, s26, v8
	v_sub_u32_e32 v1, v5, v1
	v_add_u32_e32 v5, v8, v7
	v_mul_lo_u32 v7, v1, s12
	v_mul_lo_u32 v10, v1, s13
	v_lshrrev_b32_e32 v1, s27, v5
	s_add_i32 s3, s3, 4
	v_mul_lo_u32 v5, v1, s25
	s_add_u32 s6, s6, 32
	v_sub_u32_e32 v5, v8, v5
	s_addc_u32 s7, s7, 0
	v_mul_lo_u32 v8, v5, s14
	v_mul_lo_u32 v5, v5, s15
	s_cmp_lg_u32 s2, s3
	v_add3_u32 v10, v10, v3, v5
	v_add3_u32 v2, v7, v2, v8
	s_cbranch_scc1 .LBB15_1123
; %bb.1124:
	v_mov_b32_e32 v3, v10
	s_and_b32 s8, s38, 3
	s_cmp_eq_u32 s8, 0
	s_cbranch_scc0 .LBB15_1128
.LBB15_1125:
	s_cbranch_execz .LBB15_1131
	s_branch .LBB15_1133
.LBB15_1126:
                                        ; implicit-def: $vgpr10
                                        ; implicit-def: $vgpr2
	s_branch .LBB15_1131
.LBB15_1127:
	s_mov_b32 s3, s2
	v_pk_mov_b32 v[2:3], s[2:3], s[2:3] op_sel:[0,1]
                                        ; implicit-def: $vgpr10
	s_waitcnt vmcnt(0)
	v_mov_b32_e32 v1, v0
	s_and_b32 s8, s38, 3
	s_cmp_eq_u32 s8, 0
	s_cbranch_scc1 .LBB15_1125
.LBB15_1128:
	s_lshl_b32 s3, s2, 3
	s_add_u32 s3, s3, s34
	s_addc_u32 s7, 0, s35
	s_add_u32 s6, s3, 0xc4
	s_addc_u32 s7, s7, 0
	s_mul_i32 s2, s2, 12
	s_add_u32 s2, s34, s2
	s_addc_u32 s3, 0, s35
.LBB15_1129:                            ; =>This Inner Loop Header: Depth=1
	s_load_dwordx2 s[10:11], s[2:3], 0x4
	s_load_dword s9, s[2:3], 0xc
	s_load_dwordx2 s[12:13], s[6:7], 0x0
	v_mov_b32_e32 v8, v3
	s_add_u32 s2, s2, 12
	s_waitcnt lgkmcnt(0)
	v_mul_hi_u32 v3, s11, v1
	v_add_u32_e32 v3, v1, v3
	v_lshrrev_b32_e32 v3, s9, v3
	s_addc_u32 s3, s3, 0
	v_mul_lo_u32 v5, v3, s10
	s_add_u32 s6, s6, 8
	v_sub_u32_e32 v5, v1, v5
	s_addc_u32 s7, s7, 0
	s_add_i32 s8, s8, -1
	v_mov_b32_e32 v1, v3
	v_mad_u64_u32 v[10:11], s[10:11], v5, s13, v[8:9]
	v_mad_u64_u32 v[2:3], s[10:11], v5, s12, v[2:3]
	s_cmp_lg_u32 s8, 0
	v_mov_b32_e32 v3, v10
	s_cbranch_scc1 .LBB15_1129
; %bb.1130:
	v_mov_b32_e32 v10, v3
	s_cbranch_execnz .LBB15_1133
.LBB15_1131:
	s_load_dwordx4 s[8:11], s[34:35], 0x4
	s_load_dwordx2 s[2:3], s[34:35], 0xc4
	s_cmp_lt_u32 s33, 2
	s_waitcnt vmcnt(0) lgkmcnt(0)
	v_mul_hi_u32 v1, s9, v0
	v_add_u32_e32 v1, v0, v1
	v_lshrrev_b32_e32 v1, s10, v1
	v_mul_lo_u32 v2, v1, s8
	v_sub_u32_e32 v0, v0, v2
	v_mul_lo_u32 v10, v0, s3
	v_mul_lo_u32 v2, v0, s2
	s_cbranch_scc1 .LBB15_1133
; %bb.1132:
	s_load_dwordx4 s[8:11], s[34:35], 0x10
	s_load_dwordx2 s[2:3], s[34:35], 0xcc
	s_waitcnt lgkmcnt(0)
	v_mul_hi_u32 v0, s9, v1
	v_add_u32_e32 v0, v1, v0
	v_lshrrev_b32_e32 v0, s10, v0
	v_mul_lo_u32 v0, v0, s8
	v_sub_u32_e32 v0, v1, v0
	v_mad_u64_u32 v[2:3], s[6:7], v0, s2, v[2:3]
	v_mad_u64_u32 v[10:11], s[2:3], v0, s3, v[10:11]
.LBB15_1133:
	s_and_b64 vcc, exec, s[0:1]
	s_cbranch_vccnz .LBB15_1140
; %bb.1134:
	s_mov_b32 s6, 0
	s_cmp_lg_u32 s33, 0
	v_mov_b32_e32 v8, 0
	v_mov_b32_e32 v0, 0
	s_cbranch_scc0 .LBB15_1139
; %bb.1135:
	s_min_u32 s36, s74, 15
	s_add_i32 s36, s36, 1
	s_cmp_eq_u32 s74, 2
	s_cbranch_scc1 .LBB15_1141
; %bb.1136:
	s_add_u32 s24, s34, 0xc4
	s_addc_u32 s25, s35, 0
	s_and_b32 s6, s36, 28
	s_mov_b32 s7, 0
	v_mov_b32_e32 v0, 0
	s_mov_b64 s[26:27], s[34:35]
	v_mov_b32_e32 v3, v9
	v_mov_b32_e32 v8, 0
.LBB15_1137:                            ; =>This Inner Loop Header: Depth=1
	s_load_dwordx8 s[16:23], s[26:27], 0x4
	s_load_dwordx4 s[0:3], s[26:27], 0x24
	s_load_dwordx8 s[8:15], s[24:25], 0x0
	s_add_u32 s26, s26, 48
	s_addc_u32 s27, s27, 0
	s_waitcnt vmcnt(0) lgkmcnt(0)
	v_mul_hi_u32 v1, s17, v3
	v_add_u32_e32 v1, v3, v1
	v_lshrrev_b32_e32 v1, s18, v1
	v_mul_lo_u32 v5, v1, s16
	v_mul_hi_u32 v7, s20, v1
	v_sub_u32_e32 v3, v3, v5
	v_add_u32_e32 v5, v1, v7
	v_lshrrev_b32_e32 v5, s21, v5
	v_mul_lo_u32 v11, v5, s19
	v_mul_hi_u32 v13, s23, v5
	v_sub_u32_e32 v1, v1, v11
	v_add_u32_e32 v11, v5, v13
	v_mul_lo_u32 v7, v3, s9
	v_mul_lo_u32 v3, v3, s8
	;; [unrolled: 1-line block ×4, first 2 shown]
	v_lshrrev_b32_e32 v11, s0, v11
	v_add3_u32 v0, v3, v0, v1
	v_add3_u32 v1, v7, v8, v13
	v_mul_lo_u32 v3, v11, s22
	v_mul_hi_u32 v7, s2, v11
	v_sub_u32_e32 v3, v5, v3
	v_add_u32_e32 v5, v11, v7
	v_mul_lo_u32 v7, v3, s12
	v_mul_lo_u32 v8, v3, s13
	v_lshrrev_b32_e32 v3, s3, v5
	s_add_i32 s7, s7, 4
	v_mul_lo_u32 v5, v3, s1
	s_add_u32 s24, s24, 32
	v_sub_u32_e32 v5, v11, v5
	s_addc_u32 s25, s25, 0
	v_mul_lo_u32 v11, v5, s14
	v_mul_lo_u32 v5, v5, s15
	s_cmp_lg_u32 s6, s7
	v_add3_u32 v8, v8, v1, v5
	v_add3_u32 v0, v7, v0, v11
	s_cbranch_scc1 .LBB15_1137
; %bb.1138:
	v_mov_b32_e32 v1, v8
	s_and_b32 s7, s36, 3
	s_cmp_eq_u32 s7, 0
	s_cbranch_scc0 .LBB15_1142
.LBB15_1139:
	s_cbranch_execz .LBB15_1145
	s_branch .LBB15_1147
.LBB15_1140:
                                        ; implicit-def: $vgpr8
                                        ; implicit-def: $vgpr0
	s_branch .LBB15_1145
.LBB15_1141:
	s_mov_b32 s7, s6
	s_waitcnt vmcnt(0)
	v_pk_mov_b32 v[0:1], s[6:7], s[6:7] op_sel:[0,1]
                                        ; implicit-def: $vgpr8
	v_mov_b32_e32 v3, v9
	s_and_b32 s7, s36, 3
	s_cmp_eq_u32 s7, 0
	s_cbranch_scc1 .LBB15_1139
.LBB15_1142:
	s_lshl_b32 s0, s6, 3
	s_add_u32 s0, s0, s34
	s_addc_u32 s1, 0, s35
	s_add_u32 s0, s0, 0xc4
	s_addc_u32 s1, s1, 0
	s_mul_i32 s2, s6, 12
	s_add_u32 s2, s34, s2
	s_addc_u32 s3, 0, s35
.LBB15_1143:                            ; =>This Inner Loop Header: Depth=1
	s_load_dwordx2 s[8:9], s[2:3], 0x4
	s_load_dword s6, s[2:3], 0xc
	s_load_dwordx2 s[10:11], s[0:1], 0x0
	v_mov_b32_e32 v8, v1
	s_add_u32 s2, s2, 12
	s_waitcnt lgkmcnt(0)
	v_mul_hi_u32 v1, s9, v3
	v_add_u32_e32 v1, v3, v1
	v_lshrrev_b32_e32 v1, s6, v1
	s_addc_u32 s3, s3, 0
	v_mul_lo_u32 v5, v1, s8
	s_add_u32 s0, s0, 8
	v_sub_u32_e32 v5, v3, v5
	s_addc_u32 s1, s1, 0
	s_add_i32 s7, s7, -1
	v_mov_b32_e32 v3, v1
	v_mad_u64_u32 v[16:17], s[8:9], v5, s11, v[8:9]
	v_mad_u64_u32 v[0:1], s[8:9], v5, s10, v[0:1]
	s_cmp_lg_u32 s7, 0
	v_mov_b32_e32 v1, v16
	s_cbranch_scc1 .LBB15_1143
; %bb.1144:
	v_mov_b32_e32 v8, v1
	s_cbranch_execnz .LBB15_1147
.LBB15_1145:
	s_load_dwordx4 s[0:3], s[34:35], 0x4
	s_load_dwordx2 s[6:7], s[34:35], 0xc4
	s_cmp_lt_u32 s33, 2
	s_waitcnt lgkmcnt(0)
	v_mul_hi_u32 v0, s1, v9
	v_add_u32_e32 v0, v9, v0
	s_waitcnt vmcnt(0)
	v_lshrrev_b32_e32 v1, s2, v0
	v_mul_lo_u32 v0, v1, s0
	v_sub_u32_e32 v0, v9, v0
	v_mul_lo_u32 v8, v0, s7
	v_mul_lo_u32 v0, v0, s6
	s_cbranch_scc1 .LBB15_1147
; %bb.1146:
	s_load_dwordx4 s[0:3], s[34:35], 0x10
	s_load_dwordx2 s[6:7], s[34:35], 0xcc
	s_waitcnt lgkmcnt(0)
	v_mul_hi_u32 v3, s1, v1
	v_add_u32_e32 v3, v1, v3
	v_lshrrev_b32_e32 v3, s2, v3
	v_mul_lo_u32 v3, v3, s0
	v_sub_u32_e32 v3, v1, v3
	v_mad_u64_u32 v[0:1], s[0:1], v3, s6, v[0:1]
	v_mad_u64_u32 v[8:9], s[0:1], v3, s7, v[8:9]
.LBB15_1147:
	s_load_dword s0, s[4:5], 0x164
	s_load_dwordx4 s[8:11], s[34:35], 0x148
	s_waitcnt lgkmcnt(0)
	s_lshr_b32 s18, s0, 8
	s_waitcnt vmcnt(0)
	v_mov_b32_e32 v1, s11
	v_add_co_u32_e32 v14, vcc, s10, v14
	v_addc_co_u32_e32 v15, vcc, 0, v1, vcc
	v_mov_b32_e32 v1, 11
	v_cmp_lt_i16_sdwa s[0:1], s18, v1 src0_sel:BYTE_0 src1_sel:DWORD
	s_and_b64 vcc, exec, s[0:1]
	s_cbranch_vccnz .LBB15_1154
; %bb.1148:
	v_mov_b32_e32 v1, 25
	v_cmp_gt_i16_sdwa s[0:1], s18, v1 src0_sel:BYTE_0 src1_sel:DWORD
	s_mov_b64 s[6:7], 0
	s_and_b64 vcc, exec, s[0:1]
	s_cbranch_vccz .LBB15_1156
; %bb.1149:
	v_mov_b32_e32 v1, 28
	v_cmp_gt_i16_sdwa s[0:1], s18, v1 src0_sel:BYTE_0 src1_sel:DWORD
	s_and_b64 vcc, exec, s[0:1]
	s_cbranch_vccz .LBB15_1157
; %bb.1150:
	v_mov_b32_e32 v1, 43
	v_cmp_gt_i16_sdwa s[0:1], s18, v1 src0_sel:BYTE_0 src1_sel:DWORD
	s_and_b64 vcc, exec, s[0:1]
	s_cbranch_vccz .LBB15_1158
; %bb.1151:
	v_mov_b32_e32 v1, 45
	v_cmp_gt_i16_sdwa s[0:1], s18, v1 src0_sel:BYTE_0 src1_sel:DWORD
	s_and_b64 vcc, exec, s[0:1]
	s_cbranch_vccz .LBB15_1159
; %bb.1152:
	v_mov_b32_e32 v1, 46
	v_cmp_eq_u16_sdwa s[0:1], s18, v1 src0_sel:BYTE_0 src1_sel:DWORD
	s_mov_b64 s[2:3], 0
	s_and_b64 vcc, exec, s[0:1]
	s_cbranch_vccz .LBB15_1162
; %bb.1153:
	global_load_dword v1, v[14:15], off
	s_mov_b64 s[0:1], 0
	s_mov_b64 s[12:13], -1
	s_waitcnt vmcnt(0)
	v_lshlrev_b32_e32 v1, 16, v1
	v_cvt_f16_f32_e32 v1, v1
	s_branch .LBB15_1163
.LBB15_1154:
	s_mov_b64 s[12:13], 0
                                        ; implicit-def: $vgpr1
	s_mov_b64 s[2:3], s[28:29]
	s_cbranch_execnz .LBB15_1226
.LBB15_1155:
	s_andn2_b64 vcc, exec, s[12:13]
	s_cbranch_vccz .LBB15_1271
	s_branch .LBB15_2044
.LBB15_1156:
	s_mov_b64 s[12:13], 0
	s_mov_b64 s[0:1], 0
                                        ; implicit-def: $vgpr1
	s_cbranch_execnz .LBB15_1191
	s_branch .LBB15_1222
.LBB15_1157:
	s_mov_b64 s[2:3], -1
	s_mov_b64 s[12:13], 0
	s_mov_b64 s[0:1], 0
                                        ; implicit-def: $vgpr1
	s_branch .LBB15_1172
.LBB15_1158:
	s_mov_b64 s[12:13], 0
	s_mov_b64 s[0:1], 0
                                        ; implicit-def: $vgpr1
	s_cbranch_execnz .LBB15_1168
	s_branch .LBB15_1171
.LBB15_1159:
	s_mov_b64 s[2:3], -1
	s_mov_b64 s[12:13], 0
	s_mov_b64 s[0:1], 0
                                        ; implicit-def: $vgpr1
	s_branch .LBB15_1163
.LBB15_1160:
	s_or_saveexec_b64 s[14:15], s[14:15]
                                        ; implicit-def: $sgpr16
	s_xor_b64 exec, exec, s[14:15]
	s_cbranch_execz .LBB15_1003
.LBB15_1161:
	s_mov_b32 s16, 0x46000000
	v_add_f32_e64 v4, |v0|, s16
	v_and_b32_e32 v4, 0xff, v4
	v_cmp_ne_u32_e32 vcc, 0, v4
	s_andn2_b64 s[12:13], s[12:13], exec
	s_and_b64 s[18:19], vcc, exec
	s_mov_b32 s16, 0
	s_or_b64 s[12:13], s[12:13], s[18:19]
	s_or_b64 exec, exec, s[14:15]
	v_mov_b32_e32 v6, s16
	s_and_saveexec_b64 s[14:15], s[12:13]
	s_cbranch_execnz .LBB15_1004
	s_branch .LBB15_1005
.LBB15_1162:
	s_mov_b64 s[0:1], -1
                                        ; implicit-def: $vgpr1
	s_mov_b64 s[12:13], 0
.LBB15_1163:
	s_and_b64 vcc, exec, s[2:3]
	s_cbranch_vccz .LBB15_1166
; %bb.1164:
	v_mov_b32_e32 v1, 44
	v_cmp_eq_u16_sdwa s[0:1], s18, v1 src0_sel:BYTE_0 src1_sel:DWORD
	s_and_b64 vcc, exec, s[0:1]
	s_cbranch_vccz .LBB15_1167
; %bb.1165:
	global_load_ubyte v1, v[14:15], off
	s_movk_i32 s2, 0xff
	v_mov_b32_e32 v5, 0x7e00
	s_mov_b64 s[0:1], 0
	s_mov_b64 s[12:13], -1
	s_waitcnt vmcnt(0)
	v_lshlrev_b32_e32 v3, 23, v1
	v_cvt_f16_f32_e32 v3, v3
	v_cmp_ne_u32_e32 vcc, s2, v1
	v_cndmask_b32_e32 v3, v5, v3, vcc
	v_cmp_ne_u32_e32 vcc, 0, v1
	v_cndmask_b32_e32 v1, 0, v3, vcc
.LBB15_1166:
	s_branch .LBB15_1171
.LBB15_1167:
	s_mov_b64 s[0:1], -1
                                        ; implicit-def: $vgpr1
	s_branch .LBB15_1171
.LBB15_1168:
	v_mov_b32_e32 v1, 29
	v_cmp_eq_u16_sdwa s[0:1], s18, v1 src0_sel:BYTE_0 src1_sel:DWORD
	s_and_b64 vcc, exec, s[0:1]
	s_cbranch_vccz .LBB15_1170
; %bb.1169:
	global_load_dwordx2 v[16:17], v[14:15], off
	s_mov_b64 s[0:1], 0
	s_mov_b64 s[12:13], -1
	s_mov_b64 s[2:3], 0
	s_waitcnt vmcnt(0)
	v_ffbh_u32_e32 v1, v17
	v_min_u32_e32 v1, 32, v1
	v_lshlrev_b64 v[16:17], v1, v[16:17]
	v_min_u32_e32 v3, 1, v16
	v_or_b32_e32 v3, v17, v3
	v_cvt_f32_u32_e32 v3, v3
	v_sub_u32_e32 v1, 32, v1
	v_ldexp_f32 v1, v3, v1
	v_cvt_f16_f32_e32 v1, v1
	s_branch .LBB15_1172
.LBB15_1170:
	s_mov_b64 s[0:1], -1
                                        ; implicit-def: $vgpr1
.LBB15_1171:
	s_mov_b64 s[2:3], 0
.LBB15_1172:
	s_and_b64 vcc, exec, s[2:3]
	s_cbranch_vccz .LBB15_1190
; %bb.1173:
	v_mov_b32_e32 v1, 27
	v_cmp_lt_i16_sdwa s[2:3], s18, v1 src0_sel:BYTE_0 src1_sel:DWORD
	s_and_b64 vcc, exec, s[2:3]
	s_cbranch_vccnz .LBB15_1176
; %bb.1174:
	v_cmp_gt_i16_sdwa s[2:3], s18, v1 src0_sel:BYTE_0 src1_sel:DWORD
	s_and_b64 vcc, exec, s[2:3]
	s_cbranch_vccz .LBB15_1177
; %bb.1175:
	global_load_dword v1, v[14:15], off
	s_mov_b64 s[2:3], 0
	s_waitcnt vmcnt(0)
	v_cvt_f32_u32_e32 v1, v1
	v_cvt_f16_f32_e32 v1, v1
	s_branch .LBB15_1178
.LBB15_1176:
	s_mov_b64 s[2:3], -1
                                        ; implicit-def: $vgpr1
	s_branch .LBB15_1181
.LBB15_1177:
	s_mov_b64 s[2:3], -1
                                        ; implicit-def: $vgpr1
.LBB15_1178:
	s_andn2_b64 vcc, exec, s[2:3]
	s_cbranch_vccnz .LBB15_1180
; %bb.1179:
	global_load_ushort v1, v[14:15], off
	s_waitcnt vmcnt(0)
	v_cvt_f16_u16_e32 v1, v1
.LBB15_1180:
	s_mov_b64 s[2:3], 0
.LBB15_1181:
	s_andn2_b64 vcc, exec, s[2:3]
	s_cbranch_vccnz .LBB15_1189
; %bb.1182:
	global_load_ubyte v3, v[14:15], off
	s_movk_i32 s2, 0x7f
                                        ; implicit-def: $sgpr16
	s_waitcnt vmcnt(0)
	v_cmp_lt_i16_e32 vcc, s2, v3
	s_mov_b64 s[2:3], 0
	s_and_saveexec_b64 s[12:13], vcc
	s_xor_b64 s[12:13], exec, s[12:13]
	s_cbranch_execz .LBB15_1202
; %bb.1183:
	s_movk_i32 s2, 0x80
	v_cmp_eq_u16_e32 vcc, s2, v3
	s_mov_b64 s[2:3], -1
                                        ; implicit-def: $sgpr16
	s_and_saveexec_b64 s[14:15], vcc
; %bb.1184:
	s_movk_i32 s16, 0x7e00
	s_xor_b64 s[2:3], exec, -1
; %bb.1185:
	s_or_b64 exec, exec, s[14:15]
	s_and_b64 s[2:3], s[2:3], exec
	s_or_saveexec_b64 s[12:13], s[12:13]
	v_mov_b32_e32 v1, s16
	s_xor_b64 exec, exec, s[12:13]
	s_cbranch_execnz .LBB15_1203
.LBB15_1186:
	s_or_b64 exec, exec, s[12:13]
	s_and_saveexec_b64 s[12:13], s[2:3]
	s_cbranch_execz .LBB15_1188
.LBB15_1187:
	v_lshlrev_b32_e32 v1, 24, v3
	v_and_b32_e32 v3, 0xffff, v3
	v_and_b32_e32 v5, 7, v3
	v_ffbh_u32_e32 v9, v5
	v_min_u32_e32 v9, 32, v9
	v_subrev_u32_e32 v11, 28, v9
	v_bfe_u32 v7, v3, 3, 4
	v_lshlrev_b32_e32 v3, v11, v3
	v_sub_u32_e32 v9, 29, v9
	v_and_b32_e32 v3, 7, v3
	v_cmp_eq_u32_e32 vcc, 0, v7
	v_cndmask_b32_e32 v7, v7, v9, vcc
	v_cndmask_b32_e32 v3, v5, v3, vcc
	v_mov_b32_e32 v5, 0x3b800000
	v_lshlrev_b32_e32 v3, 20, v3
	v_and_b32_e32 v1, 0x80000000, v1
	v_lshl_add_u32 v5, v7, 23, v5
	v_or3_b32 v1, v1, v5, v3
	v_cvt_f16_f32_e32 v1, v1
.LBB15_1188:
	s_or_b64 exec, exec, s[12:13]
.LBB15_1189:
	s_mov_b64 s[12:13], -1
.LBB15_1190:
	s_branch .LBB15_1222
.LBB15_1191:
	v_mov_b32_e32 v1, 22
	v_cmp_gt_i16_sdwa s[2:3], s18, v1 src0_sel:BYTE_0 src1_sel:DWORD
	s_and_b64 vcc, exec, s[2:3]
	s_cbranch_vccz .LBB15_1201
; %bb.1192:
	v_mov_b32_e32 v1, 24
	v_cmp_lt_i16_sdwa s[2:3], s18, v1 src0_sel:BYTE_0 src1_sel:DWORD
	s_and_b64 vcc, exec, s[2:3]
	s_cbranch_vccnz .LBB15_1204
; %bb.1193:
	v_cmp_gt_i16_sdwa s[2:3], s18, v1 src0_sel:BYTE_0 src1_sel:DWORD
	s_and_b64 vcc, exec, s[2:3]
	s_cbranch_vccz .LBB15_1205
; %bb.1194:
	global_load_ubyte v3, v[14:15], off
	s_movk_i32 s2, 0x7f
                                        ; implicit-def: $sgpr14
	s_waitcnt vmcnt(0)
	v_cmp_lt_i16_e32 vcc, s2, v3
	s_mov_b64 s[2:3], 0
	s_and_saveexec_b64 s[6:7], vcc
	s_xor_b64 s[6:7], exec, s[6:7]
	s_cbranch_execz .LBB15_1216
; %bb.1195:
	s_movk_i32 s2, 0x80
	v_cmp_eq_u16_e32 vcc, s2, v3
	s_mov_b64 s[2:3], -1
                                        ; implicit-def: $sgpr14
	s_and_saveexec_b64 s[12:13], vcc
; %bb.1196:
	s_movk_i32 s14, 0x7e00
	s_xor_b64 s[2:3], exec, -1
; %bb.1197:
	s_or_b64 exec, exec, s[12:13]
	s_and_b64 s[2:3], s[2:3], exec
	s_or_saveexec_b64 s[6:7], s[6:7]
	v_mov_b32_e32 v1, s14
	s_xor_b64 exec, exec, s[6:7]
	s_cbranch_execnz .LBB15_1217
.LBB15_1198:
	s_or_b64 exec, exec, s[6:7]
	s_and_saveexec_b64 s[6:7], s[2:3]
	s_cbranch_execz .LBB15_1200
.LBB15_1199:
	v_lshlrev_b32_e32 v1, 24, v3
	v_and_b32_e32 v3, 0xffff, v3
	v_and_b32_e32 v5, 3, v3
	v_ffbh_u32_e32 v9, v5
	v_min_u32_e32 v9, 32, v9
	v_subrev_u32_e32 v11, 29, v9
	v_bfe_u32 v7, v3, 2, 5
	v_lshlrev_b32_e32 v3, v11, v3
	v_sub_u32_e32 v9, 30, v9
	v_and_b32_e32 v3, 3, v3
	v_cmp_eq_u32_e32 vcc, 0, v7
	v_cndmask_b32_e32 v7, v7, v9, vcc
	v_cndmask_b32_e32 v3, v5, v3, vcc
	v_mov_b32_e32 v5, 0x37800000
	v_lshlrev_b32_e32 v3, 21, v3
	v_and_b32_e32 v1, 0x80000000, v1
	v_lshl_add_u32 v5, v7, 23, v5
	v_or3_b32 v1, v1, v5, v3
	v_cvt_f16_f32_e32 v1, v1
.LBB15_1200:
	s_or_b64 exec, exec, s[6:7]
	s_mov_b64 s[2:3], 0
	s_branch .LBB15_1206
.LBB15_1201:
                                        ; implicit-def: $vgpr1
	s_mov_b64 s[6:7], 0
	s_branch .LBB15_1212
.LBB15_1202:
	s_or_saveexec_b64 s[12:13], s[12:13]
	v_mov_b32_e32 v1, s16
	s_xor_b64 exec, exec, s[12:13]
	s_cbranch_execz .LBB15_1186
.LBB15_1203:
	v_cmp_ne_u16_e32 vcc, 0, v3
	s_andn2_b64 s[2:3], s[2:3], exec
	s_and_b64 s[14:15], vcc, exec
	s_or_b64 s[2:3], s[2:3], s[14:15]
	v_mov_b32_e32 v1, v3
	s_or_b64 exec, exec, s[12:13]
	s_and_saveexec_b64 s[12:13], s[2:3]
	s_cbranch_execnz .LBB15_1187
	s_branch .LBB15_1188
.LBB15_1204:
	s_mov_b64 s[2:3], -1
                                        ; implicit-def: $vgpr1
	s_branch .LBB15_1209
.LBB15_1205:
	s_mov_b64 s[2:3], -1
                                        ; implicit-def: $vgpr1
.LBB15_1206:
	s_and_b64 vcc, exec, s[2:3]
	s_cbranch_vccz .LBB15_1208
; %bb.1207:
	global_load_ubyte v1, v[14:15], off
	s_mov_b32 s2, 0x7f800000
	s_waitcnt vmcnt(0)
	v_lshlrev_b32_e32 v1, 24, v1
	v_and_b32_e32 v3, 0x7f000000, v1
	v_ffbh_u32_e32 v5, v3
	v_min_u32_e32 v5, 32, v5
	v_sub_u32_e64 v5, v5, 4 clamp
	v_lshlrev_b32_e32 v9, v5, v3
	v_lshlrev_b32_e32 v5, 23, v5
	v_lshrrev_b32_e32 v9, 4, v9
	v_add_u32_e32 v7, 0x1000000, v3
	v_sub_u32_e32 v5, v9, v5
	v_ashrrev_i32_e32 v7, 8, v7
	v_add_u32_e32 v5, 0x3c000000, v5
	v_and_or_b32 v5, v7, s2, v5
	v_cmp_ne_u32_e32 vcc, 0, v3
	v_cndmask_b32_e32 v3, 0, v5, vcc
	s_brev_b32 s2, 1
	v_and_or_b32 v1, v1, s2, v3
	v_cvt_f16_f32_e32 v1, v1
.LBB15_1208:
	s_mov_b64 s[2:3], 0
.LBB15_1209:
	s_andn2_b64 vcc, exec, s[2:3]
	s_cbranch_vccnz .LBB15_1211
; %bb.1210:
	global_load_ubyte v1, v[14:15], off
	s_movk_i32 s2, 0x7f00
	s_brev_b32 s3, 16
	s_waitcnt vmcnt(0)
	v_lshlrev_b16_e32 v3, 8, v1
	v_lshlrev_b32_e32 v1, 25, v1
	v_lshrrev_b32_e32 v5, 4, v1
	v_and_or_b32 v7, v3, s2, 0.5
	v_or_b32_e32 v5, 0x70000000, v5
	v_add_f32_e32 v7, -0.5, v7
	v_mul_f32_e32 v5, 0x7800000, v5
	v_cmp_gt_u32_e32 vcc, s3, v1
	v_bfe_i32 v3, v3, 0, 16
	v_cndmask_b32_e32 v1, v5, v7, vcc
	s_brev_b32 s2, 1
	v_and_or_b32 v1, v3, s2, v1
	v_cvt_f16_f32_e32 v1, v1
.LBB15_1211:
	s_mov_b64 s[12:13], -1
	s_mov_b64 s[6:7], 0
	s_cbranch_execnz .LBB15_1222
.LBB15_1212:
	v_mov_b32_e32 v1, 14
	v_cmp_gt_i16_sdwa s[2:3], s18, v1 src0_sel:BYTE_0 src1_sel:DWORD
	s_and_b64 vcc, exec, s[2:3]
	s_cbranch_vccz .LBB15_1215
; %bb.1213:
	v_mov_b32_e32 v1, 15
	v_cmp_eq_u16_sdwa s[0:1], s18, v1 src0_sel:BYTE_0 src1_sel:DWORD
	s_and_b64 vcc, exec, s[0:1]
	s_cbranch_vccz .LBB15_1218
; %bb.1214:
	global_load_ushort v1, v[14:15], off
	s_mov_b64 s[0:1], 0
	s_mov_b64 s[12:13], -1
	s_waitcnt vmcnt(0)
	v_lshlrev_b32_e32 v1, 16, v1
	v_cvt_f16_f32_e32 v1, v1
	s_branch .LBB15_1219
.LBB15_1215:
	s_mov_b64 s[2:3], -1
                                        ; implicit-def: $vgpr1
	s_branch .LBB15_1220
.LBB15_1216:
	s_or_saveexec_b64 s[6:7], s[6:7]
	v_mov_b32_e32 v1, s14
	s_xor_b64 exec, exec, s[6:7]
	s_cbranch_execz .LBB15_1198
.LBB15_1217:
	v_cmp_ne_u16_e32 vcc, 0, v3
	s_andn2_b64 s[2:3], s[2:3], exec
	s_and_b64 s[12:13], vcc, exec
	s_or_b64 s[2:3], s[2:3], s[12:13]
	v_mov_b32_e32 v1, v3
	s_or_b64 exec, exec, s[6:7]
	s_and_saveexec_b64 s[6:7], s[2:3]
	s_cbranch_execnz .LBB15_1199
	s_branch .LBB15_1200
.LBB15_1218:
	s_mov_b64 s[0:1], -1
                                        ; implicit-def: $vgpr1
.LBB15_1219:
	s_mov_b64 s[2:3], 0
.LBB15_1220:
	s_and_b64 vcc, exec, s[2:3]
	s_cbranch_vccz .LBB15_1222
; %bb.1221:
	v_mov_b32_e32 v1, 11
	v_cmp_ne_u16_sdwa s[0:1], s18, v1 src0_sel:BYTE_0 src1_sel:DWORD
	s_mov_b64 s[6:7], -1
                                        ; implicit-def: $vgpr1
.LBB15_1222:
	s_and_b64 vcc, exec, s[0:1]
	s_mov_b64 s[2:3], s[28:29]
	s_cbranch_vccnz .LBB15_1283
; %bb.1223:
	s_andn2_b64 vcc, exec, s[6:7]
	s_cbranch_vccnz .LBB15_1225
.LBB15_1224:
	global_load_ubyte v1, v[14:15], off
	v_mov_b32_e32 v3, 0x3c00
	s_mov_b64 s[12:13], -1
	s_waitcnt vmcnt(0)
	v_cmp_ne_u16_e32 vcc, 0, v1
	v_cndmask_b32_e32 v1, 0, v3, vcc
.LBB15_1225:
	s_branch .LBB15_1155
.LBB15_1226:
	v_mov_b32_e32 v1, 5
	v_cmp_lt_i16_sdwa s[0:1], s18, v1 src0_sel:BYTE_0 src1_sel:DWORD
	s_and_b64 vcc, exec, s[0:1]
	s_cbranch_vccnz .LBB15_1231
; %bb.1227:
	v_mov_b32_e32 v1, 8
	v_cmp_lt_i16_sdwa s[0:1], s18, v1 src0_sel:BYTE_0 src1_sel:DWORD
	s_and_b64 vcc, exec, s[0:1]
	s_cbranch_vccnz .LBB15_1232
; %bb.1228:
	v_mov_b32_e32 v1, 9
	v_cmp_lt_i16_sdwa s[0:1], s18, v1 src0_sel:BYTE_0 src1_sel:DWORD
	s_and_b64 vcc, exec, s[0:1]
	s_cbranch_vccnz .LBB15_1233
; %bb.1229:
	v_cmp_gt_i16_sdwa s[0:1], s18, v1 src0_sel:BYTE_0 src1_sel:DWORD
	s_and_b64 vcc, exec, s[0:1]
	s_cbranch_vccz .LBB15_1234
; %bb.1230:
	global_load_dwordx2 v[16:17], v[14:15], off
	s_mov_b64 s[0:1], 0
	s_waitcnt vmcnt(0)
	v_cvt_f32_f64_e32 v1, v[16:17]
	v_cvt_f16_f32_e32 v1, v1
	s_branch .LBB15_1235
.LBB15_1231:
                                        ; implicit-def: $vgpr1
	s_branch .LBB15_1252
.LBB15_1232:
                                        ; implicit-def: $vgpr1
	s_branch .LBB15_1241
.LBB15_1233:
	s_mov_b64 s[0:1], -1
                                        ; implicit-def: $vgpr1
	s_branch .LBB15_1238
.LBB15_1234:
	s_mov_b64 s[0:1], -1
                                        ; implicit-def: $vgpr1
.LBB15_1235:
	s_andn2_b64 vcc, exec, s[0:1]
	s_cbranch_vccnz .LBB15_1237
; %bb.1236:
	global_load_dword v1, v[14:15], off
	s_waitcnt vmcnt(0)
	v_cvt_f16_f32_e32 v1, v1
.LBB15_1237:
	s_mov_b64 s[0:1], 0
.LBB15_1238:
	s_andn2_b64 vcc, exec, s[0:1]
	s_cbranch_vccnz .LBB15_1240
; %bb.1239:
	global_load_dword v1, v[14:15], off
.LBB15_1240:
	s_cbranch_execnz .LBB15_1251
.LBB15_1241:
	s_waitcnt vmcnt(0)
	v_mov_b32_e32 v1, 6
	v_cmp_lt_i16_sdwa s[0:1], s18, v1 src0_sel:BYTE_0 src1_sel:DWORD
	s_and_b64 vcc, exec, s[0:1]
	s_cbranch_vccnz .LBB15_1244
; %bb.1242:
	v_cmp_gt_i16_sdwa s[0:1], s18, v1 src0_sel:BYTE_0 src1_sel:DWORD
	s_and_b64 vcc, exec, s[0:1]
	s_cbranch_vccz .LBB15_1245
; %bb.1243:
	global_load_dwordx2 v[16:17], v[14:15], off
	s_mov_b64 s[0:1], 0
	s_waitcnt vmcnt(0)
	v_cvt_f32_f64_e32 v1, v[16:17]
	v_cvt_f16_f32_e32 v1, v1
	s_branch .LBB15_1246
.LBB15_1244:
	s_mov_b64 s[0:1], -1
                                        ; implicit-def: $vgpr1
	s_branch .LBB15_1249
.LBB15_1245:
	s_mov_b64 s[0:1], -1
                                        ; implicit-def: $vgpr1
.LBB15_1246:
	s_andn2_b64 vcc, exec, s[0:1]
	s_cbranch_vccnz .LBB15_1248
; %bb.1247:
	global_load_dword v1, v[14:15], off
	s_waitcnt vmcnt(0)
	v_cvt_f16_f32_e32 v1, v1
.LBB15_1248:
	s_mov_b64 s[0:1], 0
.LBB15_1249:
	s_andn2_b64 vcc, exec, s[0:1]
	s_cbranch_vccnz .LBB15_1251
; %bb.1250:
	global_load_ushort v1, v[14:15], off
.LBB15_1251:
	s_cbranch_execnz .LBB15_1270
.LBB15_1252:
	s_waitcnt vmcnt(0)
	v_mov_b32_e32 v1, 2
	v_cmp_lt_i16_sdwa s[0:1], s18, v1 src0_sel:BYTE_0 src1_sel:DWORD
	s_and_b64 vcc, exec, s[0:1]
	s_cbranch_vccnz .LBB15_1256
; %bb.1253:
	v_mov_b32_e32 v1, 3
	v_cmp_lt_i16_sdwa s[0:1], s18, v1 src0_sel:BYTE_0 src1_sel:DWORD
	s_and_b64 vcc, exec, s[0:1]
	s_cbranch_vccnz .LBB15_1257
; %bb.1254:
	v_cmp_gt_i16_sdwa s[0:1], s18, v1 src0_sel:BYTE_0 src1_sel:DWORD
	s_and_b64 vcc, exec, s[0:1]
	s_cbranch_vccz .LBB15_1258
; %bb.1255:
	global_load_dwordx2 v[16:17], v[14:15], off
	s_mov_b64 s[0:1], 0
	s_waitcnt vmcnt(0)
	v_xor_b32_e32 v3, v16, v17
	v_ffbh_i32_e32 v1, v17
	v_ashrrev_i32_e32 v3, 31, v3
	v_add_u32_e32 v1, -1, v1
	v_add_u32_e32 v3, 32, v3
	v_min_u32_e32 v1, v1, v3
	v_lshlrev_b64 v[16:17], v1, v[16:17]
	v_min_u32_e32 v3, 1, v16
	v_or_b32_e32 v3, v17, v3
	v_cvt_f32_i32_e32 v3, v3
	v_sub_u32_e32 v1, 32, v1
	v_ldexp_f32 v1, v3, v1
	v_cvt_f16_f32_e32 v1, v1
	s_branch .LBB15_1259
.LBB15_1256:
                                        ; implicit-def: $vgpr1
	s_branch .LBB15_1265
.LBB15_1257:
	s_mov_b64 s[0:1], -1
                                        ; implicit-def: $vgpr1
	s_branch .LBB15_1262
.LBB15_1258:
	s_mov_b64 s[0:1], -1
                                        ; implicit-def: $vgpr1
.LBB15_1259:
	s_andn2_b64 vcc, exec, s[0:1]
	s_cbranch_vccnz .LBB15_1261
; %bb.1260:
	global_load_dword v1, v[14:15], off
	s_waitcnt vmcnt(0)
	v_cvt_f32_i32_e32 v1, v1
	v_cvt_f16_f32_e32 v1, v1
.LBB15_1261:
	s_mov_b64 s[0:1], 0
.LBB15_1262:
	s_andn2_b64 vcc, exec, s[0:1]
	s_cbranch_vccnz .LBB15_1264
; %bb.1263:
	global_load_ushort v1, v[14:15], off
	s_waitcnt vmcnt(0)
	v_cvt_f16_i16_e32 v1, v1
.LBB15_1264:
	s_cbranch_execnz .LBB15_1270
.LBB15_1265:
	v_mov_b32_e32 v1, 0
	v_cmp_gt_i16_sdwa s[0:1], s18, v1 src0_sel:BYTE_0 src1_sel:DWORD
	s_and_b64 vcc, exec, s[0:1]
	s_cbranch_vccz .LBB15_1267
; %bb.1266:
	global_load_sbyte v1, v[14:15], off
	s_mov_b64 s[0:1], 0
	s_waitcnt vmcnt(0)
	v_cvt_f16_i16_e32 v1, v1
	s_branch .LBB15_1268
.LBB15_1267:
	s_mov_b64 s[0:1], -1
                                        ; implicit-def: $vgpr1
.LBB15_1268:
	s_andn2_b64 vcc, exec, s[0:1]
	s_cbranch_vccnz .LBB15_1270
; %bb.1269:
	global_load_ubyte v1, v[14:15], off
	s_waitcnt vmcnt(0)
	v_cvt_f16_u16_e32 v1, v1
.LBB15_1270:
.LBB15_1271:
	v_mov_b32_e32 v3, s11
	v_add_co_u32_e32 v12, vcc, s10, v12
	v_addc_co_u32_e32 v13, vcc, 0, v3, vcc
	v_mov_b32_e32 v3, 11
	v_cmp_lt_i16_sdwa s[0:1], s18, v3 src0_sel:BYTE_0 src1_sel:DWORD
	s_and_b64 vcc, exec, s[0:1]
	s_cbranch_vccnz .LBB15_1278
; %bb.1272:
	v_mov_b32_e32 v3, 25
	v_cmp_gt_i16_sdwa s[0:1], s18, v3 src0_sel:BYTE_0 src1_sel:DWORD
	s_mov_b64 s[6:7], 0
	s_and_b64 vcc, exec, s[0:1]
	s_cbranch_vccz .LBB15_1280
; %bb.1273:
	v_mov_b32_e32 v3, 28
	v_cmp_gt_i16_sdwa s[0:1], s18, v3 src0_sel:BYTE_0 src1_sel:DWORD
	s_and_b64 vcc, exec, s[0:1]
	s_cbranch_vccz .LBB15_1281
; %bb.1274:
	v_mov_b32_e32 v3, 43
	v_cmp_gt_i16_sdwa s[0:1], s18, v3 src0_sel:BYTE_0 src1_sel:DWORD
	;; [unrolled: 5-line block ×3, first 2 shown]
	s_and_b64 vcc, exec, s[0:1]
	s_cbranch_vccz .LBB15_1284
; %bb.1276:
	v_mov_b32_e32 v3, 46
	v_cmp_eq_u16_sdwa s[0:1], s18, v3 src0_sel:BYTE_0 src1_sel:DWORD
	s_mov_b64 s[14:15], 0
	s_and_b64 vcc, exec, s[0:1]
	s_cbranch_vccz .LBB15_1287
; %bb.1277:
	global_load_dword v3, v[12:13], off
	s_mov_b64 s[0:1], 0
	s_mov_b64 s[12:13], -1
	s_waitcnt vmcnt(0)
	v_lshlrev_b32_e32 v3, 16, v3
	v_cvt_f16_f32_e32 v3, v3
	s_branch .LBB15_1288
.LBB15_1278:
	s_mov_b64 s[12:13], 0
                                        ; implicit-def: $vgpr3
	s_cbranch_execnz .LBB15_1353
.LBB15_1279:
	s_andn2_b64 vcc, exec, s[12:13]
	s_cbranch_vccnz .LBB15_2044
	s_branch .LBB15_1400
.LBB15_1280:
	s_mov_b64 s[12:13], 0
	s_mov_b64 s[0:1], 0
                                        ; implicit-def: $vgpr3
	s_cbranch_execnz .LBB15_1317
	s_branch .LBB15_1349
.LBB15_1281:
	s_mov_b64 s[14:15], -1
	s_mov_b64 s[12:13], 0
	s_mov_b64 s[0:1], 0
                                        ; implicit-def: $vgpr3
	s_branch .LBB15_1298
.LBB15_1282:
	s_mov_b64 s[14:15], -1
	s_mov_b64 s[12:13], 0
	s_mov_b64 s[0:1], 0
                                        ; implicit-def: $vgpr3
	s_branch .LBB15_1293
.LBB15_1283:
	s_or_b64 s[2:3], s[28:29], exec
	s_trap 2
                                        ; implicit-def: $vgpr1
	s_cbranch_execz .LBB15_1224
	s_branch .LBB15_1225
.LBB15_1284:
	s_mov_b64 s[14:15], -1
	s_mov_b64 s[12:13], 0
	s_mov_b64 s[0:1], 0
                                        ; implicit-def: $vgpr3
	s_branch .LBB15_1288
.LBB15_1285:
	s_or_saveexec_b64 s[16:17], s[16:17]
                                        ; implicit-def: $sgpr18
	s_xor_b64 exec, exec, s[16:17]
	s_cbranch_execz .LBB15_1015
.LBB15_1286:
	s_mov_b32 s18, 0x42800000
	v_add_f32_e64 v4, |v0|, s18
	v_and_b32_e32 v4, 0xff, v4
	v_cmp_ne_u32_e32 vcc, 0, v4
	s_andn2_b64 s[14:15], s[14:15], exec
	s_and_b64 s[20:21], vcc, exec
	s_mov_b32 s18, 0
	s_or_b64 s[14:15], s[14:15], s[20:21]
	s_or_b64 exec, exec, s[16:17]
	v_mov_b32_e32 v6, s18
	s_and_saveexec_b64 s[16:17], s[14:15]
	s_cbranch_execnz .LBB15_1016
	s_branch .LBB15_1017
.LBB15_1287:
	s_mov_b64 s[0:1], -1
                                        ; implicit-def: $vgpr3
	s_mov_b64 s[12:13], 0
.LBB15_1288:
	s_and_b64 vcc, exec, s[14:15]
	s_cbranch_vccz .LBB15_1292
; %bb.1289:
	v_mov_b32_e32 v3, 44
	v_cmp_eq_u16_sdwa s[0:1], s18, v3 src0_sel:BYTE_0 src1_sel:DWORD
	s_and_b64 vcc, exec, s[0:1]
	s_cbranch_vccz .LBB15_1291
; %bb.1290:
	global_load_ubyte v3, v[12:13], off
	s_movk_i32 s12, 0xff
	v_mov_b32_e32 v7, 0x7e00
	s_mov_b64 s[0:1], 0
	s_waitcnt vmcnt(0)
	v_lshlrev_b32_e32 v5, 23, v3
	v_cvt_f16_f32_e32 v5, v5
	v_cmp_ne_u32_e32 vcc, s12, v3
	s_mov_b64 s[12:13], -1
	v_cndmask_b32_e32 v5, v7, v5, vcc
	v_cmp_ne_u32_e32 vcc, 0, v3
	v_cndmask_b32_e32 v3, 0, v5, vcc
	s_branch .LBB15_1292
.LBB15_1291:
	s_mov_b64 s[0:1], -1
                                        ; implicit-def: $vgpr3
.LBB15_1292:
	s_mov_b64 s[14:15], 0
.LBB15_1293:
	s_and_b64 vcc, exec, s[14:15]
	s_cbranch_vccz .LBB15_1297
; %bb.1294:
	v_mov_b32_e32 v3, 29
	v_cmp_eq_u16_sdwa s[0:1], s18, v3 src0_sel:BYTE_0 src1_sel:DWORD
	s_and_b64 vcc, exec, s[0:1]
	s_cbranch_vccz .LBB15_1296
; %bb.1295:
	global_load_dwordx2 v[14:15], v[12:13], off
	s_mov_b64 s[0:1], 0
	s_mov_b64 s[12:13], -1
	s_mov_b64 s[14:15], 0
	s_waitcnt vmcnt(0)
	v_ffbh_u32_e32 v3, v15
	v_min_u32_e32 v3, 32, v3
	v_lshlrev_b64 v[14:15], v3, v[14:15]
	v_min_u32_e32 v5, 1, v14
	v_or_b32_e32 v5, v15, v5
	v_cvt_f32_u32_e32 v5, v5
	v_sub_u32_e32 v3, 32, v3
	v_ldexp_f32 v3, v5, v3
	v_cvt_f16_f32_e32 v3, v3
	s_branch .LBB15_1298
.LBB15_1296:
	s_mov_b64 s[0:1], -1
                                        ; implicit-def: $vgpr3
.LBB15_1297:
	s_mov_b64 s[14:15], 0
.LBB15_1298:
	s_and_b64 vcc, exec, s[14:15]
	s_cbranch_vccz .LBB15_1316
; %bb.1299:
	v_mov_b32_e32 v3, 27
	v_cmp_lt_i16_sdwa s[12:13], s18, v3 src0_sel:BYTE_0 src1_sel:DWORD
	s_and_b64 vcc, exec, s[12:13]
	s_cbranch_vccnz .LBB15_1302
; %bb.1300:
	v_cmp_gt_i16_sdwa s[12:13], s18, v3 src0_sel:BYTE_0 src1_sel:DWORD
	s_and_b64 vcc, exec, s[12:13]
	s_cbranch_vccz .LBB15_1303
; %bb.1301:
	global_load_dword v3, v[12:13], off
	s_mov_b64 s[12:13], 0
	s_waitcnt vmcnt(0)
	v_cvt_f32_u32_e32 v3, v3
	v_cvt_f16_f32_e32 v3, v3
	s_branch .LBB15_1304
.LBB15_1302:
	s_mov_b64 s[12:13], -1
                                        ; implicit-def: $vgpr3
	s_branch .LBB15_1307
.LBB15_1303:
	s_mov_b64 s[12:13], -1
                                        ; implicit-def: $vgpr3
.LBB15_1304:
	s_andn2_b64 vcc, exec, s[12:13]
	s_cbranch_vccnz .LBB15_1306
; %bb.1305:
	global_load_ushort v3, v[12:13], off
	s_waitcnt vmcnt(0)
	v_cvt_f16_u16_e32 v3, v3
.LBB15_1306:
	s_mov_b64 s[12:13], 0
.LBB15_1307:
	s_andn2_b64 vcc, exec, s[12:13]
	s_cbranch_vccnz .LBB15_1315
; %bb.1308:
	global_load_ubyte v5, v[12:13], off
	s_movk_i32 s12, 0x7f
                                        ; implicit-def: $sgpr19
	s_waitcnt vmcnt(0)
	v_cmp_lt_i16_e32 vcc, s12, v5
	s_mov_b64 s[12:13], 0
	s_and_saveexec_b64 s[14:15], vcc
	s_xor_b64 s[14:15], exec, s[14:15]
	s_cbranch_execz .LBB15_1328
; %bb.1309:
	s_movk_i32 s12, 0x80
	v_cmp_eq_u16_e32 vcc, s12, v5
	s_mov_b64 s[12:13], -1
                                        ; implicit-def: $sgpr19
	s_and_saveexec_b64 s[16:17], vcc
; %bb.1310:
	s_movk_i32 s19, 0x7e00
	s_xor_b64 s[12:13], exec, -1
; %bb.1311:
	s_or_b64 exec, exec, s[16:17]
	s_and_b64 s[12:13], s[12:13], exec
	s_or_saveexec_b64 s[14:15], s[14:15]
	v_mov_b32_e32 v3, s19
	s_xor_b64 exec, exec, s[14:15]
	s_cbranch_execnz .LBB15_1329
.LBB15_1312:
	s_or_b64 exec, exec, s[14:15]
	s_and_saveexec_b64 s[14:15], s[12:13]
	s_cbranch_execz .LBB15_1314
.LBB15_1313:
	v_lshlrev_b32_e32 v3, 24, v5
	v_and_b32_e32 v5, 0xffff, v5
	v_and_b32_e32 v7, 7, v5
	v_ffbh_u32_e32 v11, v7
	v_min_u32_e32 v11, 32, v11
	v_subrev_u32_e32 v14, 28, v11
	v_bfe_u32 v9, v5, 3, 4
	v_lshlrev_b32_e32 v5, v14, v5
	v_sub_u32_e32 v11, 29, v11
	v_and_b32_e32 v5, 7, v5
	v_cmp_eq_u32_e32 vcc, 0, v9
	v_cndmask_b32_e32 v9, v9, v11, vcc
	v_cndmask_b32_e32 v5, v7, v5, vcc
	v_mov_b32_e32 v7, 0x3b800000
	v_lshlrev_b32_e32 v5, 20, v5
	v_and_b32_e32 v3, 0x80000000, v3
	v_lshl_add_u32 v7, v9, 23, v7
	v_or3_b32 v3, v3, v7, v5
	v_cvt_f16_f32_e32 v3, v3
.LBB15_1314:
	s_or_b64 exec, exec, s[14:15]
.LBB15_1315:
	s_mov_b64 s[12:13], -1
.LBB15_1316:
	s_branch .LBB15_1349
.LBB15_1317:
	v_mov_b32_e32 v3, 22
	v_cmp_gt_i16_sdwa s[6:7], s18, v3 src0_sel:BYTE_0 src1_sel:DWORD
	s_and_b64 vcc, exec, s[6:7]
	s_cbranch_vccz .LBB15_1327
; %bb.1318:
	v_mov_b32_e32 v3, 24
	v_cmp_lt_i16_sdwa s[6:7], s18, v3 src0_sel:BYTE_0 src1_sel:DWORD
	s_and_b64 vcc, exec, s[6:7]
	s_cbranch_vccnz .LBB15_1330
; %bb.1319:
	v_cmp_gt_i16_sdwa s[6:7], s18, v3 src0_sel:BYTE_0 src1_sel:DWORD
	s_and_b64 vcc, exec, s[6:7]
	s_cbranch_vccz .LBB15_1331
; %bb.1320:
	global_load_ubyte v5, v[12:13], off
	s_movk_i32 s6, 0x7f
                                        ; implicit-def: $sgpr16
	s_waitcnt vmcnt(0)
	v_cmp_lt_i16_e32 vcc, s6, v5
	s_mov_b64 s[6:7], 0
	s_and_saveexec_b64 s[12:13], vcc
	s_xor_b64 s[12:13], exec, s[12:13]
	s_cbranch_execz .LBB15_1343
; %bb.1321:
	s_movk_i32 s6, 0x80
	v_cmp_eq_u16_e32 vcc, s6, v5
	s_mov_b64 s[6:7], -1
                                        ; implicit-def: $sgpr16
	s_and_saveexec_b64 s[14:15], vcc
; %bb.1322:
	s_movk_i32 s16, 0x7e00
	s_xor_b64 s[6:7], exec, -1
; %bb.1323:
	s_or_b64 exec, exec, s[14:15]
	s_and_b64 s[6:7], s[6:7], exec
	s_or_saveexec_b64 s[12:13], s[12:13]
	v_mov_b32_e32 v3, s16
	s_xor_b64 exec, exec, s[12:13]
	s_cbranch_execnz .LBB15_1344
.LBB15_1324:
	s_or_b64 exec, exec, s[12:13]
	s_and_saveexec_b64 s[12:13], s[6:7]
	s_cbranch_execz .LBB15_1326
.LBB15_1325:
	v_lshlrev_b32_e32 v3, 24, v5
	v_and_b32_e32 v5, 0xffff, v5
	v_and_b32_e32 v7, 3, v5
	v_ffbh_u32_e32 v11, v7
	v_min_u32_e32 v11, 32, v11
	v_subrev_u32_e32 v14, 29, v11
	v_bfe_u32 v9, v5, 2, 5
	v_lshlrev_b32_e32 v5, v14, v5
	v_sub_u32_e32 v11, 30, v11
	v_and_b32_e32 v5, 3, v5
	v_cmp_eq_u32_e32 vcc, 0, v9
	v_cndmask_b32_e32 v9, v9, v11, vcc
	v_cndmask_b32_e32 v5, v7, v5, vcc
	v_mov_b32_e32 v7, 0x37800000
	v_lshlrev_b32_e32 v5, 21, v5
	v_and_b32_e32 v3, 0x80000000, v3
	v_lshl_add_u32 v7, v9, 23, v7
	v_or3_b32 v3, v3, v7, v5
	v_cvt_f16_f32_e32 v3, v3
.LBB15_1326:
	s_or_b64 exec, exec, s[12:13]
	s_mov_b64 s[6:7], 0
	s_branch .LBB15_1332
.LBB15_1327:
	s_mov_b64 s[6:7], -1
                                        ; implicit-def: $vgpr3
	s_branch .LBB15_1338
.LBB15_1328:
	s_or_saveexec_b64 s[14:15], s[14:15]
	v_mov_b32_e32 v3, s19
	s_xor_b64 exec, exec, s[14:15]
	s_cbranch_execz .LBB15_1312
.LBB15_1329:
	v_cmp_ne_u16_e32 vcc, 0, v5
	s_andn2_b64 s[12:13], s[12:13], exec
	s_and_b64 s[16:17], vcc, exec
	s_or_b64 s[12:13], s[12:13], s[16:17]
	v_mov_b32_e32 v3, v5
	s_or_b64 exec, exec, s[14:15]
	s_and_saveexec_b64 s[14:15], s[12:13]
	s_cbranch_execnz .LBB15_1313
	s_branch .LBB15_1314
.LBB15_1330:
	s_mov_b64 s[6:7], -1
                                        ; implicit-def: $vgpr3
	s_branch .LBB15_1335
.LBB15_1331:
	s_mov_b64 s[6:7], -1
                                        ; implicit-def: $vgpr3
.LBB15_1332:
	s_and_b64 vcc, exec, s[6:7]
	s_cbranch_vccz .LBB15_1334
; %bb.1333:
	global_load_ubyte v3, v[12:13], off
	s_mov_b32 s6, 0x7f800000
	s_waitcnt vmcnt(0)
	v_lshlrev_b32_e32 v3, 24, v3
	v_and_b32_e32 v5, 0x7f000000, v3
	v_ffbh_u32_e32 v7, v5
	v_min_u32_e32 v7, 32, v7
	v_sub_u32_e64 v7, v7, 4 clamp
	v_lshlrev_b32_e32 v11, v7, v5
	v_lshlrev_b32_e32 v7, 23, v7
	v_lshrrev_b32_e32 v11, 4, v11
	v_add_u32_e32 v9, 0x1000000, v5
	v_sub_u32_e32 v7, v11, v7
	v_ashrrev_i32_e32 v9, 8, v9
	v_add_u32_e32 v7, 0x3c000000, v7
	v_and_or_b32 v7, v9, s6, v7
	v_cmp_ne_u32_e32 vcc, 0, v5
	v_cndmask_b32_e32 v5, 0, v7, vcc
	s_brev_b32 s6, 1
	v_and_or_b32 v3, v3, s6, v5
	v_cvt_f16_f32_e32 v3, v3
.LBB15_1334:
	s_mov_b64 s[6:7], 0
.LBB15_1335:
	s_andn2_b64 vcc, exec, s[6:7]
	s_cbranch_vccnz .LBB15_1337
; %bb.1336:
	global_load_ubyte v3, v[12:13], off
	s_movk_i32 s6, 0x7f00
	s_brev_b32 s7, 16
	s_waitcnt vmcnt(0)
	v_lshlrev_b16_e32 v5, 8, v3
	v_lshlrev_b32_e32 v3, 25, v3
	v_lshrrev_b32_e32 v7, 4, v3
	v_and_or_b32 v9, v5, s6, 0.5
	v_or_b32_e32 v7, 0x70000000, v7
	v_add_f32_e32 v9, -0.5, v9
	v_mul_f32_e32 v7, 0x7800000, v7
	v_cmp_gt_u32_e32 vcc, s7, v3
	v_bfe_i32 v5, v5, 0, 16
	v_cndmask_b32_e32 v3, v7, v9, vcc
	s_brev_b32 s6, 1
	v_and_or_b32 v3, v5, s6, v3
	v_cvt_f16_f32_e32 v3, v3
.LBB15_1337:
	s_mov_b64 s[6:7], 0
	s_mov_b64 s[12:13], -1
.LBB15_1338:
	s_andn2_b64 vcc, exec, s[6:7]
	s_mov_b64 s[6:7], 0
	s_cbranch_vccnz .LBB15_1349
; %bb.1339:
	v_mov_b32_e32 v3, 14
	v_cmp_gt_i16_sdwa s[6:7], s18, v3 src0_sel:BYTE_0 src1_sel:DWORD
	s_and_b64 vcc, exec, s[6:7]
	s_cbranch_vccz .LBB15_1342
; %bb.1340:
	v_mov_b32_e32 v3, 15
	v_cmp_eq_u16_sdwa s[0:1], s18, v3 src0_sel:BYTE_0 src1_sel:DWORD
	s_and_b64 vcc, exec, s[0:1]
	s_cbranch_vccz .LBB15_1345
; %bb.1341:
	global_load_ushort v3, v[12:13], off
	s_mov_b64 s[0:1], 0
	s_mov_b64 s[12:13], -1
	s_waitcnt vmcnt(0)
	v_lshlrev_b32_e32 v3, 16, v3
	v_cvt_f16_f32_e32 v3, v3
	s_branch .LBB15_1346
.LBB15_1342:
	s_mov_b64 s[14:15], -1
                                        ; implicit-def: $vgpr3
	s_branch .LBB15_1347
.LBB15_1343:
	s_or_saveexec_b64 s[12:13], s[12:13]
	v_mov_b32_e32 v3, s16
	s_xor_b64 exec, exec, s[12:13]
	s_cbranch_execz .LBB15_1324
.LBB15_1344:
	v_cmp_ne_u16_e32 vcc, 0, v5
	s_andn2_b64 s[6:7], s[6:7], exec
	s_and_b64 s[14:15], vcc, exec
	s_or_b64 s[6:7], s[6:7], s[14:15]
	v_mov_b32_e32 v3, v5
	s_or_b64 exec, exec, s[12:13]
	s_and_saveexec_b64 s[12:13], s[6:7]
	s_cbranch_execnz .LBB15_1325
	s_branch .LBB15_1326
.LBB15_1345:
	s_mov_b64 s[0:1], -1
                                        ; implicit-def: $vgpr3
.LBB15_1346:
	s_mov_b64 s[14:15], 0
.LBB15_1347:
	s_mov_b64 s[6:7], 0
	s_and_b64 vcc, exec, s[14:15]
	s_cbranch_vccz .LBB15_1349
; %bb.1348:
	v_mov_b32_e32 v3, 11
	v_cmp_ne_u16_sdwa s[0:1], s18, v3 src0_sel:BYTE_0 src1_sel:DWORD
	s_mov_b64 s[6:7], -1
                                        ; implicit-def: $vgpr3
.LBB15_1349:
	s_and_b64 vcc, exec, s[0:1]
	s_cbranch_vccnz .LBB15_1412
; %bb.1350:
	s_andn2_b64 vcc, exec, s[6:7]
	s_cbranch_vccnz .LBB15_1352
.LBB15_1351:
	global_load_ubyte v3, v[12:13], off
	v_mov_b32_e32 v5, 0x3c00
	s_mov_b64 s[12:13], -1
	s_waitcnt vmcnt(0)
	v_cmp_ne_u16_e32 vcc, 0, v3
	v_cndmask_b32_e32 v3, 0, v5, vcc
.LBB15_1352:
	s_branch .LBB15_1279
.LBB15_1353:
	v_mov_b32_e32 v3, 5
	v_cmp_lt_i16_sdwa s[0:1], s18, v3 src0_sel:BYTE_0 src1_sel:DWORD
	s_and_b64 vcc, exec, s[0:1]
	s_cbranch_vccnz .LBB15_1358
; %bb.1354:
	v_mov_b32_e32 v3, 8
	v_cmp_lt_i16_sdwa s[0:1], s18, v3 src0_sel:BYTE_0 src1_sel:DWORD
	s_and_b64 vcc, exec, s[0:1]
	s_cbranch_vccnz .LBB15_1359
; %bb.1355:
	;; [unrolled: 5-line block ×3, first 2 shown]
	v_cmp_gt_i16_sdwa s[0:1], s18, v3 src0_sel:BYTE_0 src1_sel:DWORD
	s_and_b64 vcc, exec, s[0:1]
	s_cbranch_vccz .LBB15_1361
; %bb.1357:
	global_load_dwordx2 v[14:15], v[12:13], off
	s_mov_b64 s[0:1], 0
	s_waitcnt vmcnt(0)
	v_cvt_f32_f64_e32 v3, v[14:15]
	v_cvt_f16_f32_e32 v3, v3
	s_branch .LBB15_1362
.LBB15_1358:
                                        ; implicit-def: $vgpr3
	s_branch .LBB15_1380
.LBB15_1359:
	s_mov_b64 s[0:1], -1
                                        ; implicit-def: $vgpr3
	s_branch .LBB15_1368
.LBB15_1360:
	s_mov_b64 s[0:1], -1
                                        ; implicit-def: $vgpr3
	s_branch .LBB15_1365
.LBB15_1361:
	s_mov_b64 s[0:1], -1
                                        ; implicit-def: $vgpr3
.LBB15_1362:
	s_andn2_b64 vcc, exec, s[0:1]
	s_cbranch_vccnz .LBB15_1364
; %bb.1363:
	global_load_dword v3, v[12:13], off
	s_waitcnt vmcnt(0)
	v_cvt_f16_f32_e32 v3, v3
.LBB15_1364:
	s_mov_b64 s[0:1], 0
.LBB15_1365:
	s_andn2_b64 vcc, exec, s[0:1]
	s_cbranch_vccnz .LBB15_1367
; %bb.1366:
	global_load_dword v3, v[12:13], off
.LBB15_1367:
	s_mov_b64 s[0:1], 0
.LBB15_1368:
	s_andn2_b64 vcc, exec, s[0:1]
	s_cbranch_vccnz .LBB15_1379
; %bb.1369:
	s_waitcnt vmcnt(0)
	v_mov_b32_e32 v3, 6
	v_cmp_lt_i16_sdwa s[0:1], s18, v3 src0_sel:BYTE_0 src1_sel:DWORD
	s_and_b64 vcc, exec, s[0:1]
	s_cbranch_vccnz .LBB15_1372
; %bb.1370:
	v_cmp_gt_i16_sdwa s[0:1], s18, v3 src0_sel:BYTE_0 src1_sel:DWORD
	s_and_b64 vcc, exec, s[0:1]
	s_cbranch_vccz .LBB15_1373
; %bb.1371:
	global_load_dwordx2 v[14:15], v[12:13], off
	s_mov_b64 s[0:1], 0
	s_waitcnt vmcnt(0)
	v_cvt_f32_f64_e32 v3, v[14:15]
	v_cvt_f16_f32_e32 v3, v3
	s_branch .LBB15_1374
.LBB15_1372:
	s_mov_b64 s[0:1], -1
                                        ; implicit-def: $vgpr3
	s_branch .LBB15_1377
.LBB15_1373:
	s_mov_b64 s[0:1], -1
                                        ; implicit-def: $vgpr3
.LBB15_1374:
	s_andn2_b64 vcc, exec, s[0:1]
	s_cbranch_vccnz .LBB15_1376
; %bb.1375:
	global_load_dword v3, v[12:13], off
	s_waitcnt vmcnt(0)
	v_cvt_f16_f32_e32 v3, v3
.LBB15_1376:
	s_mov_b64 s[0:1], 0
.LBB15_1377:
	s_andn2_b64 vcc, exec, s[0:1]
	s_cbranch_vccnz .LBB15_1379
; %bb.1378:
	global_load_ushort v3, v[12:13], off
.LBB15_1379:
	s_cbranch_execnz .LBB15_1399
.LBB15_1380:
	s_waitcnt vmcnt(0)
	v_mov_b32_e32 v3, 2
	v_cmp_lt_i16_sdwa s[0:1], s18, v3 src0_sel:BYTE_0 src1_sel:DWORD
	s_and_b64 vcc, exec, s[0:1]
	s_cbranch_vccnz .LBB15_1384
; %bb.1381:
	v_mov_b32_e32 v3, 3
	v_cmp_lt_i16_sdwa s[0:1], s18, v3 src0_sel:BYTE_0 src1_sel:DWORD
	s_and_b64 vcc, exec, s[0:1]
	s_cbranch_vccnz .LBB15_1385
; %bb.1382:
	v_cmp_gt_i16_sdwa s[0:1], s18, v3 src0_sel:BYTE_0 src1_sel:DWORD
	s_and_b64 vcc, exec, s[0:1]
	s_cbranch_vccz .LBB15_1386
; %bb.1383:
	global_load_dwordx2 v[14:15], v[12:13], off
	s_mov_b64 s[0:1], 0
	s_waitcnt vmcnt(0)
	v_xor_b32_e32 v5, v14, v15
	v_ffbh_i32_e32 v3, v15
	v_ashrrev_i32_e32 v5, 31, v5
	v_add_u32_e32 v3, -1, v3
	v_add_u32_e32 v5, 32, v5
	v_min_u32_e32 v3, v3, v5
	v_lshlrev_b64 v[14:15], v3, v[14:15]
	v_min_u32_e32 v5, 1, v14
	v_or_b32_e32 v5, v15, v5
	v_cvt_f32_i32_e32 v5, v5
	v_sub_u32_e32 v3, 32, v3
	v_ldexp_f32 v3, v5, v3
	v_cvt_f16_f32_e32 v3, v3
	s_branch .LBB15_1387
.LBB15_1384:
	s_mov_b64 s[0:1], -1
                                        ; implicit-def: $vgpr3
	s_branch .LBB15_1393
.LBB15_1385:
	s_mov_b64 s[0:1], -1
                                        ; implicit-def: $vgpr3
	s_branch .LBB15_1390
.LBB15_1386:
	s_mov_b64 s[0:1], -1
                                        ; implicit-def: $vgpr3
.LBB15_1387:
	s_andn2_b64 vcc, exec, s[0:1]
	s_cbranch_vccnz .LBB15_1389
; %bb.1388:
	global_load_dword v3, v[12:13], off
	s_waitcnt vmcnt(0)
	v_cvt_f32_i32_e32 v3, v3
	v_cvt_f16_f32_e32 v3, v3
.LBB15_1389:
	s_mov_b64 s[0:1], 0
.LBB15_1390:
	s_andn2_b64 vcc, exec, s[0:1]
	s_cbranch_vccnz .LBB15_1392
; %bb.1391:
	global_load_ushort v3, v[12:13], off
	s_waitcnt vmcnt(0)
	v_cvt_f16_i16_e32 v3, v3
.LBB15_1392:
	s_mov_b64 s[0:1], 0
.LBB15_1393:
	s_andn2_b64 vcc, exec, s[0:1]
	s_cbranch_vccnz .LBB15_1399
; %bb.1394:
	v_mov_b32_e32 v3, 0
	v_cmp_gt_i16_sdwa s[0:1], s18, v3 src0_sel:BYTE_0 src1_sel:DWORD
	s_and_b64 vcc, exec, s[0:1]
	s_cbranch_vccz .LBB15_1396
; %bb.1395:
	global_load_sbyte v3, v[12:13], off
	s_mov_b64 s[0:1], 0
	s_waitcnt vmcnt(0)
	v_cvt_f16_i16_e32 v3, v3
	s_branch .LBB15_1397
.LBB15_1396:
	s_mov_b64 s[0:1], -1
                                        ; implicit-def: $vgpr3
.LBB15_1397:
	s_andn2_b64 vcc, exec, s[0:1]
	s_cbranch_vccnz .LBB15_1399
; %bb.1398:
	global_load_ubyte v3, v[12:13], off
	s_waitcnt vmcnt(0)
	v_cvt_f16_u16_e32 v3, v3
.LBB15_1399:
.LBB15_1400:
	v_mov_b32_e32 v5, s11
	v_add_co_u32_e32 v10, vcc, s10, v10
	v_addc_co_u32_e32 v11, vcc, 0, v5, vcc
	v_mov_b32_e32 v5, 11
	v_cmp_lt_i16_sdwa s[0:1], s18, v5 src0_sel:BYTE_0 src1_sel:DWORD
	s_and_b64 vcc, exec, s[0:1]
	s_cbranch_vccnz .LBB15_1407
; %bb.1401:
	v_mov_b32_e32 v5, 25
	v_cmp_gt_i16_sdwa s[0:1], s18, v5 src0_sel:BYTE_0 src1_sel:DWORD
	s_mov_b64 s[6:7], 0
	s_and_b64 vcc, exec, s[0:1]
	s_cbranch_vccz .LBB15_1409
; %bb.1402:
	v_mov_b32_e32 v5, 28
	v_cmp_gt_i16_sdwa s[0:1], s18, v5 src0_sel:BYTE_0 src1_sel:DWORD
	s_and_b64 vcc, exec, s[0:1]
	s_cbranch_vccz .LBB15_1410
; %bb.1403:
	v_mov_b32_e32 v5, 43
	v_cmp_gt_i16_sdwa s[0:1], s18, v5 src0_sel:BYTE_0 src1_sel:DWORD
	s_and_b64 vcc, exec, s[0:1]
	s_cbranch_vccz .LBB15_1411
; %bb.1404:
	v_mov_b32_e32 v5, 45
	v_cmp_gt_i16_sdwa s[0:1], s18, v5 src0_sel:BYTE_0 src1_sel:DWORD
	s_and_b64 vcc, exec, s[0:1]
	s_cbranch_vccz .LBB15_1413
; %bb.1405:
	v_mov_b32_e32 v5, 46
	v_cmp_eq_u16_sdwa s[0:1], s18, v5 src0_sel:BYTE_0 src1_sel:DWORD
	s_mov_b64 s[14:15], 0
	s_and_b64 vcc, exec, s[0:1]
	s_cbranch_vccz .LBB15_1414
; %bb.1406:
	global_load_dword v5, v[10:11], off
	s_mov_b64 s[0:1], 0
	s_mov_b64 s[12:13], -1
	s_waitcnt vmcnt(0)
	v_lshlrev_b32_e32 v5, 16, v5
	v_cvt_f16_f32_e32 v12, v5
	s_branch .LBB15_1415
.LBB15_1407:
	s_mov_b64 s[12:13], 0
                                        ; implicit-def: $vgpr12
	s_cbranch_execnz .LBB15_1481
.LBB15_1408:
	s_andn2_b64 vcc, exec, s[12:13]
	s_cbranch_vccnz .LBB15_2044
	s_branch .LBB15_1529
.LBB15_1409:
	s_mov_b64 s[14:15], -1
	s_mov_b64 s[12:13], 0
	s_mov_b64 s[0:1], 0
                                        ; implicit-def: $vgpr12
	s_branch .LBB15_1444
.LBB15_1410:
	s_mov_b64 s[14:15], -1
	s_mov_b64 s[12:13], 0
	s_mov_b64 s[0:1], 0
                                        ; implicit-def: $vgpr12
	s_branch .LBB15_1425
.LBB15_1411:
	s_mov_b64 s[14:15], -1
	s_mov_b64 s[12:13], 0
	s_mov_b64 s[0:1], 0
                                        ; implicit-def: $vgpr12
	s_branch .LBB15_1420
.LBB15_1412:
	s_trap 2
	s_or_b64 s[2:3], s[2:3], exec
                                        ; implicit-def: $vgpr3
	s_cbranch_execz .LBB15_1351
	s_branch .LBB15_1352
.LBB15_1413:
	s_mov_b64 s[14:15], -1
	s_mov_b64 s[12:13], 0
	s_mov_b64 s[0:1], 0
                                        ; implicit-def: $vgpr12
	s_branch .LBB15_1415
.LBB15_1414:
	s_mov_b64 s[0:1], -1
                                        ; implicit-def: $vgpr12
	s_mov_b64 s[12:13], 0
.LBB15_1415:
	s_and_b64 vcc, exec, s[14:15]
	s_cbranch_vccz .LBB15_1419
; %bb.1416:
	v_mov_b32_e32 v5, 44
	v_cmp_eq_u16_sdwa s[0:1], s18, v5 src0_sel:BYTE_0 src1_sel:DWORD
	s_and_b64 vcc, exec, s[0:1]
	s_cbranch_vccz .LBB15_1418
; %bb.1417:
	global_load_ubyte v5, v[10:11], off
	s_movk_i32 s12, 0xff
	v_mov_b32_e32 v9, 0x7e00
	s_mov_b64 s[0:1], 0
	s_waitcnt vmcnt(0)
	v_lshlrev_b32_e32 v7, 23, v5
	v_cvt_f16_f32_e32 v7, v7
	v_cmp_ne_u32_e32 vcc, s12, v5
	s_mov_b64 s[12:13], -1
	v_cndmask_b32_e32 v7, v9, v7, vcc
	v_cmp_ne_u32_e32 vcc, 0, v5
	v_cndmask_b32_e32 v12, 0, v7, vcc
	s_branch .LBB15_1419
.LBB15_1418:
	s_mov_b64 s[0:1], -1
                                        ; implicit-def: $vgpr12
.LBB15_1419:
	s_mov_b64 s[14:15], 0
.LBB15_1420:
	s_and_b64 vcc, exec, s[14:15]
	s_cbranch_vccz .LBB15_1424
; %bb.1421:
	v_mov_b32_e32 v5, 29
	v_cmp_eq_u16_sdwa s[0:1], s18, v5 src0_sel:BYTE_0 src1_sel:DWORD
	s_and_b64 vcc, exec, s[0:1]
	s_cbranch_vccz .LBB15_1423
; %bb.1422:
	global_load_dwordx2 v[12:13], v[10:11], off
	s_mov_b64 s[0:1], 0
	s_mov_b64 s[12:13], -1
	s_mov_b64 s[14:15], 0
	s_waitcnt vmcnt(0)
	v_ffbh_u32_e32 v5, v13
	v_min_u32_e32 v5, 32, v5
	v_lshlrev_b64 v[12:13], v5, v[12:13]
	v_min_u32_e32 v7, 1, v12
	v_or_b32_e32 v7, v13, v7
	v_cvt_f32_u32_e32 v7, v7
	v_sub_u32_e32 v5, 32, v5
	v_ldexp_f32 v5, v7, v5
	v_cvt_f16_f32_e32 v12, v5
	s_branch .LBB15_1425
.LBB15_1423:
	s_mov_b64 s[0:1], -1
                                        ; implicit-def: $vgpr12
.LBB15_1424:
	s_mov_b64 s[14:15], 0
.LBB15_1425:
	s_and_b64 vcc, exec, s[14:15]
	s_cbranch_vccz .LBB15_1443
; %bb.1426:
	v_mov_b32_e32 v5, 27
	v_cmp_lt_i16_sdwa s[12:13], s18, v5 src0_sel:BYTE_0 src1_sel:DWORD
	s_and_b64 vcc, exec, s[12:13]
	s_cbranch_vccnz .LBB15_1429
; %bb.1427:
	v_cmp_gt_i16_sdwa s[12:13], s18, v5 src0_sel:BYTE_0 src1_sel:DWORD
	s_and_b64 vcc, exec, s[12:13]
	s_cbranch_vccz .LBB15_1430
; %bb.1428:
	global_load_dword v5, v[10:11], off
	s_mov_b64 s[12:13], 0
	s_waitcnt vmcnt(0)
	v_cvt_f32_u32_e32 v5, v5
	v_cvt_f16_f32_e32 v12, v5
	s_branch .LBB15_1431
.LBB15_1429:
	s_mov_b64 s[12:13], -1
                                        ; implicit-def: $vgpr12
	s_branch .LBB15_1434
.LBB15_1430:
	s_mov_b64 s[12:13], -1
                                        ; implicit-def: $vgpr12
.LBB15_1431:
	s_andn2_b64 vcc, exec, s[12:13]
	s_cbranch_vccnz .LBB15_1433
; %bb.1432:
	global_load_ushort v5, v[10:11], off
	s_waitcnt vmcnt(0)
	v_cvt_f16_u16_e32 v12, v5
.LBB15_1433:
	s_mov_b64 s[12:13], 0
.LBB15_1434:
	s_andn2_b64 vcc, exec, s[12:13]
	s_cbranch_vccnz .LBB15_1442
; %bb.1435:
	global_load_ubyte v5, v[10:11], off
	s_movk_i32 s12, 0x7f
                                        ; implicit-def: $sgpr19
	s_waitcnt vmcnt(0)
	v_cmp_lt_i16_e32 vcc, s12, v5
	s_mov_b64 s[12:13], 0
	s_and_saveexec_b64 s[14:15], vcc
	s_xor_b64 s[14:15], exec, s[14:15]
	s_cbranch_execz .LBB15_1456
; %bb.1436:
	s_movk_i32 s12, 0x80
	v_cmp_eq_u16_e32 vcc, s12, v5
	s_mov_b64 s[12:13], -1
                                        ; implicit-def: $sgpr19
	s_and_saveexec_b64 s[16:17], vcc
; %bb.1437:
	s_movk_i32 s19, 0x7e00
	s_xor_b64 s[12:13], exec, -1
; %bb.1438:
	s_or_b64 exec, exec, s[16:17]
	s_and_b64 s[12:13], s[12:13], exec
	s_or_saveexec_b64 s[14:15], s[14:15]
	v_mov_b32_e32 v12, s19
	s_xor_b64 exec, exec, s[14:15]
	s_cbranch_execnz .LBB15_1457
.LBB15_1439:
	s_or_b64 exec, exec, s[14:15]
	s_and_saveexec_b64 s[14:15], s[12:13]
	s_cbranch_execz .LBB15_1441
.LBB15_1440:
	v_lshlrev_b32_e32 v7, 24, v5
	v_and_b32_e32 v5, 0xffff, v5
	v_and_b32_e32 v9, 7, v5
	v_ffbh_u32_e32 v13, v9
	v_min_u32_e32 v13, 32, v13
	v_subrev_u32_e32 v14, 28, v13
	v_bfe_u32 v12, v5, 3, 4
	v_lshlrev_b32_e32 v5, v14, v5
	v_sub_u32_e32 v13, 29, v13
	v_and_b32_e32 v5, 7, v5
	v_cmp_eq_u32_e32 vcc, 0, v12
	v_cndmask_b32_e32 v12, v12, v13, vcc
	v_cndmask_b32_e32 v5, v9, v5, vcc
	v_mov_b32_e32 v9, 0x3b800000
	v_lshlrev_b32_e32 v5, 20, v5
	v_and_b32_e32 v7, 0x80000000, v7
	v_lshl_add_u32 v9, v12, 23, v9
	v_or3_b32 v5, v7, v9, v5
	v_cvt_f16_f32_e32 v12, v5
.LBB15_1441:
	s_or_b64 exec, exec, s[14:15]
.LBB15_1442:
	s_mov_b64 s[12:13], -1
.LBB15_1443:
	s_mov_b64 s[14:15], 0
.LBB15_1444:
	s_and_b64 vcc, exec, s[14:15]
	s_cbranch_vccz .LBB15_1477
; %bb.1445:
	v_mov_b32_e32 v5, 22
	v_cmp_gt_i16_sdwa s[6:7], s18, v5 src0_sel:BYTE_0 src1_sel:DWORD
	s_and_b64 vcc, exec, s[6:7]
	s_cbranch_vccz .LBB15_1455
; %bb.1446:
	v_mov_b32_e32 v5, 24
	v_cmp_lt_i16_sdwa s[6:7], s18, v5 src0_sel:BYTE_0 src1_sel:DWORD
	s_and_b64 vcc, exec, s[6:7]
	s_cbranch_vccnz .LBB15_1458
; %bb.1447:
	v_cmp_gt_i16_sdwa s[6:7], s18, v5 src0_sel:BYTE_0 src1_sel:DWORD
	s_and_b64 vcc, exec, s[6:7]
	s_cbranch_vccz .LBB15_1459
; %bb.1448:
	global_load_ubyte v5, v[10:11], off
	s_movk_i32 s6, 0x7f
                                        ; implicit-def: $sgpr16
	s_waitcnt vmcnt(0)
	v_cmp_lt_i16_e32 vcc, s6, v5
	s_mov_b64 s[6:7], 0
	s_and_saveexec_b64 s[12:13], vcc
	s_xor_b64 s[12:13], exec, s[12:13]
	s_cbranch_execz .LBB15_1471
; %bb.1449:
	s_movk_i32 s6, 0x80
	v_cmp_eq_u16_e32 vcc, s6, v5
	s_mov_b64 s[6:7], -1
                                        ; implicit-def: $sgpr16
	s_and_saveexec_b64 s[14:15], vcc
; %bb.1450:
	s_movk_i32 s16, 0x7e00
	s_xor_b64 s[6:7], exec, -1
; %bb.1451:
	s_or_b64 exec, exec, s[14:15]
	s_and_b64 s[6:7], s[6:7], exec
	s_or_saveexec_b64 s[12:13], s[12:13]
	v_mov_b32_e32 v12, s16
	s_xor_b64 exec, exec, s[12:13]
	s_cbranch_execnz .LBB15_1472
.LBB15_1452:
	s_or_b64 exec, exec, s[12:13]
	s_and_saveexec_b64 s[12:13], s[6:7]
	s_cbranch_execz .LBB15_1454
.LBB15_1453:
	v_lshlrev_b32_e32 v7, 24, v5
	v_and_b32_e32 v5, 0xffff, v5
	v_and_b32_e32 v9, 3, v5
	v_ffbh_u32_e32 v13, v9
	v_min_u32_e32 v13, 32, v13
	v_subrev_u32_e32 v14, 29, v13
	v_bfe_u32 v12, v5, 2, 5
	v_lshlrev_b32_e32 v5, v14, v5
	v_sub_u32_e32 v13, 30, v13
	v_and_b32_e32 v5, 3, v5
	v_cmp_eq_u32_e32 vcc, 0, v12
	v_cndmask_b32_e32 v12, v12, v13, vcc
	v_cndmask_b32_e32 v5, v9, v5, vcc
	v_mov_b32_e32 v9, 0x37800000
	v_lshlrev_b32_e32 v5, 21, v5
	v_and_b32_e32 v7, 0x80000000, v7
	v_lshl_add_u32 v9, v12, 23, v9
	v_or3_b32 v5, v7, v9, v5
	v_cvt_f16_f32_e32 v12, v5
.LBB15_1454:
	s_or_b64 exec, exec, s[12:13]
	s_mov_b64 s[6:7], 0
	s_branch .LBB15_1460
.LBB15_1455:
	s_mov_b64 s[6:7], -1
                                        ; implicit-def: $vgpr12
	s_branch .LBB15_1466
.LBB15_1456:
	s_or_saveexec_b64 s[14:15], s[14:15]
	v_mov_b32_e32 v12, s19
	s_xor_b64 exec, exec, s[14:15]
	s_cbranch_execz .LBB15_1439
.LBB15_1457:
	v_cmp_ne_u16_e32 vcc, 0, v5
	s_andn2_b64 s[12:13], s[12:13], exec
	s_and_b64 s[16:17], vcc, exec
	s_or_b64 s[12:13], s[12:13], s[16:17]
	v_mov_b32_e32 v12, v5
	s_or_b64 exec, exec, s[14:15]
	s_and_saveexec_b64 s[14:15], s[12:13]
	s_cbranch_execnz .LBB15_1440
	s_branch .LBB15_1441
.LBB15_1458:
	s_mov_b64 s[6:7], -1
                                        ; implicit-def: $vgpr12
	s_branch .LBB15_1463
.LBB15_1459:
	s_mov_b64 s[6:7], -1
                                        ; implicit-def: $vgpr12
.LBB15_1460:
	s_and_b64 vcc, exec, s[6:7]
	s_cbranch_vccz .LBB15_1462
; %bb.1461:
	global_load_ubyte v5, v[10:11], off
	s_mov_b32 s6, 0x7f800000
	s_waitcnt vmcnt(0)
	v_lshlrev_b32_e32 v5, 24, v5
	v_and_b32_e32 v7, 0x7f000000, v5
	v_ffbh_u32_e32 v9, v7
	v_min_u32_e32 v9, 32, v9
	v_sub_u32_e64 v9, v9, 4 clamp
	v_lshlrev_b32_e32 v13, v9, v7
	v_lshlrev_b32_e32 v9, 23, v9
	v_lshrrev_b32_e32 v13, 4, v13
	v_add_u32_e32 v12, 0x1000000, v7
	v_sub_u32_e32 v9, v13, v9
	v_ashrrev_i32_e32 v12, 8, v12
	v_add_u32_e32 v9, 0x3c000000, v9
	v_and_or_b32 v9, v12, s6, v9
	v_cmp_ne_u32_e32 vcc, 0, v7
	v_cndmask_b32_e32 v7, 0, v9, vcc
	s_brev_b32 s6, 1
	v_and_or_b32 v5, v5, s6, v7
	v_cvt_f16_f32_e32 v12, v5
.LBB15_1462:
	s_mov_b64 s[6:7], 0
.LBB15_1463:
	s_andn2_b64 vcc, exec, s[6:7]
	s_cbranch_vccnz .LBB15_1465
; %bb.1464:
	global_load_ubyte v5, v[10:11], off
	s_movk_i32 s6, 0x7f00
	s_brev_b32 s7, 16
	s_waitcnt vmcnt(0)
	v_lshlrev_b16_e32 v7, 8, v5
	v_lshlrev_b32_e32 v5, 25, v5
	v_lshrrev_b32_e32 v9, 4, v5
	v_and_or_b32 v12, v7, s6, 0.5
	v_or_b32_e32 v9, 0x70000000, v9
	v_add_f32_e32 v12, -0.5, v12
	v_mul_f32_e32 v9, 0x7800000, v9
	v_cmp_gt_u32_e32 vcc, s7, v5
	v_bfe_i32 v7, v7, 0, 16
	v_cndmask_b32_e32 v5, v9, v12, vcc
	s_brev_b32 s6, 1
	v_and_or_b32 v5, v7, s6, v5
	v_cvt_f16_f32_e32 v12, v5
.LBB15_1465:
	s_mov_b64 s[6:7], 0
	s_mov_b64 s[12:13], -1
.LBB15_1466:
	s_andn2_b64 vcc, exec, s[6:7]
	s_mov_b64 s[6:7], 0
	s_cbranch_vccnz .LBB15_1477
; %bb.1467:
	v_mov_b32_e32 v5, 14
	v_cmp_gt_i16_sdwa s[6:7], s18, v5 src0_sel:BYTE_0 src1_sel:DWORD
	s_and_b64 vcc, exec, s[6:7]
	s_cbranch_vccz .LBB15_1470
; %bb.1468:
	v_mov_b32_e32 v5, 15
	v_cmp_eq_u16_sdwa s[0:1], s18, v5 src0_sel:BYTE_0 src1_sel:DWORD
	s_and_b64 vcc, exec, s[0:1]
	s_cbranch_vccz .LBB15_1473
; %bb.1469:
	global_load_ushort v5, v[10:11], off
	s_mov_b64 s[0:1], 0
	s_mov_b64 s[12:13], -1
	s_waitcnt vmcnt(0)
	v_lshlrev_b32_e32 v5, 16, v5
	v_cvt_f16_f32_e32 v12, v5
	s_branch .LBB15_1474
.LBB15_1470:
	s_mov_b64 s[14:15], -1
                                        ; implicit-def: $vgpr12
	s_branch .LBB15_1475
.LBB15_1471:
	s_or_saveexec_b64 s[12:13], s[12:13]
	v_mov_b32_e32 v12, s16
	s_xor_b64 exec, exec, s[12:13]
	s_cbranch_execz .LBB15_1452
.LBB15_1472:
	v_cmp_ne_u16_e32 vcc, 0, v5
	s_andn2_b64 s[6:7], s[6:7], exec
	s_and_b64 s[14:15], vcc, exec
	s_or_b64 s[6:7], s[6:7], s[14:15]
	v_mov_b32_e32 v12, v5
	s_or_b64 exec, exec, s[12:13]
	s_and_saveexec_b64 s[12:13], s[6:7]
	s_cbranch_execnz .LBB15_1453
	s_branch .LBB15_1454
.LBB15_1473:
	s_mov_b64 s[0:1], -1
                                        ; implicit-def: $vgpr12
.LBB15_1474:
	s_mov_b64 s[14:15], 0
.LBB15_1475:
	s_mov_b64 s[6:7], 0
	s_and_b64 vcc, exec, s[14:15]
	s_cbranch_vccz .LBB15_1477
; %bb.1476:
	v_mov_b32_e32 v5, 11
	v_cmp_ne_u16_sdwa s[0:1], s18, v5 src0_sel:BYTE_0 src1_sel:DWORD
	s_mov_b64 s[6:7], -1
                                        ; implicit-def: $vgpr12
.LBB15_1477:
	s_and_b64 vcc, exec, s[0:1]
	s_cbranch_vccnz .LBB15_1540
; %bb.1478:
	s_andn2_b64 vcc, exec, s[6:7]
	s_cbranch_vccnz .LBB15_1480
.LBB15_1479:
	global_load_ubyte v5, v[10:11], off
	v_mov_b32_e32 v7, 0x3c00
	s_mov_b64 s[12:13], -1
	s_waitcnt vmcnt(0)
	v_cmp_ne_u16_e32 vcc, 0, v5
	v_cndmask_b32_e32 v12, 0, v7, vcc
.LBB15_1480:
	s_branch .LBB15_1408
.LBB15_1481:
	v_mov_b32_e32 v5, 5
	v_cmp_lt_i16_sdwa s[0:1], s18, v5 src0_sel:BYTE_0 src1_sel:DWORD
	s_and_b64 vcc, exec, s[0:1]
	s_cbranch_vccnz .LBB15_1486
; %bb.1482:
	v_mov_b32_e32 v5, 8
	v_cmp_lt_i16_sdwa s[0:1], s18, v5 src0_sel:BYTE_0 src1_sel:DWORD
	s_and_b64 vcc, exec, s[0:1]
	s_cbranch_vccnz .LBB15_1487
; %bb.1483:
	;; [unrolled: 5-line block ×3, first 2 shown]
	v_cmp_gt_i16_sdwa s[0:1], s18, v5 src0_sel:BYTE_0 src1_sel:DWORD
	s_and_b64 vcc, exec, s[0:1]
	s_cbranch_vccz .LBB15_1489
; %bb.1485:
	global_load_dwordx2 v[12:13], v[10:11], off
	s_mov_b64 s[0:1], 0
	s_waitcnt vmcnt(0)
	v_cvt_f32_f64_e32 v5, v[12:13]
	v_cvt_f16_f32_e32 v12, v5
	s_branch .LBB15_1490
.LBB15_1486:
	s_mov_b64 s[0:1], -1
                                        ; implicit-def: $vgpr12
	s_branch .LBB15_1508
.LBB15_1487:
	s_mov_b64 s[0:1], -1
                                        ; implicit-def: $vgpr12
	s_branch .LBB15_1496
.LBB15_1488:
	s_mov_b64 s[0:1], -1
                                        ; implicit-def: $vgpr12
	s_branch .LBB15_1493
.LBB15_1489:
	s_mov_b64 s[0:1], -1
                                        ; implicit-def: $vgpr12
.LBB15_1490:
	s_andn2_b64 vcc, exec, s[0:1]
	s_cbranch_vccnz .LBB15_1492
; %bb.1491:
	global_load_dword v5, v[10:11], off
	s_waitcnt vmcnt(0)
	v_cvt_f16_f32_e32 v12, v5
.LBB15_1492:
	s_mov_b64 s[0:1], 0
.LBB15_1493:
	s_andn2_b64 vcc, exec, s[0:1]
	s_cbranch_vccnz .LBB15_1495
; %bb.1494:
	global_load_dword v12, v[10:11], off
.LBB15_1495:
	s_mov_b64 s[0:1], 0
.LBB15_1496:
	s_andn2_b64 vcc, exec, s[0:1]
	s_cbranch_vccnz .LBB15_1507
; %bb.1497:
	v_mov_b32_e32 v5, 6
	v_cmp_lt_i16_sdwa s[0:1], s18, v5 src0_sel:BYTE_0 src1_sel:DWORD
	s_and_b64 vcc, exec, s[0:1]
	s_cbranch_vccnz .LBB15_1500
; %bb.1498:
	v_cmp_gt_i16_sdwa s[0:1], s18, v5 src0_sel:BYTE_0 src1_sel:DWORD
	s_and_b64 vcc, exec, s[0:1]
	s_cbranch_vccz .LBB15_1501
; %bb.1499:
	global_load_dwordx2 v[12:13], v[10:11], off
	s_mov_b64 s[0:1], 0
	s_waitcnt vmcnt(0)
	v_cvt_f32_f64_e32 v5, v[12:13]
	v_cvt_f16_f32_e32 v12, v5
	s_branch .LBB15_1502
.LBB15_1500:
	s_mov_b64 s[0:1], -1
                                        ; implicit-def: $vgpr12
	s_branch .LBB15_1505
.LBB15_1501:
	s_mov_b64 s[0:1], -1
                                        ; implicit-def: $vgpr12
.LBB15_1502:
	s_andn2_b64 vcc, exec, s[0:1]
	s_cbranch_vccnz .LBB15_1504
; %bb.1503:
	global_load_dword v5, v[10:11], off
	s_waitcnt vmcnt(0)
	v_cvt_f16_f32_e32 v12, v5
.LBB15_1504:
	s_mov_b64 s[0:1], 0
.LBB15_1505:
	s_andn2_b64 vcc, exec, s[0:1]
	s_cbranch_vccnz .LBB15_1507
; %bb.1506:
	global_load_ushort v12, v[10:11], off
.LBB15_1507:
	s_mov_b64 s[0:1], 0
.LBB15_1508:
	s_andn2_b64 vcc, exec, s[0:1]
	s_cbranch_vccnz .LBB15_1528
; %bb.1509:
	v_mov_b32_e32 v5, 2
	v_cmp_lt_i16_sdwa s[0:1], s18, v5 src0_sel:BYTE_0 src1_sel:DWORD
	s_and_b64 vcc, exec, s[0:1]
	s_cbranch_vccnz .LBB15_1513
; %bb.1510:
	v_mov_b32_e32 v5, 3
	v_cmp_lt_i16_sdwa s[0:1], s18, v5 src0_sel:BYTE_0 src1_sel:DWORD
	s_and_b64 vcc, exec, s[0:1]
	s_cbranch_vccnz .LBB15_1514
; %bb.1511:
	v_cmp_gt_i16_sdwa s[0:1], s18, v5 src0_sel:BYTE_0 src1_sel:DWORD
	s_and_b64 vcc, exec, s[0:1]
	s_cbranch_vccz .LBB15_1515
; %bb.1512:
	global_load_dwordx2 v[12:13], v[10:11], off
	s_mov_b64 s[0:1], 0
	s_waitcnt vmcnt(0)
	v_xor_b32_e32 v7, v12, v13
	v_ffbh_i32_e32 v5, v13
	v_ashrrev_i32_e32 v7, 31, v7
	v_add_u32_e32 v5, -1, v5
	v_add_u32_e32 v7, 32, v7
	v_min_u32_e32 v5, v5, v7
	v_lshlrev_b64 v[12:13], v5, v[12:13]
	v_min_u32_e32 v7, 1, v12
	v_or_b32_e32 v7, v13, v7
	v_cvt_f32_i32_e32 v7, v7
	v_sub_u32_e32 v5, 32, v5
	v_ldexp_f32 v5, v7, v5
	v_cvt_f16_f32_e32 v12, v5
	s_branch .LBB15_1516
.LBB15_1513:
	s_mov_b64 s[0:1], -1
                                        ; implicit-def: $vgpr12
	s_branch .LBB15_1522
.LBB15_1514:
	s_mov_b64 s[0:1], -1
                                        ; implicit-def: $vgpr12
	s_branch .LBB15_1519
.LBB15_1515:
	s_mov_b64 s[0:1], -1
                                        ; implicit-def: $vgpr12
.LBB15_1516:
	s_andn2_b64 vcc, exec, s[0:1]
	s_cbranch_vccnz .LBB15_1518
; %bb.1517:
	global_load_dword v5, v[10:11], off
	s_waitcnt vmcnt(0)
	v_cvt_f32_i32_e32 v5, v5
	v_cvt_f16_f32_e32 v12, v5
.LBB15_1518:
	s_mov_b64 s[0:1], 0
.LBB15_1519:
	s_andn2_b64 vcc, exec, s[0:1]
	s_cbranch_vccnz .LBB15_1521
; %bb.1520:
	global_load_ushort v5, v[10:11], off
	s_waitcnt vmcnt(0)
	v_cvt_f16_i16_e32 v12, v5
.LBB15_1521:
	s_mov_b64 s[0:1], 0
.LBB15_1522:
	s_andn2_b64 vcc, exec, s[0:1]
	s_cbranch_vccnz .LBB15_1528
; %bb.1523:
	v_mov_b32_e32 v5, 0
	v_cmp_gt_i16_sdwa s[0:1], s18, v5 src0_sel:BYTE_0 src1_sel:DWORD
	s_and_b64 vcc, exec, s[0:1]
	s_cbranch_vccz .LBB15_1525
; %bb.1524:
	global_load_sbyte v5, v[10:11], off
	s_mov_b64 s[0:1], 0
	s_waitcnt vmcnt(0)
	v_cvt_f16_i16_e32 v12, v5
	s_branch .LBB15_1526
.LBB15_1525:
	s_mov_b64 s[0:1], -1
                                        ; implicit-def: $vgpr12
.LBB15_1526:
	s_andn2_b64 vcc, exec, s[0:1]
	s_cbranch_vccnz .LBB15_1528
; %bb.1527:
	global_load_ubyte v5, v[10:11], off
	s_waitcnt vmcnt(0)
	v_cvt_f16_u16_e32 v12, v5
.LBB15_1528:
.LBB15_1529:
	v_mov_b32_e32 v5, s11
	v_add_co_u32_e32 v8, vcc, s10, v8
	v_addc_co_u32_e32 v9, vcc, 0, v5, vcc
	v_mov_b32_e32 v5, 11
	v_cmp_lt_i16_sdwa s[0:1], s18, v5 src0_sel:BYTE_0 src1_sel:DWORD
	s_and_b64 vcc, exec, s[0:1]
	s_cbranch_vccnz .LBB15_1536
; %bb.1530:
	v_mov_b32_e32 v5, 25
	v_cmp_gt_i16_sdwa s[0:1], s18, v5 src0_sel:BYTE_0 src1_sel:DWORD
	s_mov_b64 s[6:7], 0
	s_and_b64 vcc, exec, s[0:1]
	s_cbranch_vccz .LBB15_1537
; %bb.1531:
	v_mov_b32_e32 v5, 28
	v_cmp_gt_i16_sdwa s[0:1], s18, v5 src0_sel:BYTE_0 src1_sel:DWORD
	s_and_b64 vcc, exec, s[0:1]
	s_cbranch_vccz .LBB15_1538
; %bb.1532:
	v_mov_b32_e32 v5, 43
	v_cmp_gt_i16_sdwa s[0:1], s18, v5 src0_sel:BYTE_0 src1_sel:DWORD
	s_and_b64 vcc, exec, s[0:1]
	s_cbranch_vccz .LBB15_1539
; %bb.1533:
	v_mov_b32_e32 v5, 45
	v_cmp_gt_i16_sdwa s[0:1], s18, v5 src0_sel:BYTE_0 src1_sel:DWORD
	s_and_b64 vcc, exec, s[0:1]
	s_cbranch_vccz .LBB15_1541
; %bb.1534:
	v_mov_b32_e32 v5, 46
	v_cmp_eq_u16_sdwa s[0:1], s18, v5 src0_sel:BYTE_0 src1_sel:DWORD
	s_mov_b64 s[12:13], 0
	s_and_b64 vcc, exec, s[0:1]
	s_cbranch_vccz .LBB15_1542
; %bb.1535:
	global_load_dword v5, v[8:9], off
	s_mov_b64 s[0:1], 0
	s_mov_b64 s[10:11], -1
	s_waitcnt vmcnt(0)
	v_lshlrev_b32_e32 v5, 16, v5
	v_cvt_f16_f32_e32 v10, v5
	s_branch .LBB15_1543
.LBB15_1536:
	s_mov_b64 s[0:1], -1
	s_mov_b64 s[10:11], 0
                                        ; implicit-def: $vgpr10
	s_branch .LBB15_1609
.LBB15_1537:
	s_mov_b64 s[12:13], -1
	s_mov_b64 s[10:11], 0
	s_mov_b64 s[0:1], 0
                                        ; implicit-def: $vgpr10
	s_branch .LBB15_1572
.LBB15_1538:
	s_mov_b64 s[12:13], -1
	s_mov_b64 s[10:11], 0
	s_mov_b64 s[0:1], 0
                                        ; implicit-def: $vgpr10
	s_branch .LBB15_1553
.LBB15_1539:
	s_mov_b64 s[12:13], -1
	s_mov_b64 s[10:11], 0
	s_mov_b64 s[0:1], 0
                                        ; implicit-def: $vgpr10
	s_branch .LBB15_1548
.LBB15_1540:
	s_trap 2
	s_or_b64 s[2:3], s[2:3], exec
                                        ; implicit-def: $vgpr12
	s_cbranch_execz .LBB15_1479
	s_branch .LBB15_1480
.LBB15_1541:
	s_mov_b64 s[12:13], -1
	s_mov_b64 s[10:11], 0
	s_mov_b64 s[0:1], 0
                                        ; implicit-def: $vgpr10
	s_branch .LBB15_1543
.LBB15_1542:
	s_mov_b64 s[0:1], -1
                                        ; implicit-def: $vgpr10
	s_mov_b64 s[10:11], 0
.LBB15_1543:
	s_and_b64 vcc, exec, s[12:13]
	s_cbranch_vccz .LBB15_1547
; %bb.1544:
	v_mov_b32_e32 v5, 44
	v_cmp_eq_u16_sdwa s[0:1], s18, v5 src0_sel:BYTE_0 src1_sel:DWORD
	s_and_b64 vcc, exec, s[0:1]
	s_cbranch_vccz .LBB15_1546
; %bb.1545:
	global_load_ubyte v5, v[8:9], off
	s_movk_i32 s10, 0xff
	v_mov_b32_e32 v10, 0x7e00
	s_mov_b64 s[0:1], 0
	s_waitcnt vmcnt(0)
	v_lshlrev_b32_e32 v7, 23, v5
	v_cvt_f16_f32_e32 v7, v7
	v_cmp_ne_u32_e32 vcc, s10, v5
	s_mov_b64 s[10:11], -1
	v_cndmask_b32_e32 v7, v10, v7, vcc
	v_cmp_ne_u32_e32 vcc, 0, v5
	v_cndmask_b32_e32 v10, 0, v7, vcc
	s_branch .LBB15_1547
.LBB15_1546:
	s_mov_b64 s[0:1], -1
                                        ; implicit-def: $vgpr10
.LBB15_1547:
	s_mov_b64 s[12:13], 0
.LBB15_1548:
	s_and_b64 vcc, exec, s[12:13]
	s_cbranch_vccz .LBB15_1552
; %bb.1549:
	v_mov_b32_e32 v5, 29
	v_cmp_eq_u16_sdwa s[0:1], s18, v5 src0_sel:BYTE_0 src1_sel:DWORD
	s_and_b64 vcc, exec, s[0:1]
	s_cbranch_vccz .LBB15_1551
; %bb.1550:
	global_load_dwordx2 v[10:11], v[8:9], off
	s_mov_b64 s[0:1], 0
	s_mov_b64 s[10:11], -1
	s_mov_b64 s[12:13], 0
	s_waitcnt vmcnt(0)
	v_ffbh_u32_e32 v5, v11
	v_min_u32_e32 v5, 32, v5
	v_lshlrev_b64 v[10:11], v5, v[10:11]
	v_min_u32_e32 v7, 1, v10
	v_or_b32_e32 v7, v11, v7
	v_cvt_f32_u32_e32 v7, v7
	v_sub_u32_e32 v5, 32, v5
	v_ldexp_f32 v5, v7, v5
	v_cvt_f16_f32_e32 v10, v5
	s_branch .LBB15_1553
.LBB15_1551:
	s_mov_b64 s[0:1], -1
                                        ; implicit-def: $vgpr10
.LBB15_1552:
	s_mov_b64 s[12:13], 0
.LBB15_1553:
	s_and_b64 vcc, exec, s[12:13]
	s_cbranch_vccz .LBB15_1571
; %bb.1554:
	v_mov_b32_e32 v5, 27
	v_cmp_lt_i16_sdwa s[10:11], s18, v5 src0_sel:BYTE_0 src1_sel:DWORD
	s_and_b64 vcc, exec, s[10:11]
	s_cbranch_vccnz .LBB15_1557
; %bb.1555:
	v_cmp_gt_i16_sdwa s[10:11], s18, v5 src0_sel:BYTE_0 src1_sel:DWORD
	s_and_b64 vcc, exec, s[10:11]
	s_cbranch_vccz .LBB15_1558
; %bb.1556:
	global_load_dword v5, v[8:9], off
	s_mov_b64 s[10:11], 0
	s_waitcnt vmcnt(0)
	v_cvt_f32_u32_e32 v5, v5
	v_cvt_f16_f32_e32 v10, v5
	s_branch .LBB15_1559
.LBB15_1557:
	s_mov_b64 s[10:11], -1
                                        ; implicit-def: $vgpr10
	s_branch .LBB15_1562
.LBB15_1558:
	s_mov_b64 s[10:11], -1
                                        ; implicit-def: $vgpr10
.LBB15_1559:
	s_andn2_b64 vcc, exec, s[10:11]
	s_cbranch_vccnz .LBB15_1561
; %bb.1560:
	global_load_ushort v5, v[8:9], off
	s_waitcnt vmcnt(0)
	v_cvt_f16_u16_e32 v10, v5
.LBB15_1561:
	s_mov_b64 s[10:11], 0
.LBB15_1562:
	s_andn2_b64 vcc, exec, s[10:11]
	s_cbranch_vccnz .LBB15_1570
; %bb.1563:
	global_load_ubyte v5, v[8:9], off
	s_movk_i32 s10, 0x7f
                                        ; implicit-def: $sgpr16
	s_waitcnt vmcnt(0)
	v_cmp_lt_i16_e32 vcc, s10, v5
	s_mov_b64 s[10:11], 0
	s_and_saveexec_b64 s[12:13], vcc
	s_xor_b64 s[12:13], exec, s[12:13]
	s_cbranch_execz .LBB15_1584
; %bb.1564:
	s_movk_i32 s10, 0x80
	v_cmp_eq_u16_e32 vcc, s10, v5
	s_mov_b64 s[10:11], -1
                                        ; implicit-def: $sgpr16
	s_and_saveexec_b64 s[14:15], vcc
; %bb.1565:
	s_movk_i32 s16, 0x7e00
	s_xor_b64 s[10:11], exec, -1
; %bb.1566:
	s_or_b64 exec, exec, s[14:15]
	s_and_b64 s[10:11], s[10:11], exec
	s_or_saveexec_b64 s[12:13], s[12:13]
	v_mov_b32_e32 v10, s16
	s_xor_b64 exec, exec, s[12:13]
	s_cbranch_execnz .LBB15_1585
.LBB15_1567:
	s_or_b64 exec, exec, s[12:13]
	s_and_saveexec_b64 s[12:13], s[10:11]
	s_cbranch_execz .LBB15_1569
.LBB15_1568:
	v_lshlrev_b32_e32 v7, 24, v5
	v_and_b32_e32 v5, 0xffff, v5
	v_and_b32_e32 v10, 7, v5
	v_ffbh_u32_e32 v13, v10
	v_min_u32_e32 v13, 32, v13
	v_subrev_u32_e32 v14, 28, v13
	v_bfe_u32 v11, v5, 3, 4
	v_lshlrev_b32_e32 v5, v14, v5
	v_sub_u32_e32 v13, 29, v13
	v_and_b32_e32 v5, 7, v5
	v_cmp_eq_u32_e32 vcc, 0, v11
	v_cndmask_b32_e32 v11, v11, v13, vcc
	v_cndmask_b32_e32 v5, v10, v5, vcc
	v_mov_b32_e32 v10, 0x3b800000
	v_lshlrev_b32_e32 v5, 20, v5
	v_and_b32_e32 v7, 0x80000000, v7
	v_lshl_add_u32 v10, v11, 23, v10
	v_or3_b32 v5, v7, v10, v5
	v_cvt_f16_f32_e32 v10, v5
.LBB15_1569:
	s_or_b64 exec, exec, s[12:13]
.LBB15_1570:
	s_mov_b64 s[10:11], -1
.LBB15_1571:
	s_mov_b64 s[12:13], 0
.LBB15_1572:
	s_and_b64 vcc, exec, s[12:13]
	s_cbranch_vccz .LBB15_1605
; %bb.1573:
	v_mov_b32_e32 v5, 22
	v_cmp_gt_i16_sdwa s[6:7], s18, v5 src0_sel:BYTE_0 src1_sel:DWORD
	s_and_b64 vcc, exec, s[6:7]
	s_cbranch_vccz .LBB15_1583
; %bb.1574:
	v_mov_b32_e32 v5, 24
	v_cmp_lt_i16_sdwa s[6:7], s18, v5 src0_sel:BYTE_0 src1_sel:DWORD
	s_and_b64 vcc, exec, s[6:7]
	s_cbranch_vccnz .LBB15_1586
; %bb.1575:
	v_cmp_gt_i16_sdwa s[6:7], s18, v5 src0_sel:BYTE_0 src1_sel:DWORD
	s_and_b64 vcc, exec, s[6:7]
	s_cbranch_vccz .LBB15_1587
; %bb.1576:
	global_load_ubyte v5, v[8:9], off
	s_movk_i32 s6, 0x7f
                                        ; implicit-def: $sgpr14
	s_waitcnt vmcnt(0)
	v_cmp_lt_i16_e32 vcc, s6, v5
	s_mov_b64 s[6:7], 0
	s_and_saveexec_b64 s[10:11], vcc
	s_xor_b64 s[10:11], exec, s[10:11]
	s_cbranch_execz .LBB15_1599
; %bb.1577:
	s_movk_i32 s6, 0x80
	v_cmp_eq_u16_e32 vcc, s6, v5
	s_mov_b64 s[6:7], -1
                                        ; implicit-def: $sgpr14
	s_and_saveexec_b64 s[12:13], vcc
; %bb.1578:
	s_movk_i32 s14, 0x7e00
	s_xor_b64 s[6:7], exec, -1
; %bb.1579:
	s_or_b64 exec, exec, s[12:13]
	s_and_b64 s[6:7], s[6:7], exec
	s_or_saveexec_b64 s[10:11], s[10:11]
	v_mov_b32_e32 v10, s14
	s_xor_b64 exec, exec, s[10:11]
	s_cbranch_execnz .LBB15_1600
.LBB15_1580:
	s_or_b64 exec, exec, s[10:11]
	s_and_saveexec_b64 s[10:11], s[6:7]
	s_cbranch_execz .LBB15_1582
.LBB15_1581:
	v_lshlrev_b32_e32 v7, 24, v5
	v_and_b32_e32 v5, 0xffff, v5
	v_and_b32_e32 v10, 3, v5
	v_ffbh_u32_e32 v13, v10
	v_min_u32_e32 v13, 32, v13
	v_subrev_u32_e32 v14, 29, v13
	v_bfe_u32 v11, v5, 2, 5
	v_lshlrev_b32_e32 v5, v14, v5
	v_sub_u32_e32 v13, 30, v13
	v_and_b32_e32 v5, 3, v5
	v_cmp_eq_u32_e32 vcc, 0, v11
	v_cndmask_b32_e32 v11, v11, v13, vcc
	v_cndmask_b32_e32 v5, v10, v5, vcc
	v_mov_b32_e32 v10, 0x37800000
	v_lshlrev_b32_e32 v5, 21, v5
	v_and_b32_e32 v7, 0x80000000, v7
	v_lshl_add_u32 v10, v11, 23, v10
	v_or3_b32 v5, v7, v10, v5
	v_cvt_f16_f32_e32 v10, v5
.LBB15_1582:
	s_or_b64 exec, exec, s[10:11]
	s_mov_b64 s[6:7], 0
	s_branch .LBB15_1588
.LBB15_1583:
	s_mov_b64 s[6:7], -1
                                        ; implicit-def: $vgpr10
	s_branch .LBB15_1594
.LBB15_1584:
	s_or_saveexec_b64 s[12:13], s[12:13]
	v_mov_b32_e32 v10, s16
	s_xor_b64 exec, exec, s[12:13]
	s_cbranch_execz .LBB15_1567
.LBB15_1585:
	v_cmp_ne_u16_e32 vcc, 0, v5
	s_andn2_b64 s[10:11], s[10:11], exec
	s_and_b64 s[14:15], vcc, exec
	s_or_b64 s[10:11], s[10:11], s[14:15]
	v_mov_b32_e32 v10, v5
	s_or_b64 exec, exec, s[12:13]
	s_and_saveexec_b64 s[12:13], s[10:11]
	s_cbranch_execnz .LBB15_1568
	s_branch .LBB15_1569
.LBB15_1586:
	s_mov_b64 s[6:7], -1
                                        ; implicit-def: $vgpr10
	s_branch .LBB15_1591
.LBB15_1587:
	s_mov_b64 s[6:7], -1
                                        ; implicit-def: $vgpr10
.LBB15_1588:
	s_and_b64 vcc, exec, s[6:7]
	s_cbranch_vccz .LBB15_1590
; %bb.1589:
	global_load_ubyte v5, v[8:9], off
	s_mov_b32 s6, 0x7f800000
	s_waitcnt vmcnt(0)
	v_lshlrev_b32_e32 v5, 24, v5
	v_and_b32_e32 v7, 0x7f000000, v5
	v_ffbh_u32_e32 v10, v7
	v_min_u32_e32 v10, 32, v10
	v_sub_u32_e64 v10, v10, 4 clamp
	v_lshlrev_b32_e32 v13, v10, v7
	v_lshlrev_b32_e32 v10, 23, v10
	v_lshrrev_b32_e32 v13, 4, v13
	v_add_u32_e32 v11, 0x1000000, v7
	v_sub_u32_e32 v10, v13, v10
	v_ashrrev_i32_e32 v11, 8, v11
	v_add_u32_e32 v10, 0x3c000000, v10
	v_and_or_b32 v10, v11, s6, v10
	v_cmp_ne_u32_e32 vcc, 0, v7
	v_cndmask_b32_e32 v7, 0, v10, vcc
	s_brev_b32 s6, 1
	v_and_or_b32 v5, v5, s6, v7
	v_cvt_f16_f32_e32 v10, v5
.LBB15_1590:
	s_mov_b64 s[6:7], 0
.LBB15_1591:
	s_andn2_b64 vcc, exec, s[6:7]
	s_cbranch_vccnz .LBB15_1593
; %bb.1592:
	global_load_ubyte v5, v[8:9], off
	s_movk_i32 s6, 0x7f00
	s_brev_b32 s7, 16
	s_waitcnt vmcnt(0)
	v_lshlrev_b16_e32 v7, 8, v5
	v_lshlrev_b32_e32 v5, 25, v5
	v_lshrrev_b32_e32 v10, 4, v5
	v_and_or_b32 v11, v7, s6, 0.5
	v_or_b32_e32 v10, 0x70000000, v10
	v_add_f32_e32 v11, -0.5, v11
	v_mul_f32_e32 v10, 0x7800000, v10
	v_cmp_gt_u32_e32 vcc, s7, v5
	v_bfe_i32 v7, v7, 0, 16
	v_cndmask_b32_e32 v5, v10, v11, vcc
	s_brev_b32 s6, 1
	v_and_or_b32 v5, v7, s6, v5
	v_cvt_f16_f32_e32 v10, v5
.LBB15_1593:
	s_mov_b64 s[6:7], 0
	s_mov_b64 s[10:11], -1
.LBB15_1594:
	s_andn2_b64 vcc, exec, s[6:7]
	s_mov_b64 s[6:7], 0
	s_cbranch_vccnz .LBB15_1605
; %bb.1595:
	v_mov_b32_e32 v5, 14
	v_cmp_gt_i16_sdwa s[6:7], s18, v5 src0_sel:BYTE_0 src1_sel:DWORD
	s_and_b64 vcc, exec, s[6:7]
	s_cbranch_vccz .LBB15_1598
; %bb.1596:
	v_mov_b32_e32 v5, 15
	v_cmp_eq_u16_sdwa s[0:1], s18, v5 src0_sel:BYTE_0 src1_sel:DWORD
	s_and_b64 vcc, exec, s[0:1]
	s_cbranch_vccz .LBB15_1601
; %bb.1597:
	global_load_ushort v5, v[8:9], off
	s_mov_b64 s[0:1], 0
	s_mov_b64 s[10:11], -1
	s_waitcnt vmcnt(0)
	v_lshlrev_b32_e32 v5, 16, v5
	v_cvt_f16_f32_e32 v10, v5
	s_branch .LBB15_1602
.LBB15_1598:
	s_mov_b64 s[12:13], -1
                                        ; implicit-def: $vgpr10
	s_branch .LBB15_1603
.LBB15_1599:
	s_or_saveexec_b64 s[10:11], s[10:11]
	v_mov_b32_e32 v10, s14
	s_xor_b64 exec, exec, s[10:11]
	s_cbranch_execz .LBB15_1580
.LBB15_1600:
	v_cmp_ne_u16_e32 vcc, 0, v5
	s_andn2_b64 s[6:7], s[6:7], exec
	s_and_b64 s[12:13], vcc, exec
	s_or_b64 s[6:7], s[6:7], s[12:13]
	v_mov_b32_e32 v10, v5
	s_or_b64 exec, exec, s[10:11]
	s_and_saveexec_b64 s[10:11], s[6:7]
	s_cbranch_execnz .LBB15_1581
	s_branch .LBB15_1582
.LBB15_1601:
	s_mov_b64 s[0:1], -1
                                        ; implicit-def: $vgpr10
.LBB15_1602:
	s_mov_b64 s[12:13], 0
.LBB15_1603:
	s_mov_b64 s[6:7], 0
	s_and_b64 vcc, exec, s[12:13]
	s_cbranch_vccz .LBB15_1605
; %bb.1604:
	v_mov_b32_e32 v5, 11
	v_cmp_ne_u16_sdwa s[0:1], s18, v5 src0_sel:BYTE_0 src1_sel:DWORD
	s_mov_b64 s[6:7], -1
                                        ; implicit-def: $vgpr10
.LBB15_1605:
	s_and_b64 vcc, exec, s[0:1]
	s_cbranch_vccnz .LBB15_1669
; %bb.1606:
	s_andn2_b64 vcc, exec, s[6:7]
	s_cbranch_vccnz .LBB15_1608
.LBB15_1607:
	global_load_ubyte v5, v[8:9], off
	v_mov_b32_e32 v7, 0x3c00
	s_mov_b64 s[10:11], -1
	s_waitcnt vmcnt(0)
	v_cmp_ne_u16_e32 vcc, 0, v5
	v_cndmask_b32_e32 v10, 0, v7, vcc
.LBB15_1608:
	s_mov_b64 s[0:1], 0
.LBB15_1609:
	s_and_b64 vcc, exec, s[0:1]
	s_cbranch_vccz .LBB15_1658
; %bb.1610:
	v_mov_b32_e32 v5, 5
	v_cmp_lt_i16_sdwa s[0:1], s18, v5 src0_sel:BYTE_0 src1_sel:DWORD
	s_and_b64 vcc, exec, s[0:1]
	s_cbranch_vccnz .LBB15_1615
; %bb.1611:
	v_mov_b32_e32 v5, 8
	v_cmp_lt_i16_sdwa s[0:1], s18, v5 src0_sel:BYTE_0 src1_sel:DWORD
	s_and_b64 vcc, exec, s[0:1]
	s_cbranch_vccnz .LBB15_1616
	;; [unrolled: 5-line block ×3, first 2 shown]
; %bb.1613:
	v_cmp_gt_i16_sdwa s[0:1], s18, v5 src0_sel:BYTE_0 src1_sel:DWORD
	s_and_b64 vcc, exec, s[0:1]
	s_cbranch_vccz .LBB15_1618
; %bb.1614:
	global_load_dwordx2 v[10:11], v[8:9], off
	s_mov_b64 s[0:1], 0
	s_waitcnt vmcnt(0)
	v_cvt_f32_f64_e32 v5, v[10:11]
	v_cvt_f16_f32_e32 v10, v5
	s_branch .LBB15_1619
.LBB15_1615:
	s_mov_b64 s[0:1], -1
                                        ; implicit-def: $vgpr10
	s_branch .LBB15_1637
.LBB15_1616:
	s_mov_b64 s[0:1], -1
                                        ; implicit-def: $vgpr10
	s_branch .LBB15_1625
.LBB15_1617:
	s_mov_b64 s[0:1], -1
                                        ; implicit-def: $vgpr10
	s_branch .LBB15_1622
.LBB15_1618:
	s_mov_b64 s[0:1], -1
                                        ; implicit-def: $vgpr10
.LBB15_1619:
	s_andn2_b64 vcc, exec, s[0:1]
	s_cbranch_vccnz .LBB15_1621
; %bb.1620:
	global_load_dword v5, v[8:9], off
	s_waitcnt vmcnt(0)
	v_cvt_f16_f32_e32 v10, v5
.LBB15_1621:
	s_mov_b64 s[0:1], 0
.LBB15_1622:
	s_andn2_b64 vcc, exec, s[0:1]
	s_cbranch_vccnz .LBB15_1624
; %bb.1623:
	global_load_dword v10, v[8:9], off
.LBB15_1624:
	s_mov_b64 s[0:1], 0
.LBB15_1625:
	s_andn2_b64 vcc, exec, s[0:1]
	s_cbranch_vccnz .LBB15_1636
; %bb.1626:
	v_mov_b32_e32 v5, 6
	v_cmp_lt_i16_sdwa s[0:1], s18, v5 src0_sel:BYTE_0 src1_sel:DWORD
	s_and_b64 vcc, exec, s[0:1]
	s_cbranch_vccnz .LBB15_1629
; %bb.1627:
	v_cmp_gt_i16_sdwa s[0:1], s18, v5 src0_sel:BYTE_0 src1_sel:DWORD
	s_and_b64 vcc, exec, s[0:1]
	s_cbranch_vccz .LBB15_1630
; %bb.1628:
	global_load_dwordx2 v[10:11], v[8:9], off
	s_mov_b64 s[0:1], 0
	s_waitcnt vmcnt(0)
	v_cvt_f32_f64_e32 v5, v[10:11]
	v_cvt_f16_f32_e32 v10, v5
	s_branch .LBB15_1631
.LBB15_1629:
	s_mov_b64 s[0:1], -1
                                        ; implicit-def: $vgpr10
	s_branch .LBB15_1634
.LBB15_1630:
	s_mov_b64 s[0:1], -1
                                        ; implicit-def: $vgpr10
.LBB15_1631:
	s_andn2_b64 vcc, exec, s[0:1]
	s_cbranch_vccnz .LBB15_1633
; %bb.1632:
	global_load_dword v5, v[8:9], off
	s_waitcnt vmcnt(0)
	v_cvt_f16_f32_e32 v10, v5
.LBB15_1633:
	s_mov_b64 s[0:1], 0
.LBB15_1634:
	s_andn2_b64 vcc, exec, s[0:1]
	s_cbranch_vccnz .LBB15_1636
; %bb.1635:
	global_load_ushort v10, v[8:9], off
.LBB15_1636:
	s_mov_b64 s[0:1], 0
.LBB15_1637:
	s_andn2_b64 vcc, exec, s[0:1]
	s_cbranch_vccnz .LBB15_1657
; %bb.1638:
	v_mov_b32_e32 v5, 2
	v_cmp_lt_i16_sdwa s[0:1], s18, v5 src0_sel:BYTE_0 src1_sel:DWORD
	s_and_b64 vcc, exec, s[0:1]
	s_cbranch_vccnz .LBB15_1642
; %bb.1639:
	v_mov_b32_e32 v5, 3
	v_cmp_lt_i16_sdwa s[0:1], s18, v5 src0_sel:BYTE_0 src1_sel:DWORD
	s_and_b64 vcc, exec, s[0:1]
	s_cbranch_vccnz .LBB15_1643
; %bb.1640:
	v_cmp_gt_i16_sdwa s[0:1], s18, v5 src0_sel:BYTE_0 src1_sel:DWORD
	s_and_b64 vcc, exec, s[0:1]
	s_cbranch_vccz .LBB15_1644
; %bb.1641:
	global_load_dwordx2 v[10:11], v[8:9], off
	s_mov_b64 s[0:1], 0
	s_waitcnt vmcnt(0)
	v_xor_b32_e32 v7, v10, v11
	v_ffbh_i32_e32 v5, v11
	v_ashrrev_i32_e32 v7, 31, v7
	v_add_u32_e32 v5, -1, v5
	v_add_u32_e32 v7, 32, v7
	v_min_u32_e32 v5, v5, v7
	v_lshlrev_b64 v[10:11], v5, v[10:11]
	v_min_u32_e32 v7, 1, v10
	v_or_b32_e32 v7, v11, v7
	v_cvt_f32_i32_e32 v7, v7
	v_sub_u32_e32 v5, 32, v5
	v_ldexp_f32 v5, v7, v5
	v_cvt_f16_f32_e32 v10, v5
	s_branch .LBB15_1645
.LBB15_1642:
	s_mov_b64 s[0:1], -1
                                        ; implicit-def: $vgpr10
	s_branch .LBB15_1651
.LBB15_1643:
	s_mov_b64 s[0:1], -1
                                        ; implicit-def: $vgpr10
	s_branch .LBB15_1648
.LBB15_1644:
	s_mov_b64 s[0:1], -1
                                        ; implicit-def: $vgpr10
.LBB15_1645:
	s_andn2_b64 vcc, exec, s[0:1]
	s_cbranch_vccnz .LBB15_1647
; %bb.1646:
	global_load_dword v5, v[8:9], off
	s_waitcnt vmcnt(0)
	v_cvt_f32_i32_e32 v5, v5
	v_cvt_f16_f32_e32 v10, v5
.LBB15_1647:
	s_mov_b64 s[0:1], 0
.LBB15_1648:
	s_andn2_b64 vcc, exec, s[0:1]
	s_cbranch_vccnz .LBB15_1650
; %bb.1649:
	global_load_ushort v5, v[8:9], off
	s_waitcnt vmcnt(0)
	v_cvt_f16_i16_e32 v10, v5
.LBB15_1650:
	s_mov_b64 s[0:1], 0
.LBB15_1651:
	s_andn2_b64 vcc, exec, s[0:1]
	s_cbranch_vccnz .LBB15_1657
; %bb.1652:
	v_mov_b32_e32 v5, 0
	v_cmp_gt_i16_sdwa s[0:1], s18, v5 src0_sel:BYTE_0 src1_sel:DWORD
	s_and_b64 vcc, exec, s[0:1]
	s_cbranch_vccz .LBB15_1654
; %bb.1653:
	global_load_sbyte v5, v[8:9], off
	s_mov_b64 s[0:1], 0
	s_waitcnt vmcnt(0)
	v_cvt_f16_i16_e32 v10, v5
	s_branch .LBB15_1655
.LBB15_1654:
	s_mov_b64 s[0:1], -1
                                        ; implicit-def: $vgpr10
.LBB15_1655:
	s_andn2_b64 vcc, exec, s[0:1]
	s_cbranch_vccnz .LBB15_1657
; %bb.1656:
	global_load_ubyte v5, v[8:9], off
	s_waitcnt vmcnt(0)
	v_cvt_f16_u16_e32 v10, v5
.LBB15_1657:
	s_mov_b64 s[10:11], -1
.LBB15_1658:
	s_andn2_b64 vcc, exec, s[10:11]
	s_cbranch_vccnz .LBB15_2044
; %bb.1659:
	s_load_dword s0, s[4:5], 0x160
	s_load_dword s1, s[34:35], 0x15c
	v_mov_b32_e32 v5, 0xffff8000
	v_mov_b32_e32 v7, s9
	v_add_co_u32_e32 v6, vcc, s8, v6
	s_waitcnt lgkmcnt(0)
	s_lshr_b32 s0, s0, 16
	s_and_b32 s16, s1, 0xff
	s_waitcnt vmcnt(0)
	v_and_b32_e32 v8, 0x7fff, v1
	v_and_b32_e32 v1, s0, v5
	v_addc_co_u32_e32 v7, vcc, 0, v7, vcc
	v_cmp_lt_i16_e64 s[4:5], s16, 11
	v_or_b32_e32 v5, v8, v1
	s_and_b64 vcc, exec, s[4:5]
	s_cbranch_vccnz .LBB15_1666
; %bb.1660:
	v_cmp_gt_i16_e64 s[0:1], s16, 25
	s_mov_b64 s[12:13], -1
	s_mov_b64 s[6:7], 0
	s_and_b64 vcc, exec, s[0:1]
	s_mov_b64 s[10:11], 0
	s_mov_b64 s[0:1], 0
	s_cbranch_vccz .LBB15_1698
; %bb.1661:
	v_cmp_gt_i16_e64 s[0:1], s16, 28
	s_and_b64 vcc, exec, s[0:1]
	s_cbranch_vccz .LBB15_1667
; %bb.1662:
	v_cmp_gt_i16_e64 s[0:1], s16, 43
	s_and_b64 vcc, exec, s[0:1]
	;; [unrolled: 4-line block ×3, first 2 shown]
	s_cbranch_vccz .LBB15_1670
; %bb.1664:
	v_cmp_eq_u16_e64 s[10:11], s16, 46
	s_mov_b64 s[0:1], -1
	s_mov_b64 s[12:13], 0
	s_and_b64 vcc, exec, s[10:11]
	s_mov_b64 s[10:11], 0
	s_cbranch_vccz .LBB15_1671
; %bb.1665:
	v_cvt_f32_f16_e32 v9, v5
	s_movk_i32 s0, 0x7fff
	v_mov_b32_e32 v11, 0x7fc0
	v_cmp_o_f16_e32 vcc, v5, v5
	v_bfe_u32 v13, v9, 16, 1
	v_add3_u32 v9, v9, v13, s0
	v_lshrrev_b32_e32 v9, 16, v9
	v_cndmask_b32_e32 v9, v11, v9, vcc
	global_store_dword v[6:7], v9, off
	s_mov_b64 s[0:1], 0
	s_mov_b64 s[10:11], -1
	s_branch .LBB15_1671
.LBB15_1666:
	s_mov_b64 s[0:1], -1
	s_mov_b64 s[10:11], 0
	s_branch .LBB15_1742
.LBB15_1667:
	s_mov_b64 s[0:1], 0
	s_branch .LBB15_1681
.LBB15_1668:
	s_mov_b64 s[0:1], 0
	s_branch .LBB15_1677
.LBB15_1669:
	s_trap 2
	s_or_b64 s[2:3], s[2:3], exec
                                        ; implicit-def: $vgpr10
	s_cbranch_execz .LBB15_1607
	s_branch .LBB15_1608
.LBB15_1670:
	s_mov_b64 s[0:1], 0
.LBB15_1671:
	s_and_b64 vcc, exec, s[12:13]
	s_cbranch_vccz .LBB15_1676
; %bb.1672:
	v_cmp_eq_u16_e64 s[12:13], s16, 44
	s_mov_b64 s[0:1], -1
	s_and_b64 vcc, exec, s[12:13]
	s_cbranch_vccz .LBB15_1676
; %bb.1673:
	v_cvt_f32_f16_e32 v9, v5
	s_movk_i32 s0, 0xff
	v_mov_b32_e32 v13, 0xff
	v_bfe_u32 v11, v9, 23, 8
	v_cmp_ne_u32_e32 vcc, s0, v11
	s_and_saveexec_b64 s[10:11], vcc
; %bb.1674:
	s_mov_b32 s0, 0x3fffff
	v_lshrrev_b32_e32 v13, 23, v9
	v_and_b32_e32 v14, 0x400000, v9
	v_and_or_b32 v9, v9, s0, v11
	v_cmp_ne_u32_e32 vcc, 0, v14
	v_cmp_ne_u32_e64 s[0:1], 0, v9
	s_and_b64 s[0:1], vcc, s[0:1]
	v_cndmask_b32_e64 v9, 0, 1, s[0:1]
	v_add_u32_e32 v13, v13, v9
; %bb.1675:
	s_or_b64 exec, exec, s[10:11]
	s_mov_b64 s[0:1], 0
	s_mov_b64 s[10:11], -1
	global_store_byte v[6:7], v13, off
.LBB15_1676:
	s_mov_b64 s[12:13], 0
.LBB15_1677:
	s_and_b64 vcc, exec, s[12:13]
	s_cbranch_vccz .LBB15_1680
; %bb.1678:
	v_cmp_eq_u16_e64 s[12:13], s16, 29
	s_mov_b64 s[0:1], -1
	s_and_b64 vcc, exec, s[12:13]
	s_cbranch_vccz .LBB15_1680
; %bb.1679:
	v_cvt_f32_f16_e32 v9, v5
	v_mov_b32_e32 v15, 0
	s_mov_b64 s[0:1], 0
	s_mov_b64 s[10:11], -1
	v_cvt_u32_f32_e32 v14, v9
	s_mov_b64 s[12:13], 0
	global_store_dwordx2 v[6:7], v[14:15], off
	s_branch .LBB15_1681
.LBB15_1680:
	s_mov_b64 s[12:13], 0
.LBB15_1681:
	s_and_b64 vcc, exec, s[12:13]
	s_cbranch_vccz .LBB15_1697
; %bb.1682:
	v_cmp_lt_i16_e64 s[12:13], s16, 27
	s_mov_b64 s[10:11], -1
	s_and_b64 vcc, exec, s[12:13]
	s_cbranch_vccnz .LBB15_1688
; %bb.1683:
	v_cmp_gt_i16_e64 s[12:13], s16, 27
	s_and_b64 vcc, exec, s[12:13]
	s_cbranch_vccz .LBB15_1685
; %bb.1684:
	v_cvt_f32_f16_e32 v9, v5
	s_mov_b64 s[10:11], 0
	v_cvt_u32_f32_e32 v9, v9
	global_store_dword v[6:7], v9, off
.LBB15_1685:
	s_andn2_b64 vcc, exec, s[10:11]
	s_cbranch_vccnz .LBB15_1687
; %bb.1686:
	v_cvt_u16_f16_e32 v9, v5
	global_store_short v[6:7], v9, off
.LBB15_1687:
	s_mov_b64 s[10:11], 0
.LBB15_1688:
	s_andn2_b64 vcc, exec, s[10:11]
	s_cbranch_vccnz .LBB15_1696
; %bb.1689:
	v_cvt_f32_f16_e32 v9, v5
	s_mov_b32 s10, 0x43800000
	v_mov_b32_e32 v13, 0x80
	v_and_b32_e32 v11, 0x7fffffff, v9
	v_cmp_gt_u32_e32 vcc, s10, v11
	s_and_saveexec_b64 s[10:11], vcc
	s_cbranch_execz .LBB15_1695
; %bb.1690:
	s_mov_b32 s12, 0x3bffffff
	v_cmp_lt_u32_e32 vcc, s12, v11
	s_mov_b64 s[12:13], 0
                                        ; implicit-def: $vgpr11
	s_and_saveexec_b64 s[14:15], vcc
	s_xor_b64 s[14:15], exec, s[14:15]
	s_cbranch_execz .LBB15_1791
; %bb.1691:
	v_bfe_u32 v11, v9, 20, 1
	s_mov_b32 s17, 0x487ffff
	v_add3_u32 v11, v9, v11, s17
	s_mov_b64 s[12:13], exec
	v_lshrrev_b32_e32 v11, 20, v11
	s_or_saveexec_b64 s[14:15], s[14:15]
                                        ; implicit-def: $sgpr17
	s_xor_b64 exec, exec, s[14:15]
	s_cbranch_execnz .LBB15_1792
.LBB15_1692:
	s_or_b64 exec, exec, s[14:15]
	v_mov_b32_e32 v13, s17
	s_and_saveexec_b64 s[14:15], s[12:13]
.LBB15_1693:
	v_lshrrev_b32_e32 v9, 24, v9
	s_movk_i32 s12, 0x80
	v_and_or_b32 v13, v9, s12, v11
.LBB15_1694:
	s_or_b64 exec, exec, s[14:15]
.LBB15_1695:
	s_or_b64 exec, exec, s[10:11]
	global_store_byte v[6:7], v13, off
.LBB15_1696:
	s_mov_b64 s[10:11], -1
.LBB15_1697:
	s_mov_b64 s[12:13], 0
.LBB15_1698:
	s_and_b64 vcc, exec, s[12:13]
	s_cbranch_vccz .LBB15_1738
; %bb.1699:
	v_cmp_gt_i16_e64 s[12:13], s16, 22
	s_mov_b64 s[6:7], -1
	s_and_b64 vcc, exec, s[12:13]
	s_cbranch_vccz .LBB15_1731
; %bb.1700:
	v_cmp_lt_i16_e64 s[10:11], s16, 24
	s_and_b64 vcc, exec, s[10:11]
	s_cbranch_vccnz .LBB15_1720
; %bb.1701:
	v_cmp_gt_i16_e64 s[10:11], s16, 24
	s_and_b64 vcc, exec, s[10:11]
	s_cbranch_vccz .LBB15_1709
; %bb.1702:
	v_cvt_f32_f16_e32 v9, v5
	s_mov_b32 s6, 0x47800000
	v_mov_b32_e32 v13, 0x80
	v_and_b32_e32 v11, 0x7fffffff, v9
	v_cmp_gt_u32_e32 vcc, s6, v11
	s_and_saveexec_b64 s[6:7], vcc
	s_cbranch_execz .LBB15_1708
; %bb.1703:
	s_mov_b32 s10, 0x37ffffff
	v_cmp_lt_u32_e32 vcc, s10, v11
	s_mov_b64 s[10:11], 0
                                        ; implicit-def: $vgpr11
	s_and_saveexec_b64 s[12:13], vcc
	s_xor_b64 s[12:13], exec, s[12:13]
	s_cbranch_execz .LBB15_1795
; %bb.1704:
	v_bfe_u32 v11, v9, 21, 1
	s_mov_b32 s14, 0x88fffff
	v_add3_u32 v11, v9, v11, s14
	s_mov_b64 s[10:11], exec
	v_lshrrev_b32_e32 v11, 21, v11
	s_or_saveexec_b64 s[12:13], s[12:13]
                                        ; implicit-def: $sgpr14
	s_xor_b64 exec, exec, s[12:13]
	s_cbranch_execnz .LBB15_1796
.LBB15_1705:
	s_or_b64 exec, exec, s[12:13]
	v_mov_b32_e32 v13, s14
	s_and_saveexec_b64 s[12:13], s[10:11]
.LBB15_1706:
	v_lshrrev_b32_e32 v9, 24, v9
	s_movk_i32 s10, 0x80
	v_and_or_b32 v13, v9, s10, v11
.LBB15_1707:
	s_or_b64 exec, exec, s[12:13]
.LBB15_1708:
	s_or_b64 exec, exec, s[6:7]
	s_mov_b64 s[6:7], 0
	global_store_byte v[6:7], v13, off
.LBB15_1709:
	s_and_b64 vcc, exec, s[6:7]
	s_cbranch_vccz .LBB15_1719
; %bb.1710:
	v_cvt_f32_f16_e32 v9, v5
	s_mov_b32 s6, 0x43f00000
                                        ; implicit-def: $vgpr11
	v_and_b32_e32 v13, 0x7fffffff, v9
	v_cmp_gt_u32_e32 vcc, s6, v13
	s_and_saveexec_b64 s[6:7], vcc
	s_xor_b64 s[6:7], exec, s[6:7]
	s_cbranch_execz .LBB15_1716
; %bb.1711:
	s_mov_b32 s10, 0x3c7fffff
	v_cmp_lt_u32_e32 vcc, s10, v13
                                        ; implicit-def: $vgpr11
	s_and_saveexec_b64 s[10:11], vcc
	s_xor_b64 s[10:11], exec, s[10:11]
; %bb.1712:
	v_bfe_u32 v11, v9, 20, 1
	s_mov_b32 s12, 0x407ffff
	v_add3_u32 v11, v9, v11, s12
	v_lshrrev_b32_e32 v13, 20, v11
	v_and_b32_e32 v11, 0xff00000, v11
	s_mov_b32 s12, 0x7f00000
	v_mov_b32_e32 v14, 0x7e
	v_cmp_ne_u32_e32 vcc, s12, v11
	v_cndmask_b32_e32 v11, v14, v13, vcc
; %bb.1713:
	s_andn2_saveexec_b64 s[10:11], s[10:11]
; %bb.1714:
	s_mov_b32 s12, 0x46800000
	v_add_f32_e64 v11, |v9|, s12
; %bb.1715:
	s_or_b64 exec, exec, s[10:11]
                                        ; implicit-def: $vgpr13
.LBB15_1716:
	s_andn2_saveexec_b64 s[6:7], s[6:7]
; %bb.1717:
	s_mov_b32 s10, 0x7f800000
	v_mov_b32_e32 v11, 0x7e
	v_mov_b32_e32 v14, 0x7f
	v_cmp_lt_u32_e32 vcc, s10, v13
	v_cndmask_b32_e32 v11, v11, v14, vcc
; %bb.1718:
	s_or_b64 exec, exec, s[6:7]
	v_lshrrev_b32_e32 v9, 24, v9
	s_movk_i32 s6, 0x80
	v_and_or_b32 v9, v9, s6, v11
	global_store_byte v[6:7], v9, off
.LBB15_1719:
	s_mov_b64 s[6:7], 0
.LBB15_1720:
	s_andn2_b64 vcc, exec, s[6:7]
	s_cbranch_vccnz .LBB15_1730
; %bb.1721:
	v_cvt_f32_f16_e32 v9, v5
	s_mov_b32 s6, 0x47800000
                                        ; implicit-def: $vgpr11
	v_and_b32_e32 v13, 0x7fffffff, v9
	v_cmp_gt_u32_e32 vcc, s6, v13
	s_and_saveexec_b64 s[6:7], vcc
	s_xor_b64 s[6:7], exec, s[6:7]
	s_cbranch_execz .LBB15_1727
; %bb.1722:
	s_mov_b32 s10, 0x387fffff
	v_cmp_lt_u32_e32 vcc, s10, v13
                                        ; implicit-def: $vgpr11
	s_and_saveexec_b64 s[10:11], vcc
	s_xor_b64 s[10:11], exec, s[10:11]
; %bb.1723:
	v_bfe_u32 v11, v9, 21, 1
	s_mov_b32 s12, 0x80fffff
	v_add3_u32 v11, v9, v11, s12
	v_lshrrev_b32_e32 v11, 21, v11
; %bb.1724:
	s_andn2_saveexec_b64 s[10:11], s[10:11]
; %bb.1725:
	s_mov_b32 s12, 0x43000000
	v_add_f32_e64 v11, |v9|, s12
; %bb.1726:
	s_or_b64 exec, exec, s[10:11]
                                        ; implicit-def: $vgpr13
.LBB15_1727:
	s_andn2_saveexec_b64 s[6:7], s[6:7]
; %bb.1728:
	s_mov_b32 s10, 0x7f800000
	v_mov_b32_e32 v11, 0x7c
	v_mov_b32_e32 v14, 0x7f
	v_cmp_lt_u32_e32 vcc, s10, v13
	v_cndmask_b32_e32 v11, v11, v14, vcc
; %bb.1729:
	s_or_b64 exec, exec, s[6:7]
	v_lshrrev_b32_e32 v9, 24, v9
	s_movk_i32 s6, 0x80
	v_and_or_b32 v9, v9, s6, v11
	global_store_byte v[6:7], v9, off
.LBB15_1730:
	s_mov_b64 s[6:7], 0
	s_mov_b64 s[10:11], -1
.LBB15_1731:
	s_andn2_b64 vcc, exec, s[6:7]
	s_mov_b64 s[6:7], 0
	s_cbranch_vccnz .LBB15_1738
; %bb.1732:
	v_cmp_gt_i16_e64 s[6:7], s16, 14
	s_mov_b64 s[12:13], -1
	s_and_b64 vcc, exec, s[6:7]
	s_cbranch_vccz .LBB15_1736
; %bb.1733:
	v_cmp_eq_u16_e64 s[6:7], s16, 15
	s_mov_b64 s[0:1], -1
	s_and_b64 vcc, exec, s[6:7]
	s_cbranch_vccz .LBB15_1735
; %bb.1734:
	v_cvt_f32_f16_e32 v9, v5
	s_movk_i32 s0, 0x7fff
	v_mov_b32_e32 v11, 0x7fc0
	v_cmp_o_f16_e32 vcc, v5, v5
	v_bfe_u32 v13, v9, 16, 1
	v_add3_u32 v9, v9, v13, s0
	v_lshrrev_b32_e32 v9, 16, v9
	v_cndmask_b32_e32 v9, v11, v9, vcc
	global_store_short v[6:7], v9, off
	s_mov_b64 s[0:1], 0
	s_mov_b64 s[10:11], -1
.LBB15_1735:
	s_mov_b64 s[12:13], 0
.LBB15_1736:
	s_mov_b64 s[6:7], 0
	s_and_b64 vcc, exec, s[12:13]
	s_cbranch_vccz .LBB15_1738
; %bb.1737:
	v_cmp_ne_u16_e64 s[0:1], s16, 11
	s_mov_b64 s[6:7], -1
.LBB15_1738:
	s_and_b64 vcc, exec, s[0:1]
	s_cbranch_vccnz .LBB15_1794
; %bb.1739:
	s_andn2_b64 vcc, exec, s[6:7]
	s_cbranch_vccnz .LBB15_1741
.LBB15_1740:
	v_cmp_ne_u16_e32 vcc, 0, v8
	v_cndmask_b32_e64 v8, 0, 1, vcc
	s_mov_b64 s[10:11], -1
	global_store_byte v[6:7], v8, off
.LBB15_1741:
	s_mov_b64 s[0:1], 0
.LBB15_1742:
	s_and_b64 vcc, exec, s[0:1]
	s_cbranch_vccz .LBB15_1781
; %bb.1743:
	v_cmp_lt_i16_e64 s[6:7], s16, 5
	s_mov_b64 s[0:1], -1
	s_and_b64 vcc, exec, s[6:7]
	s_cbranch_vccnz .LBB15_1764
; %bb.1744:
	v_cmp_lt_i16_e64 s[6:7], s16, 8
	s_and_b64 vcc, exec, s[6:7]
	s_cbranch_vccnz .LBB15_1754
; %bb.1745:
	v_cmp_lt_i16_e64 s[6:7], s16, 9
	s_and_b64 vcc, exec, s[6:7]
	s_cbranch_vccnz .LBB15_1751
; %bb.1746:
	v_cmp_gt_i16_e64 s[6:7], s16, 9
	s_and_b64 vcc, exec, s[6:7]
	s_cbranch_vccz .LBB15_1748
; %bb.1747:
	v_cvt_f32_f16_e32 v8, v5
	v_mov_b32_e32 v16, 0
	v_mov_b32_e32 v17, v16
	s_mov_b64 s[0:1], 0
	v_cvt_f64_f32_e32 v[14:15], v8
	global_store_dwordx4 v[6:7], v[14:17], off
.LBB15_1748:
	s_andn2_b64 vcc, exec, s[0:1]
	s_cbranch_vccnz .LBB15_1750
; %bb.1749:
	v_cvt_f32_f16_e32 v8, v5
	v_mov_b32_e32 v9, 0
	global_store_dwordx2 v[6:7], v[8:9], off
.LBB15_1750:
	s_mov_b64 s[0:1], 0
.LBB15_1751:
	s_andn2_b64 vcc, exec, s[0:1]
	s_cbranch_vccnz .LBB15_1753
; %bb.1752:
	v_and_b32_e32 v8, 0xffff, v5
	global_store_dword v[6:7], v8, off
.LBB15_1753:
	s_mov_b64 s[0:1], 0
.LBB15_1754:
	s_andn2_b64 vcc, exec, s[0:1]
	s_cbranch_vccnz .LBB15_1763
; %bb.1755:
	v_cmp_lt_i16_e64 s[6:7], s16, 6
	s_mov_b64 s[0:1], -1
	s_and_b64 vcc, exec, s[6:7]
	s_cbranch_vccnz .LBB15_1761
; %bb.1756:
	v_cmp_gt_i16_e64 s[6:7], s16, 6
	s_and_b64 vcc, exec, s[6:7]
	s_cbranch_vccz .LBB15_1758
; %bb.1757:
	v_cvt_f32_f16_e32 v8, v5
	s_mov_b64 s[0:1], 0
	v_cvt_f64_f32_e32 v[8:9], v8
	global_store_dwordx2 v[6:7], v[8:9], off
.LBB15_1758:
	s_andn2_b64 vcc, exec, s[0:1]
	s_cbranch_vccnz .LBB15_1760
; %bb.1759:
	v_cvt_f32_f16_e32 v8, v5
	global_store_dword v[6:7], v8, off
.LBB15_1760:
	s_mov_b64 s[0:1], 0
.LBB15_1761:
	s_andn2_b64 vcc, exec, s[0:1]
	s_cbranch_vccnz .LBB15_1763
; %bb.1762:
	global_store_short v[6:7], v5, off
.LBB15_1763:
	s_mov_b64 s[0:1], 0
.LBB15_1764:
	s_andn2_b64 vcc, exec, s[0:1]
	s_cbranch_vccnz .LBB15_1780
; %bb.1765:
	v_cmp_lt_i16_e64 s[6:7], s16, 2
	s_mov_b64 s[0:1], -1
	s_and_b64 vcc, exec, s[6:7]
	s_cbranch_vccnz .LBB15_1775
; %bb.1766:
	v_cmp_lt_i16_e64 s[6:7], s16, 3
	s_and_b64 vcc, exec, s[6:7]
	s_cbranch_vccnz .LBB15_1772
; %bb.1767:
	v_cmp_gt_i16_e64 s[6:7], s16, 3
	s_and_b64 vcc, exec, s[6:7]
	s_cbranch_vccz .LBB15_1769
; %bb.1768:
	v_cvt_f32_f16_e32 v8, v5
	s_mov_b64 s[0:1], 0
	v_cvt_i32_f32_e32 v8, v8
	v_ashrrev_i32_e32 v9, 31, v8
	global_store_dwordx2 v[6:7], v[8:9], off
.LBB15_1769:
	s_andn2_b64 vcc, exec, s[0:1]
	s_cbranch_vccnz .LBB15_1771
; %bb.1770:
	v_cvt_f32_f16_e32 v8, v5
	v_cvt_i32_f32_e32 v8, v8
	global_store_dword v[6:7], v8, off
.LBB15_1771:
	s_mov_b64 s[0:1], 0
.LBB15_1772:
	s_andn2_b64 vcc, exec, s[0:1]
	s_cbranch_vccnz .LBB15_1774
; %bb.1773:
	v_cvt_i16_f16_e32 v8, v5
	global_store_short v[6:7], v8, off
.LBB15_1774:
	s_mov_b64 s[0:1], 0
.LBB15_1775:
	s_andn2_b64 vcc, exec, s[0:1]
	s_cbranch_vccnz .LBB15_1780
; %bb.1776:
	v_cmp_gt_i16_e64 s[6:7], s16, 0
	s_mov_b64 s[0:1], -1
	s_and_b64 vcc, exec, s[6:7]
	s_cbranch_vccz .LBB15_1778
; %bb.1777:
	v_cvt_i16_f16_e32 v8, v5
	global_store_byte v[6:7], v8, off
	s_mov_b64 s[0:1], 0
.LBB15_1778:
	s_andn2_b64 vcc, exec, s[0:1]
	s_cbranch_vccnz .LBB15_1780
; %bb.1779:
	v_cvt_f32_f16_e32 v5, v5
	v_cvt_i32_f32_e32 v5, v5
	global_store_byte v[6:7], v5, off
.LBB15_1780:
	s_mov_b64 s[10:11], -1
.LBB15_1781:
	s_andn2_b64 vcc, exec, s[10:11]
	s_cbranch_vccnz .LBB15_2044
; %bb.1782:
	v_mov_b32_e32 v5, s9
	v_add_co_u32_e32 v4, vcc, s8, v4
	v_and_b32_e32 v6, 0x7fff, v3
	v_addc_co_u32_e32 v5, vcc, 0, v5, vcc
	v_or_b32_e32 v3, v6, v1
	s_and_b64 vcc, exec, s[4:5]
	s_cbranch_vccnz .LBB15_1789
; %bb.1783:
	v_cmp_gt_i16_e64 s[0:1], s16, 25
	s_mov_b64 s[12:13], -1
	s_mov_b64 s[6:7], 0
	s_and_b64 vcc, exec, s[0:1]
	s_mov_b64 s[10:11], 0
	s_mov_b64 s[0:1], 0
	s_cbranch_vccz .LBB15_1825
; %bb.1784:
	v_cmp_gt_i16_e64 s[0:1], s16, 28
	s_and_b64 vcc, exec, s[0:1]
	s_cbranch_vccz .LBB15_1790
; %bb.1785:
	v_cmp_gt_i16_e64 s[0:1], s16, 43
	s_and_b64 vcc, exec, s[0:1]
	;; [unrolled: 4-line block ×3, first 2 shown]
	s_cbranch_vccz .LBB15_1797
; %bb.1787:
	v_cmp_eq_u16_e64 s[10:11], s16, 46
	s_mov_b64 s[0:1], -1
	s_mov_b64 s[12:13], 0
	s_and_b64 vcc, exec, s[10:11]
	s_mov_b64 s[10:11], 0
	s_cbranch_vccz .LBB15_1798
; %bb.1788:
	v_cvt_f32_f16_e32 v7, v3
	s_movk_i32 s0, 0x7fff
	v_mov_b32_e32 v8, 0x7fc0
	v_cmp_o_f16_e32 vcc, v3, v3
	v_bfe_u32 v9, v7, 16, 1
	v_add3_u32 v7, v7, v9, s0
	v_lshrrev_b32_e32 v7, 16, v7
	v_cndmask_b32_e32 v7, v8, v7, vcc
	global_store_dword v[4:5], v7, off
	s_mov_b64 s[0:1], 0
	s_mov_b64 s[10:11], -1
	s_branch .LBB15_1798
.LBB15_1789:
	s_mov_b64 s[0:1], -1
	s_mov_b64 s[10:11], 0
	s_branch .LBB15_1869
.LBB15_1790:
	s_mov_b64 s[0:1], 0
	s_branch .LBB15_1808
.LBB15_1791:
	s_or_saveexec_b64 s[14:15], s[14:15]
                                        ; implicit-def: $sgpr17
	s_xor_b64 exec, exec, s[14:15]
	s_cbranch_execz .LBB15_1692
.LBB15_1792:
	s_mov_b32 s17, 0x46000000
	v_add_f32_e64 v11, |v9|, s17
	v_and_b32_e32 v11, 0xff, v11
	v_cmp_ne_u32_e32 vcc, 0, v11
	s_andn2_b64 s[12:13], s[12:13], exec
	s_and_b64 s[18:19], vcc, exec
	s_mov_b32 s17, 0
	s_or_b64 s[12:13], s[12:13], s[18:19]
	s_or_b64 exec, exec, s[14:15]
	v_mov_b32_e32 v13, s17
	s_and_saveexec_b64 s[14:15], s[12:13]
	s_cbranch_execnz .LBB15_1693
	s_branch .LBB15_1694
.LBB15_1793:
	s_mov_b64 s[0:1], 0
	s_branch .LBB15_1804
.LBB15_1794:
	s_trap 2
	s_or_b64 s[2:3], s[2:3], exec
	s_cbranch_execz .LBB15_1740
	s_branch .LBB15_1741
.LBB15_1795:
	s_or_saveexec_b64 s[12:13], s[12:13]
                                        ; implicit-def: $sgpr14
	s_xor_b64 exec, exec, s[12:13]
	s_cbranch_execz .LBB15_1705
.LBB15_1796:
	s_mov_b32 s14, 0x42800000
	v_add_f32_e64 v11, |v9|, s14
	v_and_b32_e32 v11, 0xff, v11
	v_cmp_ne_u32_e32 vcc, 0, v11
	s_andn2_b64 s[10:11], s[10:11], exec
	s_and_b64 s[18:19], vcc, exec
	s_mov_b32 s14, 0
	s_or_b64 s[10:11], s[10:11], s[18:19]
	s_or_b64 exec, exec, s[12:13]
	v_mov_b32_e32 v13, s14
	s_and_saveexec_b64 s[12:13], s[10:11]
	s_cbranch_execnz .LBB15_1706
	s_branch .LBB15_1707
.LBB15_1797:
	s_mov_b64 s[0:1], 0
.LBB15_1798:
	s_and_b64 vcc, exec, s[12:13]
	s_cbranch_vccz .LBB15_1803
; %bb.1799:
	v_cmp_eq_u16_e64 s[12:13], s16, 44
	s_mov_b64 s[0:1], -1
	s_and_b64 vcc, exec, s[12:13]
	s_cbranch_vccz .LBB15_1803
; %bb.1800:
	v_cvt_f32_f16_e32 v7, v3
	s_movk_i32 s0, 0xff
	v_mov_b32_e32 v9, 0xff
	v_bfe_u32 v8, v7, 23, 8
	v_cmp_ne_u32_e32 vcc, s0, v8
	s_and_saveexec_b64 s[10:11], vcc
; %bb.1801:
	s_mov_b32 s0, 0x3fffff
	v_lshrrev_b32_e32 v9, 23, v7
	v_and_b32_e32 v11, 0x400000, v7
	v_and_or_b32 v7, v7, s0, v8
	v_cmp_ne_u32_e32 vcc, 0, v11
	v_cmp_ne_u32_e64 s[0:1], 0, v7
	s_and_b64 s[0:1], vcc, s[0:1]
	v_cndmask_b32_e64 v7, 0, 1, s[0:1]
	v_add_u32_e32 v9, v9, v7
; %bb.1802:
	s_or_b64 exec, exec, s[10:11]
	s_mov_b64 s[0:1], 0
	s_mov_b64 s[10:11], -1
	global_store_byte v[4:5], v9, off
.LBB15_1803:
	s_mov_b64 s[12:13], 0
.LBB15_1804:
	s_and_b64 vcc, exec, s[12:13]
	s_cbranch_vccz .LBB15_1807
; %bb.1805:
	v_cmp_eq_u16_e64 s[12:13], s16, 29
	s_mov_b64 s[0:1], -1
	s_and_b64 vcc, exec, s[12:13]
	s_cbranch_vccz .LBB15_1807
; %bb.1806:
	v_cvt_f32_f16_e32 v7, v3
	v_mov_b32_e32 v9, 0
	s_mov_b64 s[0:1], 0
	s_mov_b64 s[10:11], -1
	v_cvt_u32_f32_e32 v8, v7
	s_mov_b64 s[12:13], 0
	global_store_dwordx2 v[4:5], v[8:9], off
	s_branch .LBB15_1808
.LBB15_1807:
	s_mov_b64 s[12:13], 0
.LBB15_1808:
	s_and_b64 vcc, exec, s[12:13]
	s_cbranch_vccz .LBB15_1824
; %bb.1809:
	v_cmp_lt_i16_e64 s[12:13], s16, 27
	s_mov_b64 s[10:11], -1
	s_and_b64 vcc, exec, s[12:13]
	s_cbranch_vccnz .LBB15_1815
; %bb.1810:
	v_cmp_gt_i16_e64 s[12:13], s16, 27
	s_and_b64 vcc, exec, s[12:13]
	s_cbranch_vccz .LBB15_1812
; %bb.1811:
	v_cvt_f32_f16_e32 v7, v3
	s_mov_b64 s[10:11], 0
	v_cvt_u32_f32_e32 v7, v7
	global_store_dword v[4:5], v7, off
.LBB15_1812:
	s_andn2_b64 vcc, exec, s[10:11]
	s_cbranch_vccnz .LBB15_1814
; %bb.1813:
	v_cvt_u16_f16_e32 v7, v3
	global_store_short v[4:5], v7, off
.LBB15_1814:
	s_mov_b64 s[10:11], 0
.LBB15_1815:
	s_andn2_b64 vcc, exec, s[10:11]
	s_cbranch_vccnz .LBB15_1823
; %bb.1816:
	v_cvt_f32_f16_e32 v7, v3
	s_mov_b32 s10, 0x43800000
	v_mov_b32_e32 v9, 0x80
	v_and_b32_e32 v8, 0x7fffffff, v7
	v_cmp_gt_u32_e32 vcc, s10, v8
	s_and_saveexec_b64 s[10:11], vcc
	s_cbranch_execz .LBB15_1822
; %bb.1817:
	s_mov_b32 s12, 0x3bffffff
	v_cmp_lt_u32_e32 vcc, s12, v8
	s_mov_b64 s[12:13], 0
                                        ; implicit-def: $vgpr8
	s_and_saveexec_b64 s[14:15], vcc
	s_xor_b64 s[14:15], exec, s[14:15]
	s_cbranch_execz .LBB15_1918
; %bb.1818:
	v_bfe_u32 v8, v7, 20, 1
	s_mov_b32 s17, 0x487ffff
	v_add3_u32 v8, v7, v8, s17
	s_mov_b64 s[12:13], exec
	v_lshrrev_b32_e32 v8, 20, v8
	s_or_saveexec_b64 s[14:15], s[14:15]
                                        ; implicit-def: $sgpr17
	s_xor_b64 exec, exec, s[14:15]
	s_cbranch_execnz .LBB15_1919
.LBB15_1819:
	s_or_b64 exec, exec, s[14:15]
	v_mov_b32_e32 v9, s17
	s_and_saveexec_b64 s[14:15], s[12:13]
.LBB15_1820:
	v_lshrrev_b32_e32 v7, 24, v7
	s_movk_i32 s12, 0x80
	v_and_or_b32 v9, v7, s12, v8
.LBB15_1821:
	s_or_b64 exec, exec, s[14:15]
.LBB15_1822:
	s_or_b64 exec, exec, s[10:11]
	global_store_byte v[4:5], v9, off
.LBB15_1823:
	s_mov_b64 s[10:11], -1
.LBB15_1824:
	s_mov_b64 s[12:13], 0
.LBB15_1825:
	s_and_b64 vcc, exec, s[12:13]
	s_cbranch_vccz .LBB15_1865
; %bb.1826:
	v_cmp_gt_i16_e64 s[12:13], s16, 22
	s_mov_b64 s[6:7], -1
	s_and_b64 vcc, exec, s[12:13]
	s_cbranch_vccz .LBB15_1858
; %bb.1827:
	v_cmp_lt_i16_e64 s[10:11], s16, 24
	s_and_b64 vcc, exec, s[10:11]
	s_cbranch_vccnz .LBB15_1847
; %bb.1828:
	v_cmp_gt_i16_e64 s[10:11], s16, 24
	s_and_b64 vcc, exec, s[10:11]
	s_cbranch_vccz .LBB15_1836
; %bb.1829:
	v_cvt_f32_f16_e32 v7, v3
	s_mov_b32 s6, 0x47800000
	v_mov_b32_e32 v9, 0x80
	v_and_b32_e32 v8, 0x7fffffff, v7
	v_cmp_gt_u32_e32 vcc, s6, v8
	s_and_saveexec_b64 s[6:7], vcc
	s_cbranch_execz .LBB15_1835
; %bb.1830:
	s_mov_b32 s10, 0x37ffffff
	v_cmp_lt_u32_e32 vcc, s10, v8
	s_mov_b64 s[10:11], 0
                                        ; implicit-def: $vgpr8
	s_and_saveexec_b64 s[12:13], vcc
	s_xor_b64 s[12:13], exec, s[12:13]
	s_cbranch_execz .LBB15_1922
; %bb.1831:
	v_bfe_u32 v8, v7, 21, 1
	s_mov_b32 s14, 0x88fffff
	v_add3_u32 v8, v7, v8, s14
	s_mov_b64 s[10:11], exec
	v_lshrrev_b32_e32 v8, 21, v8
	s_or_saveexec_b64 s[12:13], s[12:13]
                                        ; implicit-def: $sgpr14
	s_xor_b64 exec, exec, s[12:13]
	s_cbranch_execnz .LBB15_1923
.LBB15_1832:
	s_or_b64 exec, exec, s[12:13]
	v_mov_b32_e32 v9, s14
	s_and_saveexec_b64 s[12:13], s[10:11]
.LBB15_1833:
	v_lshrrev_b32_e32 v7, 24, v7
	s_movk_i32 s10, 0x80
	v_and_or_b32 v9, v7, s10, v8
.LBB15_1834:
	s_or_b64 exec, exec, s[12:13]
.LBB15_1835:
	s_or_b64 exec, exec, s[6:7]
	s_mov_b64 s[6:7], 0
	global_store_byte v[4:5], v9, off
.LBB15_1836:
	s_and_b64 vcc, exec, s[6:7]
	s_cbranch_vccz .LBB15_1846
; %bb.1837:
	v_cvt_f32_f16_e32 v7, v3
	s_mov_b32 s6, 0x43f00000
                                        ; implicit-def: $vgpr8
	v_and_b32_e32 v9, 0x7fffffff, v7
	v_cmp_gt_u32_e32 vcc, s6, v9
	s_and_saveexec_b64 s[6:7], vcc
	s_xor_b64 s[6:7], exec, s[6:7]
	s_cbranch_execz .LBB15_1843
; %bb.1838:
	s_mov_b32 s10, 0x3c7fffff
	v_cmp_lt_u32_e32 vcc, s10, v9
                                        ; implicit-def: $vgpr8
	s_and_saveexec_b64 s[10:11], vcc
	s_xor_b64 s[10:11], exec, s[10:11]
; %bb.1839:
	v_bfe_u32 v8, v7, 20, 1
	s_mov_b32 s12, 0x407ffff
	v_add3_u32 v8, v7, v8, s12
	v_lshrrev_b32_e32 v9, 20, v8
	v_and_b32_e32 v8, 0xff00000, v8
	s_mov_b32 s12, 0x7f00000
	v_mov_b32_e32 v11, 0x7e
	v_cmp_ne_u32_e32 vcc, s12, v8
	v_cndmask_b32_e32 v8, v11, v9, vcc
; %bb.1840:
	s_andn2_saveexec_b64 s[10:11], s[10:11]
; %bb.1841:
	s_mov_b32 s12, 0x46800000
	v_add_f32_e64 v8, |v7|, s12
; %bb.1842:
	s_or_b64 exec, exec, s[10:11]
                                        ; implicit-def: $vgpr9
.LBB15_1843:
	s_andn2_saveexec_b64 s[6:7], s[6:7]
; %bb.1844:
	s_mov_b32 s10, 0x7f800000
	v_mov_b32_e32 v8, 0x7e
	v_mov_b32_e32 v11, 0x7f
	v_cmp_lt_u32_e32 vcc, s10, v9
	v_cndmask_b32_e32 v8, v8, v11, vcc
; %bb.1845:
	s_or_b64 exec, exec, s[6:7]
	v_lshrrev_b32_e32 v7, 24, v7
	s_movk_i32 s6, 0x80
	v_and_or_b32 v7, v7, s6, v8
	global_store_byte v[4:5], v7, off
.LBB15_1846:
	s_mov_b64 s[6:7], 0
.LBB15_1847:
	s_andn2_b64 vcc, exec, s[6:7]
	s_cbranch_vccnz .LBB15_1857
; %bb.1848:
	v_cvt_f32_f16_e32 v7, v3
	s_mov_b32 s6, 0x47800000
                                        ; implicit-def: $vgpr8
	v_and_b32_e32 v9, 0x7fffffff, v7
	v_cmp_gt_u32_e32 vcc, s6, v9
	s_and_saveexec_b64 s[6:7], vcc
	s_xor_b64 s[6:7], exec, s[6:7]
	s_cbranch_execz .LBB15_1854
; %bb.1849:
	s_mov_b32 s10, 0x387fffff
	v_cmp_lt_u32_e32 vcc, s10, v9
                                        ; implicit-def: $vgpr8
	s_and_saveexec_b64 s[10:11], vcc
	s_xor_b64 s[10:11], exec, s[10:11]
; %bb.1850:
	v_bfe_u32 v8, v7, 21, 1
	s_mov_b32 s12, 0x80fffff
	v_add3_u32 v8, v7, v8, s12
	v_lshrrev_b32_e32 v8, 21, v8
; %bb.1851:
	s_andn2_saveexec_b64 s[10:11], s[10:11]
; %bb.1852:
	s_mov_b32 s12, 0x43000000
	v_add_f32_e64 v8, |v7|, s12
; %bb.1853:
	s_or_b64 exec, exec, s[10:11]
                                        ; implicit-def: $vgpr9
.LBB15_1854:
	s_andn2_saveexec_b64 s[6:7], s[6:7]
; %bb.1855:
	s_mov_b32 s10, 0x7f800000
	v_mov_b32_e32 v8, 0x7c
	v_mov_b32_e32 v11, 0x7f
	v_cmp_lt_u32_e32 vcc, s10, v9
	v_cndmask_b32_e32 v8, v8, v11, vcc
; %bb.1856:
	s_or_b64 exec, exec, s[6:7]
	v_lshrrev_b32_e32 v7, 24, v7
	s_movk_i32 s6, 0x80
	v_and_or_b32 v7, v7, s6, v8
	global_store_byte v[4:5], v7, off
.LBB15_1857:
	s_mov_b64 s[6:7], 0
	s_mov_b64 s[10:11], -1
.LBB15_1858:
	s_andn2_b64 vcc, exec, s[6:7]
	s_mov_b64 s[6:7], 0
	s_cbranch_vccnz .LBB15_1865
; %bb.1859:
	v_cmp_gt_i16_e64 s[6:7], s16, 14
	s_mov_b64 s[12:13], -1
	s_and_b64 vcc, exec, s[6:7]
	s_cbranch_vccz .LBB15_1863
; %bb.1860:
	v_cmp_eq_u16_e64 s[6:7], s16, 15
	s_mov_b64 s[0:1], -1
	s_and_b64 vcc, exec, s[6:7]
	s_cbranch_vccz .LBB15_1862
; %bb.1861:
	v_cvt_f32_f16_e32 v7, v3
	s_movk_i32 s0, 0x7fff
	v_mov_b32_e32 v8, 0x7fc0
	v_cmp_o_f16_e32 vcc, v3, v3
	v_bfe_u32 v9, v7, 16, 1
	v_add3_u32 v7, v7, v9, s0
	v_lshrrev_b32_e32 v7, 16, v7
	v_cndmask_b32_e32 v7, v8, v7, vcc
	global_store_short v[4:5], v7, off
	s_mov_b64 s[0:1], 0
	s_mov_b64 s[10:11], -1
.LBB15_1862:
	s_mov_b64 s[12:13], 0
.LBB15_1863:
	s_mov_b64 s[6:7], 0
	s_and_b64 vcc, exec, s[12:13]
	s_cbranch_vccz .LBB15_1865
; %bb.1864:
	v_cmp_ne_u16_e64 s[0:1], s16, 11
	s_mov_b64 s[6:7], -1
.LBB15_1865:
	s_and_b64 vcc, exec, s[0:1]
	s_cbranch_vccnz .LBB15_1921
; %bb.1866:
	s_andn2_b64 vcc, exec, s[6:7]
	s_cbranch_vccnz .LBB15_1868
.LBB15_1867:
	v_cmp_ne_u16_e32 vcc, 0, v6
	v_cndmask_b32_e64 v6, 0, 1, vcc
	s_mov_b64 s[10:11], -1
	global_store_byte v[4:5], v6, off
.LBB15_1868:
	s_mov_b64 s[0:1], 0
.LBB15_1869:
	s_and_b64 vcc, exec, s[0:1]
	s_cbranch_vccz .LBB15_1908
; %bb.1870:
	v_cmp_lt_i16_e64 s[6:7], s16, 5
	s_mov_b64 s[0:1], -1
	s_and_b64 vcc, exec, s[6:7]
	s_cbranch_vccnz .LBB15_1891
; %bb.1871:
	v_cmp_lt_i16_e64 s[6:7], s16, 8
	s_and_b64 vcc, exec, s[6:7]
	s_cbranch_vccnz .LBB15_1881
; %bb.1872:
	v_cmp_lt_i16_e64 s[6:7], s16, 9
	s_and_b64 vcc, exec, s[6:7]
	s_cbranch_vccnz .LBB15_1878
; %bb.1873:
	v_cmp_gt_i16_e64 s[6:7], s16, 9
	s_and_b64 vcc, exec, s[6:7]
	s_cbranch_vccz .LBB15_1875
; %bb.1874:
	v_cvt_f32_f16_e32 v6, v3
	v_mov_b32_e32 v8, 0
	v_mov_b32_e32 v9, v8
	s_mov_b64 s[0:1], 0
	v_cvt_f64_f32_e32 v[6:7], v6
	global_store_dwordx4 v[4:5], v[6:9], off
.LBB15_1875:
	s_andn2_b64 vcc, exec, s[0:1]
	s_cbranch_vccnz .LBB15_1877
; %bb.1876:
	v_cvt_f32_f16_e32 v6, v3
	v_mov_b32_e32 v7, 0
	global_store_dwordx2 v[4:5], v[6:7], off
.LBB15_1877:
	s_mov_b64 s[0:1], 0
.LBB15_1878:
	s_andn2_b64 vcc, exec, s[0:1]
	s_cbranch_vccnz .LBB15_1880
; %bb.1879:
	v_and_b32_e32 v6, 0xffff, v3
	global_store_dword v[4:5], v6, off
.LBB15_1880:
	s_mov_b64 s[0:1], 0
.LBB15_1881:
	s_andn2_b64 vcc, exec, s[0:1]
	s_cbranch_vccnz .LBB15_1890
; %bb.1882:
	v_cmp_lt_i16_e64 s[6:7], s16, 6
	s_mov_b64 s[0:1], -1
	s_and_b64 vcc, exec, s[6:7]
	s_cbranch_vccnz .LBB15_1888
; %bb.1883:
	v_cmp_gt_i16_e64 s[6:7], s16, 6
	s_and_b64 vcc, exec, s[6:7]
	s_cbranch_vccz .LBB15_1885
; %bb.1884:
	v_cvt_f32_f16_e32 v6, v3
	s_mov_b64 s[0:1], 0
	v_cvt_f64_f32_e32 v[6:7], v6
	global_store_dwordx2 v[4:5], v[6:7], off
.LBB15_1885:
	s_andn2_b64 vcc, exec, s[0:1]
	s_cbranch_vccnz .LBB15_1887
; %bb.1886:
	v_cvt_f32_f16_e32 v6, v3
	global_store_dword v[4:5], v6, off
.LBB15_1887:
	s_mov_b64 s[0:1], 0
.LBB15_1888:
	s_andn2_b64 vcc, exec, s[0:1]
	s_cbranch_vccnz .LBB15_1890
; %bb.1889:
	global_store_short v[4:5], v3, off
.LBB15_1890:
	s_mov_b64 s[0:1], 0
.LBB15_1891:
	s_andn2_b64 vcc, exec, s[0:1]
	s_cbranch_vccnz .LBB15_1907
; %bb.1892:
	v_cmp_lt_i16_e64 s[6:7], s16, 2
	s_mov_b64 s[0:1], -1
	s_and_b64 vcc, exec, s[6:7]
	s_cbranch_vccnz .LBB15_1902
; %bb.1893:
	v_cmp_lt_i16_e64 s[6:7], s16, 3
	s_and_b64 vcc, exec, s[6:7]
	s_cbranch_vccnz .LBB15_1899
; %bb.1894:
	v_cmp_gt_i16_e64 s[6:7], s16, 3
	s_and_b64 vcc, exec, s[6:7]
	s_cbranch_vccz .LBB15_1896
; %bb.1895:
	v_cvt_f32_f16_e32 v6, v3
	s_mov_b64 s[0:1], 0
	v_cvt_i32_f32_e32 v6, v6
	v_ashrrev_i32_e32 v7, 31, v6
	global_store_dwordx2 v[4:5], v[6:7], off
.LBB15_1896:
	s_andn2_b64 vcc, exec, s[0:1]
	s_cbranch_vccnz .LBB15_1898
; %bb.1897:
	v_cvt_f32_f16_e32 v6, v3
	v_cvt_i32_f32_e32 v6, v6
	global_store_dword v[4:5], v6, off
.LBB15_1898:
	s_mov_b64 s[0:1], 0
.LBB15_1899:
	s_andn2_b64 vcc, exec, s[0:1]
	s_cbranch_vccnz .LBB15_1901
; %bb.1900:
	v_cvt_i16_f16_e32 v6, v3
	global_store_short v[4:5], v6, off
.LBB15_1901:
	s_mov_b64 s[0:1], 0
.LBB15_1902:
	s_andn2_b64 vcc, exec, s[0:1]
	s_cbranch_vccnz .LBB15_1907
; %bb.1903:
	v_cmp_gt_i16_e64 s[6:7], s16, 0
	s_mov_b64 s[0:1], -1
	s_and_b64 vcc, exec, s[6:7]
	s_cbranch_vccz .LBB15_1905
; %bb.1904:
	v_cvt_i16_f16_e32 v6, v3
	global_store_byte v[4:5], v6, off
	s_mov_b64 s[0:1], 0
.LBB15_1905:
	s_andn2_b64 vcc, exec, s[0:1]
	s_cbranch_vccnz .LBB15_1907
; %bb.1906:
	v_cvt_f32_f16_e32 v3, v3
	v_cvt_i32_f32_e32 v3, v3
	global_store_byte v[4:5], v3, off
.LBB15_1907:
	s_mov_b64 s[10:11], -1
.LBB15_1908:
	s_andn2_b64 vcc, exec, s[10:11]
	s_cbranch_vccnz .LBB15_2044
; %bb.1909:
	v_mov_b32_e32 v3, s9
	v_add_co_u32_e32 v2, vcc, s8, v2
	v_and_b32_e32 v5, 0x7fff, v12
	v_addc_co_u32_e32 v3, vcc, 0, v3, vcc
	v_or_b32_e32 v4, v5, v1
	s_and_b64 vcc, exec, s[4:5]
	s_cbranch_vccnz .LBB15_1916
; %bb.1910:
	v_cmp_gt_i16_e64 s[0:1], s16, 25
	s_mov_b64 s[12:13], -1
	s_mov_b64 s[6:7], 0
	s_and_b64 vcc, exec, s[0:1]
	s_mov_b64 s[10:11], 0
	s_mov_b64 s[0:1], 0
	s_cbranch_vccz .LBB15_1952
; %bb.1911:
	v_cmp_gt_i16_e64 s[0:1], s16, 28
	s_and_b64 vcc, exec, s[0:1]
	s_cbranch_vccz .LBB15_1917
; %bb.1912:
	v_cmp_gt_i16_e64 s[0:1], s16, 43
	s_and_b64 vcc, exec, s[0:1]
	;; [unrolled: 4-line block ×3, first 2 shown]
	s_cbranch_vccz .LBB15_1924
; %bb.1914:
	v_cmp_eq_u16_e64 s[10:11], s16, 46
	s_mov_b64 s[0:1], -1
	s_mov_b64 s[12:13], 0
	s_and_b64 vcc, exec, s[10:11]
	s_mov_b64 s[10:11], 0
	s_cbranch_vccz .LBB15_1925
; %bb.1915:
	v_cvt_f32_f16_e32 v6, v4
	s_movk_i32 s0, 0x7fff
	v_mov_b32_e32 v7, 0x7fc0
	v_cmp_o_f16_e32 vcc, v4, v4
	v_bfe_u32 v8, v6, 16, 1
	v_add3_u32 v6, v6, v8, s0
	v_lshrrev_b32_e32 v6, 16, v6
	v_cndmask_b32_e32 v6, v7, v6, vcc
	global_store_dword v[2:3], v6, off
	s_mov_b64 s[0:1], 0
	s_mov_b64 s[10:11], -1
	s_branch .LBB15_1925
.LBB15_1916:
	s_mov_b64 s[0:1], -1
	s_mov_b64 s[10:11], 0
	s_branch .LBB15_1996
.LBB15_1917:
	s_mov_b64 s[0:1], 0
	s_branch .LBB15_1935
.LBB15_1918:
	s_or_saveexec_b64 s[14:15], s[14:15]
                                        ; implicit-def: $sgpr17
	s_xor_b64 exec, exec, s[14:15]
	s_cbranch_execz .LBB15_1819
.LBB15_1919:
	s_mov_b32 s17, 0x46000000
	v_add_f32_e64 v8, |v7|, s17
	v_and_b32_e32 v8, 0xff, v8
	v_cmp_ne_u32_e32 vcc, 0, v8
	s_andn2_b64 s[12:13], s[12:13], exec
	s_and_b64 s[18:19], vcc, exec
	s_mov_b32 s17, 0
	s_or_b64 s[12:13], s[12:13], s[18:19]
	s_or_b64 exec, exec, s[14:15]
	v_mov_b32_e32 v9, s17
	s_and_saveexec_b64 s[14:15], s[12:13]
	s_cbranch_execnz .LBB15_1820
	s_branch .LBB15_1821
.LBB15_1920:
	s_mov_b64 s[0:1], 0
	s_branch .LBB15_1931
.LBB15_1921:
	s_trap 2
	s_or_b64 s[2:3], s[2:3], exec
	s_cbranch_execz .LBB15_1867
	s_branch .LBB15_1868
.LBB15_1922:
	s_or_saveexec_b64 s[12:13], s[12:13]
                                        ; implicit-def: $sgpr14
	s_xor_b64 exec, exec, s[12:13]
	s_cbranch_execz .LBB15_1832
.LBB15_1923:
	s_mov_b32 s14, 0x42800000
	v_add_f32_e64 v8, |v7|, s14
	v_and_b32_e32 v8, 0xff, v8
	v_cmp_ne_u32_e32 vcc, 0, v8
	s_andn2_b64 s[10:11], s[10:11], exec
	s_and_b64 s[18:19], vcc, exec
	s_mov_b32 s14, 0
	s_or_b64 s[10:11], s[10:11], s[18:19]
	s_or_b64 exec, exec, s[12:13]
	v_mov_b32_e32 v9, s14
	s_and_saveexec_b64 s[12:13], s[10:11]
	s_cbranch_execnz .LBB15_1833
	s_branch .LBB15_1834
.LBB15_1924:
	s_mov_b64 s[0:1], 0
.LBB15_1925:
	s_and_b64 vcc, exec, s[12:13]
	s_cbranch_vccz .LBB15_1930
; %bb.1926:
	v_cmp_eq_u16_e64 s[12:13], s16, 44
	s_mov_b64 s[0:1], -1
	s_and_b64 vcc, exec, s[12:13]
	s_cbranch_vccz .LBB15_1930
; %bb.1927:
	v_cvt_f32_f16_e32 v6, v4
	s_movk_i32 s0, 0xff
	v_mov_b32_e32 v8, 0xff
	v_bfe_u32 v7, v6, 23, 8
	v_cmp_ne_u32_e32 vcc, s0, v7
	s_and_saveexec_b64 s[10:11], vcc
; %bb.1928:
	s_mov_b32 s0, 0x3fffff
	v_lshrrev_b32_e32 v8, 23, v6
	v_and_b32_e32 v9, 0x400000, v6
	v_and_or_b32 v6, v6, s0, v7
	v_cmp_ne_u32_e32 vcc, 0, v9
	v_cmp_ne_u32_e64 s[0:1], 0, v6
	s_and_b64 s[0:1], vcc, s[0:1]
	v_cndmask_b32_e64 v6, 0, 1, s[0:1]
	v_add_u32_e32 v8, v8, v6
; %bb.1929:
	s_or_b64 exec, exec, s[10:11]
	s_mov_b64 s[0:1], 0
	s_mov_b64 s[10:11], -1
	global_store_byte v[2:3], v8, off
.LBB15_1930:
	s_mov_b64 s[12:13], 0
.LBB15_1931:
	s_and_b64 vcc, exec, s[12:13]
	s_cbranch_vccz .LBB15_1934
; %bb.1932:
	v_cmp_eq_u16_e64 s[12:13], s16, 29
	s_mov_b64 s[0:1], -1
	s_and_b64 vcc, exec, s[12:13]
	s_cbranch_vccz .LBB15_1934
; %bb.1933:
	v_cvt_f32_f16_e32 v6, v4
	v_mov_b32_e32 v7, 0
	s_mov_b64 s[0:1], 0
	s_mov_b64 s[10:11], -1
	v_cvt_u32_f32_e32 v6, v6
	s_mov_b64 s[12:13], 0
	global_store_dwordx2 v[2:3], v[6:7], off
	s_branch .LBB15_1935
.LBB15_1934:
	s_mov_b64 s[12:13], 0
.LBB15_1935:
	s_and_b64 vcc, exec, s[12:13]
	s_cbranch_vccz .LBB15_1951
; %bb.1936:
	v_cmp_lt_i16_e64 s[12:13], s16, 27
	s_mov_b64 s[10:11], -1
	s_and_b64 vcc, exec, s[12:13]
	s_cbranch_vccnz .LBB15_1942
; %bb.1937:
	v_cmp_gt_i16_e64 s[12:13], s16, 27
	s_and_b64 vcc, exec, s[12:13]
	s_cbranch_vccz .LBB15_1939
; %bb.1938:
	v_cvt_f32_f16_e32 v6, v4
	s_mov_b64 s[10:11], 0
	v_cvt_u32_f32_e32 v6, v6
	global_store_dword v[2:3], v6, off
.LBB15_1939:
	s_andn2_b64 vcc, exec, s[10:11]
	s_cbranch_vccnz .LBB15_1941
; %bb.1940:
	v_cvt_u16_f16_e32 v6, v4
	global_store_short v[2:3], v6, off
.LBB15_1941:
	s_mov_b64 s[10:11], 0
.LBB15_1942:
	s_andn2_b64 vcc, exec, s[10:11]
	s_cbranch_vccnz .LBB15_1950
; %bb.1943:
	v_cvt_f32_f16_e32 v6, v4
	s_mov_b32 s10, 0x43800000
	v_mov_b32_e32 v8, 0x80
	v_and_b32_e32 v7, 0x7fffffff, v6
	v_cmp_gt_u32_e32 vcc, s10, v7
	s_and_saveexec_b64 s[10:11], vcc
	s_cbranch_execz .LBB15_1949
; %bb.1944:
	s_mov_b32 s12, 0x3bffffff
	v_cmp_lt_u32_e32 vcc, s12, v7
	s_mov_b64 s[12:13], 0
                                        ; implicit-def: $vgpr7
	s_and_saveexec_b64 s[14:15], vcc
	s_xor_b64 s[14:15], exec, s[14:15]
	s_cbranch_execz .LBB15_2091
; %bb.1945:
	v_bfe_u32 v7, v6, 20, 1
	s_mov_b32 s17, 0x487ffff
	v_add3_u32 v7, v6, v7, s17
	s_mov_b64 s[12:13], exec
	v_lshrrev_b32_e32 v7, 20, v7
	s_or_saveexec_b64 s[14:15], s[14:15]
                                        ; implicit-def: $sgpr17
	s_xor_b64 exec, exec, s[14:15]
	s_cbranch_execnz .LBB15_2092
.LBB15_1946:
	s_or_b64 exec, exec, s[14:15]
	v_mov_b32_e32 v8, s17
	s_and_saveexec_b64 s[14:15], s[12:13]
.LBB15_1947:
	v_lshrrev_b32_e32 v6, 24, v6
	s_movk_i32 s12, 0x80
	v_and_or_b32 v8, v6, s12, v7
.LBB15_1948:
	s_or_b64 exec, exec, s[14:15]
.LBB15_1949:
	s_or_b64 exec, exec, s[10:11]
	global_store_byte v[2:3], v8, off
.LBB15_1950:
	s_mov_b64 s[10:11], -1
.LBB15_1951:
	s_mov_b64 s[12:13], 0
.LBB15_1952:
	s_and_b64 vcc, exec, s[12:13]
	s_cbranch_vccz .LBB15_1992
; %bb.1953:
	v_cmp_gt_i16_e64 s[12:13], s16, 22
	s_mov_b64 s[6:7], -1
	s_and_b64 vcc, exec, s[12:13]
	s_cbranch_vccz .LBB15_1985
; %bb.1954:
	v_cmp_lt_i16_e64 s[10:11], s16, 24
	s_and_b64 vcc, exec, s[10:11]
	s_cbranch_vccnz .LBB15_1974
; %bb.1955:
	v_cmp_gt_i16_e64 s[10:11], s16, 24
	s_and_b64 vcc, exec, s[10:11]
	s_cbranch_vccz .LBB15_1963
; %bb.1956:
	v_cvt_f32_f16_e32 v6, v4
	s_mov_b32 s6, 0x47800000
	v_mov_b32_e32 v8, 0x80
	v_and_b32_e32 v7, 0x7fffffff, v6
	v_cmp_gt_u32_e32 vcc, s6, v7
	s_and_saveexec_b64 s[6:7], vcc
	s_cbranch_execz .LBB15_1962
; %bb.1957:
	s_mov_b32 s10, 0x37ffffff
	v_cmp_lt_u32_e32 vcc, s10, v7
	s_mov_b64 s[10:11], 0
                                        ; implicit-def: $vgpr7
	s_and_saveexec_b64 s[12:13], vcc
	s_xor_b64 s[12:13], exec, s[12:13]
	s_cbranch_execz .LBB15_2095
; %bb.1958:
	v_bfe_u32 v7, v6, 21, 1
	s_mov_b32 s14, 0x88fffff
	v_add3_u32 v7, v6, v7, s14
	s_mov_b64 s[10:11], exec
	v_lshrrev_b32_e32 v7, 21, v7
	s_or_saveexec_b64 s[12:13], s[12:13]
                                        ; implicit-def: $sgpr14
	s_xor_b64 exec, exec, s[12:13]
	s_cbranch_execnz .LBB15_2096
.LBB15_1959:
	s_or_b64 exec, exec, s[12:13]
	v_mov_b32_e32 v8, s14
	s_and_saveexec_b64 s[12:13], s[10:11]
.LBB15_1960:
	v_lshrrev_b32_e32 v6, 24, v6
	s_movk_i32 s10, 0x80
	v_and_or_b32 v8, v6, s10, v7
.LBB15_1961:
	s_or_b64 exec, exec, s[12:13]
.LBB15_1962:
	s_or_b64 exec, exec, s[6:7]
	s_mov_b64 s[6:7], 0
	global_store_byte v[2:3], v8, off
.LBB15_1963:
	s_and_b64 vcc, exec, s[6:7]
	s_cbranch_vccz .LBB15_1973
; %bb.1964:
	v_cvt_f32_f16_e32 v6, v4
	s_mov_b32 s6, 0x43f00000
                                        ; implicit-def: $vgpr7
	v_and_b32_e32 v8, 0x7fffffff, v6
	v_cmp_gt_u32_e32 vcc, s6, v8
	s_and_saveexec_b64 s[6:7], vcc
	s_xor_b64 s[6:7], exec, s[6:7]
	s_cbranch_execz .LBB15_1970
; %bb.1965:
	s_mov_b32 s10, 0x3c7fffff
	v_cmp_lt_u32_e32 vcc, s10, v8
                                        ; implicit-def: $vgpr7
	s_and_saveexec_b64 s[10:11], vcc
	s_xor_b64 s[10:11], exec, s[10:11]
; %bb.1966:
	v_bfe_u32 v7, v6, 20, 1
	s_mov_b32 s12, 0x407ffff
	v_add3_u32 v7, v6, v7, s12
	v_lshrrev_b32_e32 v8, 20, v7
	v_and_b32_e32 v7, 0xff00000, v7
	s_mov_b32 s12, 0x7f00000
	v_mov_b32_e32 v9, 0x7e
	v_cmp_ne_u32_e32 vcc, s12, v7
	v_cndmask_b32_e32 v7, v9, v8, vcc
; %bb.1967:
	s_andn2_saveexec_b64 s[10:11], s[10:11]
; %bb.1968:
	s_mov_b32 s12, 0x46800000
	v_add_f32_e64 v7, |v6|, s12
; %bb.1969:
	s_or_b64 exec, exec, s[10:11]
                                        ; implicit-def: $vgpr8
.LBB15_1970:
	s_andn2_saveexec_b64 s[6:7], s[6:7]
; %bb.1971:
	s_mov_b32 s10, 0x7f800000
	v_mov_b32_e32 v7, 0x7e
	v_mov_b32_e32 v9, 0x7f
	v_cmp_lt_u32_e32 vcc, s10, v8
	v_cndmask_b32_e32 v7, v7, v9, vcc
; %bb.1972:
	s_or_b64 exec, exec, s[6:7]
	v_lshrrev_b32_e32 v6, 24, v6
	s_movk_i32 s6, 0x80
	v_and_or_b32 v6, v6, s6, v7
	global_store_byte v[2:3], v6, off
.LBB15_1973:
	s_mov_b64 s[6:7], 0
.LBB15_1974:
	s_andn2_b64 vcc, exec, s[6:7]
	s_cbranch_vccnz .LBB15_1984
; %bb.1975:
	v_cvt_f32_f16_e32 v6, v4
	s_mov_b32 s6, 0x47800000
                                        ; implicit-def: $vgpr7
	v_and_b32_e32 v8, 0x7fffffff, v6
	v_cmp_gt_u32_e32 vcc, s6, v8
	s_and_saveexec_b64 s[6:7], vcc
	s_xor_b64 s[6:7], exec, s[6:7]
	s_cbranch_execz .LBB15_1981
; %bb.1976:
	s_mov_b32 s10, 0x387fffff
	v_cmp_lt_u32_e32 vcc, s10, v8
                                        ; implicit-def: $vgpr7
	s_and_saveexec_b64 s[10:11], vcc
	s_xor_b64 s[10:11], exec, s[10:11]
; %bb.1977:
	v_bfe_u32 v7, v6, 21, 1
	s_mov_b32 s12, 0x80fffff
	v_add3_u32 v7, v6, v7, s12
	v_lshrrev_b32_e32 v7, 21, v7
; %bb.1978:
	s_andn2_saveexec_b64 s[10:11], s[10:11]
; %bb.1979:
	s_mov_b32 s12, 0x43000000
	v_add_f32_e64 v7, |v6|, s12
; %bb.1980:
	s_or_b64 exec, exec, s[10:11]
                                        ; implicit-def: $vgpr8
.LBB15_1981:
	s_andn2_saveexec_b64 s[6:7], s[6:7]
; %bb.1982:
	s_mov_b32 s10, 0x7f800000
	v_mov_b32_e32 v7, 0x7c
	v_mov_b32_e32 v9, 0x7f
	v_cmp_lt_u32_e32 vcc, s10, v8
	v_cndmask_b32_e32 v7, v7, v9, vcc
; %bb.1983:
	s_or_b64 exec, exec, s[6:7]
	v_lshrrev_b32_e32 v6, 24, v6
	s_movk_i32 s6, 0x80
	v_and_or_b32 v6, v6, s6, v7
	global_store_byte v[2:3], v6, off
.LBB15_1984:
	s_mov_b64 s[6:7], 0
	s_mov_b64 s[10:11], -1
.LBB15_1985:
	s_andn2_b64 vcc, exec, s[6:7]
	s_mov_b64 s[6:7], 0
	s_cbranch_vccnz .LBB15_1992
; %bb.1986:
	v_cmp_gt_i16_e64 s[6:7], s16, 14
	s_mov_b64 s[12:13], -1
	s_and_b64 vcc, exec, s[6:7]
	s_cbranch_vccz .LBB15_1990
; %bb.1987:
	v_cmp_eq_u16_e64 s[6:7], s16, 15
	s_mov_b64 s[0:1], -1
	s_and_b64 vcc, exec, s[6:7]
	s_cbranch_vccz .LBB15_1989
; %bb.1988:
	v_cvt_f32_f16_e32 v6, v4
	s_movk_i32 s0, 0x7fff
	v_mov_b32_e32 v7, 0x7fc0
	v_cmp_o_f16_e32 vcc, v4, v4
	v_bfe_u32 v8, v6, 16, 1
	v_add3_u32 v6, v6, v8, s0
	v_lshrrev_b32_e32 v6, 16, v6
	v_cndmask_b32_e32 v6, v7, v6, vcc
	global_store_short v[2:3], v6, off
	s_mov_b64 s[0:1], 0
	s_mov_b64 s[10:11], -1
.LBB15_1989:
	s_mov_b64 s[12:13], 0
.LBB15_1990:
	s_mov_b64 s[6:7], 0
	s_and_b64 vcc, exec, s[12:13]
	s_cbranch_vccz .LBB15_1992
; %bb.1991:
	v_cmp_ne_u16_e64 s[0:1], s16, 11
	s_mov_b64 s[6:7], -1
.LBB15_1992:
	s_and_b64 vcc, exec, s[0:1]
	s_cbranch_vccnz .LBB15_2094
; %bb.1993:
	s_andn2_b64 vcc, exec, s[6:7]
	s_cbranch_vccnz .LBB15_1995
.LBB15_1994:
	v_cmp_ne_u16_e32 vcc, 0, v5
	v_cndmask_b32_e64 v5, 0, 1, vcc
	s_mov_b64 s[10:11], -1
	global_store_byte v[2:3], v5, off
.LBB15_1995:
	s_mov_b64 s[0:1], 0
.LBB15_1996:
	s_and_b64 vcc, exec, s[0:1]
	s_cbranch_vccz .LBB15_2035
; %bb.1997:
	v_cmp_lt_i16_e64 s[6:7], s16, 5
	s_mov_b64 s[0:1], -1
	s_and_b64 vcc, exec, s[6:7]
	s_cbranch_vccnz .LBB15_2018
; %bb.1998:
	v_cmp_lt_i16_e64 s[6:7], s16, 8
	s_and_b64 vcc, exec, s[6:7]
	s_cbranch_vccnz .LBB15_2008
; %bb.1999:
	v_cmp_lt_i16_e64 s[6:7], s16, 9
	s_and_b64 vcc, exec, s[6:7]
	s_cbranch_vccnz .LBB15_2005
; %bb.2000:
	v_cmp_gt_i16_e64 s[6:7], s16, 9
	s_and_b64 vcc, exec, s[6:7]
	s_cbranch_vccz .LBB15_2002
; %bb.2001:
	v_cvt_f32_f16_e32 v5, v4
	v_mov_b32_e32 v8, 0
	v_mov_b32_e32 v9, v8
	s_mov_b64 s[0:1], 0
	v_cvt_f64_f32_e32 v[6:7], v5
	global_store_dwordx4 v[2:3], v[6:9], off
.LBB15_2002:
	s_andn2_b64 vcc, exec, s[0:1]
	s_cbranch_vccnz .LBB15_2004
; %bb.2003:
	v_cvt_f32_f16_e32 v6, v4
	v_mov_b32_e32 v7, 0
	global_store_dwordx2 v[2:3], v[6:7], off
.LBB15_2004:
	s_mov_b64 s[0:1], 0
.LBB15_2005:
	s_andn2_b64 vcc, exec, s[0:1]
	s_cbranch_vccnz .LBB15_2007
; %bb.2006:
	v_and_b32_e32 v5, 0xffff, v4
	global_store_dword v[2:3], v5, off
.LBB15_2007:
	s_mov_b64 s[0:1], 0
.LBB15_2008:
	s_andn2_b64 vcc, exec, s[0:1]
	s_cbranch_vccnz .LBB15_2017
; %bb.2009:
	v_cmp_lt_i16_e64 s[6:7], s16, 6
	s_mov_b64 s[0:1], -1
	s_and_b64 vcc, exec, s[6:7]
	s_cbranch_vccnz .LBB15_2015
; %bb.2010:
	v_cmp_gt_i16_e64 s[6:7], s16, 6
	s_and_b64 vcc, exec, s[6:7]
	s_cbranch_vccz .LBB15_2012
; %bb.2011:
	v_cvt_f32_f16_e32 v5, v4
	s_mov_b64 s[0:1], 0
	v_cvt_f64_f32_e32 v[6:7], v5
	global_store_dwordx2 v[2:3], v[6:7], off
.LBB15_2012:
	s_andn2_b64 vcc, exec, s[0:1]
	s_cbranch_vccnz .LBB15_2014
; %bb.2013:
	v_cvt_f32_f16_e32 v5, v4
	global_store_dword v[2:3], v5, off
.LBB15_2014:
	s_mov_b64 s[0:1], 0
.LBB15_2015:
	s_andn2_b64 vcc, exec, s[0:1]
	s_cbranch_vccnz .LBB15_2017
; %bb.2016:
	global_store_short v[2:3], v4, off
.LBB15_2017:
	s_mov_b64 s[0:1], 0
.LBB15_2018:
	s_andn2_b64 vcc, exec, s[0:1]
	s_cbranch_vccnz .LBB15_2034
; %bb.2019:
	v_cmp_lt_i16_e64 s[6:7], s16, 2
	s_mov_b64 s[0:1], -1
	s_and_b64 vcc, exec, s[6:7]
	s_cbranch_vccnz .LBB15_2029
; %bb.2020:
	v_cmp_lt_i16_e64 s[6:7], s16, 3
	s_and_b64 vcc, exec, s[6:7]
	s_cbranch_vccnz .LBB15_2026
; %bb.2021:
	v_cmp_gt_i16_e64 s[6:7], s16, 3
	s_and_b64 vcc, exec, s[6:7]
	s_cbranch_vccz .LBB15_2023
; %bb.2022:
	v_cvt_f32_f16_e32 v5, v4
	s_mov_b64 s[0:1], 0
	v_cvt_i32_f32_e32 v6, v5
	v_ashrrev_i32_e32 v7, 31, v6
	global_store_dwordx2 v[2:3], v[6:7], off
.LBB15_2023:
	s_andn2_b64 vcc, exec, s[0:1]
	s_cbranch_vccnz .LBB15_2025
; %bb.2024:
	v_cvt_f32_f16_e32 v5, v4
	v_cvt_i32_f32_e32 v5, v5
	global_store_dword v[2:3], v5, off
.LBB15_2025:
	s_mov_b64 s[0:1], 0
.LBB15_2026:
	s_andn2_b64 vcc, exec, s[0:1]
	s_cbranch_vccnz .LBB15_2028
; %bb.2027:
	v_cvt_i16_f16_e32 v5, v4
	global_store_short v[2:3], v5, off
.LBB15_2028:
	s_mov_b64 s[0:1], 0
.LBB15_2029:
	s_andn2_b64 vcc, exec, s[0:1]
	s_cbranch_vccnz .LBB15_2034
; %bb.2030:
	v_cmp_gt_i16_e64 s[6:7], s16, 0
	s_mov_b64 s[0:1], -1
	s_and_b64 vcc, exec, s[6:7]
	s_cbranch_vccz .LBB15_2032
; %bb.2031:
	v_cvt_i16_f16_e32 v5, v4
	global_store_byte v[2:3], v5, off
	s_mov_b64 s[0:1], 0
.LBB15_2032:
	s_andn2_b64 vcc, exec, s[0:1]
	s_cbranch_vccnz .LBB15_2034
; %bb.2033:
	v_cvt_f32_f16_e32 v4, v4
	v_cvt_i32_f32_e32 v4, v4
	global_store_byte v[2:3], v4, off
.LBB15_2034:
	s_mov_b64 s[10:11], -1
.LBB15_2035:
	s_andn2_b64 vcc, exec, s[10:11]
	s_cbranch_vccnz .LBB15_2044
; %bb.2036:
	v_and_b32_e32 v3, 0x7fff, v10
	v_or_b32_e32 v2, v3, v1
	v_mov_b32_e32 v1, s9
	v_add_co_u32_e32 v0, vcc, s8, v0
	v_addc_co_u32_e32 v1, vcc, 0, v1, vcc
	s_and_b64 vcc, exec, s[4:5]
	s_cbranch_vccnz .LBB15_2089
; %bb.2037:
	v_cmp_gt_i16_e64 s[0:1], s16, 25
	s_mov_b64 s[6:7], -1
	s_mov_b64 s[4:5], 0
	s_and_b64 vcc, exec, s[0:1]
	s_mov_b64 s[0:1], 0
	s_cbranch_vccz .LBB15_2124
; %bb.2038:
	v_cmp_gt_i16_e64 s[0:1], s16, 28
	s_and_b64 vcc, exec, s[0:1]
	s_cbranch_vccz .LBB15_2090
; %bb.2039:
	v_cmp_gt_i16_e64 s[0:1], s16, 43
	s_and_b64 vcc, exec, s[0:1]
	s_cbranch_vccz .LBB15_2093
; %bb.2040:
	v_cmp_gt_i16_e64 s[0:1], s16, 45
	s_and_b64 vcc, exec, s[0:1]
	s_cbranch_vccz .LBB15_2097
; %bb.2041:
	v_cmp_eq_u16_e64 s[6:7], s16, 46
	s_mov_b64 s[0:1], -1
	s_and_b64 vcc, exec, s[6:7]
	s_cbranch_vccz .LBB15_2043
; %bb.2042:
	v_cvt_f32_f16_e32 v4, v2
	s_movk_i32 s0, 0x7fff
	v_mov_b32_e32 v5, 0x7fc0
	v_cmp_o_f16_e32 vcc, v2, v2
	v_bfe_u32 v6, v4, 16, 1
	v_add3_u32 v4, v4, v6, s0
	v_lshrrev_b32_e32 v4, 16, v4
	v_cndmask_b32_e32 v4, v5, v4, vcc
	global_store_dword v[0:1], v4, off
	s_mov_b64 s[0:1], 0
.LBB15_2043:
	s_mov_b64 s[6:7], 0
	s_branch .LBB15_2098
.LBB15_2044:
	s_mov_b64 s[0:1], 0
	s_mov_b64 s[4:5], 0
                                        ; implicit-def: $vgpr0_vgpr1
                                        ; implicit-def: $sgpr16
                                        ; implicit-def: $vgpr2
                                        ; implicit-def: $vgpr3
.LBB15_2045:
	s_and_b64 s[6:7], s[4:5], exec
	s_andn2_b64 s[4:5], s[28:29], exec
	s_and_b64 s[2:3], s[2:3], exec
	s_and_b64 s[0:1], s[0:1], exec
	s_or_b64 s[28:29], s[4:5], s[2:3]
.LBB15_2046:
	s_or_b64 exec, exec, s[30:31]
	s_and_saveexec_b64 s[2:3], s[28:29]
	s_cbranch_execz .LBB15_2049
; %bb.2047:
	; divergent unreachable
	s_or_b64 exec, exec, s[2:3]
	s_and_saveexec_b64 s[2:3], s[6:7]
	s_xor_b64 s[2:3], exec, s[2:3]
	s_cbranch_execnz .LBB15_2050
.LBB15_2048:
	s_or_b64 exec, exec, s[2:3]
	s_and_saveexec_b64 s[2:3], s[0:1]
	s_cbranch_execnz .LBB15_2051
	s_branch .LBB15_2088
.LBB15_2049:
	s_or_b64 exec, exec, s[2:3]
	s_and_saveexec_b64 s[2:3], s[6:7]
	s_xor_b64 s[2:3], exec, s[2:3]
	s_cbranch_execz .LBB15_2048
.LBB15_2050:
	s_waitcnt vmcnt(0)
	v_cmp_ne_u16_e32 vcc, 0, v3
	v_cndmask_b32_e64 v3, 0, 1, vcc
	global_store_byte v[0:1], v3, off
	s_or_b64 exec, exec, s[2:3]
	s_and_saveexec_b64 s[2:3], s[0:1]
	s_cbranch_execz .LBB15_2088
.LBB15_2051:
	v_cmp_lt_i16_e64 s[2:3], s16, 5
	s_mov_b64 s[0:1], -1
	s_and_b64 vcc, exec, s[2:3]
	s_cbranch_vccnz .LBB15_2072
; %bb.2052:
	v_cmp_lt_i16_e64 s[2:3], s16, 8
	s_and_b64 vcc, exec, s[2:3]
	s_cbranch_vccnz .LBB15_2062
; %bb.2053:
	v_cmp_lt_i16_e64 s[2:3], s16, 9
	s_and_b64 vcc, exec, s[2:3]
	s_cbranch_vccnz .LBB15_2059
; %bb.2054:
	v_cmp_gt_i16_e64 s[2:3], s16, 9
	s_and_b64 vcc, exec, s[2:3]
	s_cbranch_vccz .LBB15_2056
; %bb.2055:
	s_waitcnt vmcnt(0)
	v_cvt_f32_f16_e32 v3, v2
	v_mov_b32_e32 v6, 0
	v_mov_b32_e32 v7, v6
	s_mov_b64 s[0:1], 0
	v_cvt_f64_f32_e32 v[4:5], v3
	global_store_dwordx4 v[0:1], v[4:7], off
.LBB15_2056:
	s_andn2_b64 vcc, exec, s[0:1]
	s_cbranch_vccnz .LBB15_2058
; %bb.2057:
	v_cvt_f32_f16_e32 v4, v2
	v_mov_b32_e32 v5, 0
	s_waitcnt vmcnt(0)
	global_store_dwordx2 v[0:1], v[4:5], off
.LBB15_2058:
	s_mov_b64 s[0:1], 0
.LBB15_2059:
	s_andn2_b64 vcc, exec, s[0:1]
	s_cbranch_vccnz .LBB15_2061
; %bb.2060:
	s_waitcnt vmcnt(0)
	v_and_b32_e32 v3, 0xffff, v2
	global_store_dword v[0:1], v3, off
.LBB15_2061:
	s_mov_b64 s[0:1], 0
.LBB15_2062:
	s_andn2_b64 vcc, exec, s[0:1]
	s_cbranch_vccnz .LBB15_2071
; %bb.2063:
	v_cmp_lt_i16_e64 s[2:3], s16, 6
	s_mov_b64 s[0:1], -1
	s_and_b64 vcc, exec, s[2:3]
	s_cbranch_vccnz .LBB15_2069
; %bb.2064:
	v_cmp_gt_i16_e64 s[2:3], s16, 6
	s_and_b64 vcc, exec, s[2:3]
	s_cbranch_vccz .LBB15_2066
; %bb.2065:
	s_waitcnt vmcnt(0)
	v_cvt_f32_f16_e32 v3, v2
	s_mov_b64 s[0:1], 0
	v_cvt_f64_f32_e32 v[4:5], v3
	global_store_dwordx2 v[0:1], v[4:5], off
.LBB15_2066:
	s_andn2_b64 vcc, exec, s[0:1]
	s_cbranch_vccnz .LBB15_2068
; %bb.2067:
	s_waitcnt vmcnt(0)
	v_cvt_f32_f16_e32 v3, v2
	global_store_dword v[0:1], v3, off
.LBB15_2068:
	s_mov_b64 s[0:1], 0
.LBB15_2069:
	s_andn2_b64 vcc, exec, s[0:1]
	s_cbranch_vccnz .LBB15_2071
; %bb.2070:
	s_waitcnt vmcnt(0)
	global_store_short v[0:1], v2, off
.LBB15_2071:
	s_mov_b64 s[0:1], 0
.LBB15_2072:
	s_andn2_b64 vcc, exec, s[0:1]
	s_cbranch_vccnz .LBB15_2088
; %bb.2073:
	v_cmp_lt_i16_e64 s[2:3], s16, 2
	s_mov_b64 s[0:1], -1
	s_and_b64 vcc, exec, s[2:3]
	s_cbranch_vccnz .LBB15_2083
; %bb.2074:
	v_cmp_lt_i16_e64 s[2:3], s16, 3
	s_and_b64 vcc, exec, s[2:3]
	s_cbranch_vccnz .LBB15_2080
; %bb.2075:
	v_cmp_gt_i16_e64 s[2:3], s16, 3
	s_and_b64 vcc, exec, s[2:3]
	s_cbranch_vccz .LBB15_2077
; %bb.2076:
	s_waitcnt vmcnt(0)
	v_cvt_f32_f16_e32 v3, v2
	s_mov_b64 s[0:1], 0
	v_cvt_i32_f32_e32 v4, v3
	v_ashrrev_i32_e32 v5, 31, v4
	global_store_dwordx2 v[0:1], v[4:5], off
.LBB15_2077:
	s_andn2_b64 vcc, exec, s[0:1]
	s_cbranch_vccnz .LBB15_2079
; %bb.2078:
	s_waitcnt vmcnt(0)
	v_cvt_f32_f16_e32 v3, v2
	v_cvt_i32_f32_e32 v3, v3
	global_store_dword v[0:1], v3, off
.LBB15_2079:
	s_mov_b64 s[0:1], 0
.LBB15_2080:
	s_andn2_b64 vcc, exec, s[0:1]
	s_cbranch_vccnz .LBB15_2082
; %bb.2081:
	s_waitcnt vmcnt(0)
	v_cvt_i16_f16_e32 v3, v2
	global_store_short v[0:1], v3, off
.LBB15_2082:
	s_mov_b64 s[0:1], 0
.LBB15_2083:
	s_andn2_b64 vcc, exec, s[0:1]
	s_cbranch_vccnz .LBB15_2088
; %bb.2084:
	v_cmp_gt_i16_e64 s[2:3], s16, 0
	s_mov_b64 s[0:1], -1
	s_and_b64 vcc, exec, s[2:3]
	s_cbranch_vccz .LBB15_2086
; %bb.2085:
	s_waitcnt vmcnt(0)
	v_cvt_i16_f16_e32 v3, v2
	global_store_byte v[0:1], v3, off
	s_mov_b64 s[0:1], 0
.LBB15_2086:
	s_andn2_b64 vcc, exec, s[0:1]
	s_cbranch_vccnz .LBB15_2088
; %bb.2087:
	v_cvt_f32_f16_e32 v2, v2
	v_cvt_i32_f32_e32 v2, v2
	s_waitcnt vmcnt(0)
	global_store_byte v[0:1], v2, off
	s_endpgm
.LBB15_2088:
	s_endpgm
.LBB15_2089:
	s_mov_b64 s[4:5], 0
	s_mov_b64 s[0:1], -1
	s_branch .LBB15_2045
.LBB15_2090:
	s_mov_b64 s[0:1], 0
	s_branch .LBB15_2108
.LBB15_2091:
	s_or_saveexec_b64 s[14:15], s[14:15]
                                        ; implicit-def: $sgpr17
	s_xor_b64 exec, exec, s[14:15]
	s_cbranch_execz .LBB15_1946
.LBB15_2092:
	s_mov_b32 s17, 0x46000000
	v_add_f32_e64 v7, |v6|, s17
	v_and_b32_e32 v7, 0xff, v7
	v_cmp_ne_u32_e32 vcc, 0, v7
	s_andn2_b64 s[12:13], s[12:13], exec
	s_and_b64 s[18:19], vcc, exec
	s_mov_b32 s17, 0
	s_or_b64 s[12:13], s[12:13], s[18:19]
	s_or_b64 exec, exec, s[14:15]
	v_mov_b32_e32 v8, s17
	s_and_saveexec_b64 s[14:15], s[12:13]
	s_cbranch_execnz .LBB15_1947
	s_branch .LBB15_1948
.LBB15_2093:
	s_mov_b64 s[0:1], 0
	s_branch .LBB15_2104
.LBB15_2094:
	s_trap 2
	s_or_b64 s[2:3], s[2:3], exec
	s_cbranch_execz .LBB15_1994
	s_branch .LBB15_1995
.LBB15_2095:
	s_or_saveexec_b64 s[12:13], s[12:13]
                                        ; implicit-def: $sgpr14
	s_xor_b64 exec, exec, s[12:13]
	s_cbranch_execz .LBB15_1959
.LBB15_2096:
	s_mov_b32 s14, 0x42800000
	v_add_f32_e64 v7, |v6|, s14
	v_and_b32_e32 v7, 0xff, v7
	v_cmp_ne_u32_e32 vcc, 0, v7
	s_andn2_b64 s[10:11], s[10:11], exec
	s_and_b64 s[18:19], vcc, exec
	s_mov_b32 s14, 0
	s_or_b64 s[10:11], s[10:11], s[18:19]
	s_or_b64 exec, exec, s[12:13]
	v_mov_b32_e32 v8, s14
	s_and_saveexec_b64 s[12:13], s[10:11]
	s_cbranch_execnz .LBB15_1960
	s_branch .LBB15_1961
.LBB15_2097:
	s_mov_b64 s[0:1], 0
.LBB15_2098:
	s_and_b64 vcc, exec, s[6:7]
	s_cbranch_vccz .LBB15_2103
; %bb.2099:
	v_cmp_eq_u16_e64 s[6:7], s16, 44
	s_mov_b64 s[0:1], -1
	s_and_b64 vcc, exec, s[6:7]
	s_cbranch_vccz .LBB15_2103
; %bb.2100:
	v_cvt_f32_f16_e32 v4, v2
	s_movk_i32 s0, 0xff
	v_mov_b32_e32 v6, 0xff
	v_bfe_u32 v5, v4, 23, 8
	v_cmp_ne_u32_e32 vcc, s0, v5
	s_and_saveexec_b64 s[6:7], vcc
; %bb.2101:
	s_mov_b32 s0, 0x3fffff
	v_lshrrev_b32_e32 v6, 23, v4
	v_and_b32_e32 v7, 0x400000, v4
	v_and_or_b32 v4, v4, s0, v5
	v_cmp_ne_u32_e32 vcc, 0, v7
	v_cmp_ne_u32_e64 s[0:1], 0, v4
	s_and_b64 s[0:1], vcc, s[0:1]
	v_cndmask_b32_e64 v4, 0, 1, s[0:1]
	v_add_u32_e32 v6, v6, v4
; %bb.2102:
	s_or_b64 exec, exec, s[6:7]
	s_mov_b64 s[0:1], 0
	global_store_byte v[0:1], v6, off
.LBB15_2103:
	s_mov_b64 s[6:7], 0
.LBB15_2104:
	s_and_b64 vcc, exec, s[6:7]
	s_cbranch_vccz .LBB15_2107
; %bb.2105:
	v_cmp_eq_u16_e64 s[6:7], s16, 29
	s_mov_b64 s[0:1], -1
	s_and_b64 vcc, exec, s[6:7]
	s_cbranch_vccz .LBB15_2107
; %bb.2106:
	v_cvt_f32_f16_e32 v4, v2
	v_mov_b32_e32 v5, 0
	s_mov_b64 s[0:1], 0
	v_cvt_u32_f32_e32 v4, v4
	global_store_dwordx2 v[0:1], v[4:5], off
.LBB15_2107:
	s_mov_b64 s[6:7], 0
.LBB15_2108:
	s_and_b64 vcc, exec, s[6:7]
	s_cbranch_vccz .LBB15_2123
; %bb.2109:
	v_cmp_lt_i16_e64 s[8:9], s16, 27
	s_mov_b64 s[6:7], -1
	s_and_b64 vcc, exec, s[8:9]
	s_cbranch_vccnz .LBB15_2115
; %bb.2110:
	v_cmp_gt_i16_e64 s[8:9], s16, 27
	s_and_b64 vcc, exec, s[8:9]
	s_cbranch_vccz .LBB15_2112
; %bb.2111:
	v_cvt_f32_f16_e32 v4, v2
	s_mov_b64 s[6:7], 0
	v_cvt_u32_f32_e32 v4, v4
	global_store_dword v[0:1], v4, off
.LBB15_2112:
	s_andn2_b64 vcc, exec, s[6:7]
	s_cbranch_vccnz .LBB15_2114
; %bb.2113:
	v_cvt_u16_f16_e32 v4, v2
	global_store_short v[0:1], v4, off
.LBB15_2114:
	s_mov_b64 s[6:7], 0
.LBB15_2115:
	s_andn2_b64 vcc, exec, s[6:7]
	s_cbranch_vccnz .LBB15_2123
; %bb.2116:
	v_cvt_f32_f16_e32 v4, v2
	s_mov_b32 s6, 0x43800000
	v_mov_b32_e32 v6, 0x80
	v_and_b32_e32 v5, 0x7fffffff, v4
	v_cmp_gt_u32_e32 vcc, s6, v5
	s_and_saveexec_b64 s[6:7], vcc
	s_cbranch_execz .LBB15_2122
; %bb.2117:
	s_mov_b32 s8, 0x3bffffff
	v_cmp_lt_u32_e32 vcc, s8, v5
	s_mov_b64 s[8:9], 0
                                        ; implicit-def: $vgpr5
	s_and_saveexec_b64 s[10:11], vcc
	s_xor_b64 s[10:11], exec, s[10:11]
	s_cbranch_execz .LBB15_2166
; %bb.2118:
	v_bfe_u32 v5, v4, 20, 1
	s_mov_b32 s12, 0x487ffff
	v_add3_u32 v5, v4, v5, s12
	s_mov_b64 s[8:9], exec
	v_lshrrev_b32_e32 v5, 20, v5
	s_or_saveexec_b64 s[10:11], s[10:11]
                                        ; implicit-def: $sgpr12
	s_xor_b64 exec, exec, s[10:11]
	s_cbranch_execnz .LBB15_2167
.LBB15_2119:
	s_or_b64 exec, exec, s[10:11]
	v_mov_b32_e32 v6, s12
	s_and_saveexec_b64 s[10:11], s[8:9]
.LBB15_2120:
	v_lshrrev_b32_e32 v4, 24, v4
	s_movk_i32 s8, 0x80
	v_and_or_b32 v6, v4, s8, v5
.LBB15_2121:
	s_or_b64 exec, exec, s[10:11]
.LBB15_2122:
	s_or_b64 exec, exec, s[6:7]
	global_store_byte v[0:1], v6, off
.LBB15_2123:
	s_mov_b64 s[6:7], 0
.LBB15_2124:
	s_and_b64 vcc, exec, s[6:7]
	s_cbranch_vccz .LBB15_2164
; %bb.2125:
	v_cmp_gt_i16_e64 s[6:7], s16, 22
	s_mov_b64 s[4:5], -1
	s_and_b64 vcc, exec, s[6:7]
	s_cbranch_vccz .LBB15_2157
; %bb.2126:
	v_cmp_lt_i16_e64 s[6:7], s16, 24
	s_and_b64 vcc, exec, s[6:7]
	s_cbranch_vccnz .LBB15_2146
; %bb.2127:
	v_cmp_gt_i16_e64 s[6:7], s16, 24
	s_and_b64 vcc, exec, s[6:7]
	s_cbranch_vccz .LBB15_2135
; %bb.2128:
	v_cvt_f32_f16_e32 v4, v2
	s_mov_b32 s4, 0x47800000
	v_mov_b32_e32 v6, 0x80
	v_and_b32_e32 v5, 0x7fffffff, v4
	v_cmp_gt_u32_e32 vcc, s4, v5
	s_and_saveexec_b64 s[4:5], vcc
	s_cbranch_execz .LBB15_2134
; %bb.2129:
	s_mov_b32 s6, 0x37ffffff
	v_cmp_lt_u32_e32 vcc, s6, v5
	s_mov_b64 s[6:7], 0
                                        ; implicit-def: $vgpr5
	s_and_saveexec_b64 s[8:9], vcc
	s_xor_b64 s[8:9], exec, s[8:9]
	s_cbranch_execz .LBB15_2169
; %bb.2130:
	v_bfe_u32 v5, v4, 21, 1
	s_mov_b32 s10, 0x88fffff
	v_add3_u32 v5, v4, v5, s10
	s_mov_b64 s[6:7], exec
	v_lshrrev_b32_e32 v5, 21, v5
	s_or_saveexec_b64 s[8:9], s[8:9]
                                        ; implicit-def: $sgpr10
	s_xor_b64 exec, exec, s[8:9]
	s_cbranch_execnz .LBB15_2170
.LBB15_2131:
	s_or_b64 exec, exec, s[8:9]
	v_mov_b32_e32 v6, s10
	s_and_saveexec_b64 s[8:9], s[6:7]
.LBB15_2132:
	v_lshrrev_b32_e32 v4, 24, v4
	s_movk_i32 s6, 0x80
	v_and_or_b32 v6, v4, s6, v5
.LBB15_2133:
	s_or_b64 exec, exec, s[8:9]
.LBB15_2134:
	s_or_b64 exec, exec, s[4:5]
	s_mov_b64 s[4:5], 0
	global_store_byte v[0:1], v6, off
.LBB15_2135:
	s_and_b64 vcc, exec, s[4:5]
	s_cbranch_vccz .LBB15_2145
; %bb.2136:
	v_cvt_f32_f16_e32 v4, v2
	s_mov_b32 s4, 0x43f00000
                                        ; implicit-def: $vgpr5
	v_and_b32_e32 v6, 0x7fffffff, v4
	v_cmp_gt_u32_e32 vcc, s4, v6
	s_and_saveexec_b64 s[4:5], vcc
	s_xor_b64 s[4:5], exec, s[4:5]
	s_cbranch_execz .LBB15_2142
; %bb.2137:
	s_mov_b32 s6, 0x3c7fffff
	v_cmp_lt_u32_e32 vcc, s6, v6
                                        ; implicit-def: $vgpr5
	s_and_saveexec_b64 s[6:7], vcc
	s_xor_b64 s[6:7], exec, s[6:7]
; %bb.2138:
	v_bfe_u32 v5, v4, 20, 1
	s_mov_b32 s8, 0x407ffff
	v_add3_u32 v5, v4, v5, s8
	v_lshrrev_b32_e32 v6, 20, v5
	v_and_b32_e32 v5, 0xff00000, v5
	s_mov_b32 s8, 0x7f00000
	v_mov_b32_e32 v7, 0x7e
	v_cmp_ne_u32_e32 vcc, s8, v5
	v_cndmask_b32_e32 v5, v7, v6, vcc
; %bb.2139:
	s_andn2_saveexec_b64 s[6:7], s[6:7]
; %bb.2140:
	s_mov_b32 s8, 0x46800000
	v_add_f32_e64 v5, |v4|, s8
; %bb.2141:
	s_or_b64 exec, exec, s[6:7]
                                        ; implicit-def: $vgpr6
.LBB15_2142:
	s_andn2_saveexec_b64 s[4:5], s[4:5]
; %bb.2143:
	s_mov_b32 s6, 0x7f800000
	v_mov_b32_e32 v5, 0x7e
	v_mov_b32_e32 v7, 0x7f
	v_cmp_lt_u32_e32 vcc, s6, v6
	v_cndmask_b32_e32 v5, v5, v7, vcc
; %bb.2144:
	s_or_b64 exec, exec, s[4:5]
	v_lshrrev_b32_e32 v4, 24, v4
	s_movk_i32 s4, 0x80
	v_and_or_b32 v4, v4, s4, v5
	global_store_byte v[0:1], v4, off
.LBB15_2145:
	s_mov_b64 s[4:5], 0
.LBB15_2146:
	s_andn2_b64 vcc, exec, s[4:5]
	s_cbranch_vccnz .LBB15_2156
; %bb.2147:
	v_cvt_f32_f16_e32 v4, v2
	s_mov_b32 s4, 0x47800000
                                        ; implicit-def: $vgpr5
	v_and_b32_e32 v6, 0x7fffffff, v4
	v_cmp_gt_u32_e32 vcc, s4, v6
	s_and_saveexec_b64 s[4:5], vcc
	s_xor_b64 s[4:5], exec, s[4:5]
	s_cbranch_execz .LBB15_2153
; %bb.2148:
	s_mov_b32 s6, 0x387fffff
	v_cmp_lt_u32_e32 vcc, s6, v6
                                        ; implicit-def: $vgpr5
	s_and_saveexec_b64 s[6:7], vcc
	s_xor_b64 s[6:7], exec, s[6:7]
; %bb.2149:
	v_bfe_u32 v5, v4, 21, 1
	s_mov_b32 s8, 0x80fffff
	v_add3_u32 v5, v4, v5, s8
	v_lshrrev_b32_e32 v5, 21, v5
; %bb.2150:
	s_andn2_saveexec_b64 s[6:7], s[6:7]
; %bb.2151:
	s_mov_b32 s8, 0x43000000
	v_add_f32_e64 v5, |v4|, s8
; %bb.2152:
	s_or_b64 exec, exec, s[6:7]
                                        ; implicit-def: $vgpr6
.LBB15_2153:
	s_andn2_saveexec_b64 s[4:5], s[4:5]
; %bb.2154:
	s_mov_b32 s6, 0x7f800000
	v_mov_b32_e32 v5, 0x7c
	v_mov_b32_e32 v7, 0x7f
	v_cmp_lt_u32_e32 vcc, s6, v6
	v_cndmask_b32_e32 v5, v5, v7, vcc
; %bb.2155:
	s_or_b64 exec, exec, s[4:5]
	v_lshrrev_b32_e32 v4, 24, v4
	s_movk_i32 s4, 0x80
	v_and_or_b32 v4, v4, s4, v5
	global_store_byte v[0:1], v4, off
.LBB15_2156:
	s_mov_b64 s[4:5], 0
.LBB15_2157:
	s_andn2_b64 vcc, exec, s[4:5]
	s_mov_b64 s[4:5], 0
	s_cbranch_vccnz .LBB15_2164
; %bb.2158:
	v_cmp_gt_i16_e64 s[4:5], s16, 14
	s_mov_b64 s[6:7], -1
	s_and_b64 vcc, exec, s[4:5]
	s_cbranch_vccz .LBB15_2162
; %bb.2159:
	v_cmp_eq_u16_e64 s[4:5], s16, 15
	s_mov_b64 s[0:1], -1
	s_and_b64 vcc, exec, s[4:5]
	s_cbranch_vccz .LBB15_2161
; %bb.2160:
	v_cvt_f32_f16_e32 v4, v2
	s_movk_i32 s0, 0x7fff
	v_mov_b32_e32 v5, 0x7fc0
	v_cmp_o_f16_e32 vcc, v2, v2
	v_bfe_u32 v6, v4, 16, 1
	v_add3_u32 v4, v4, v6, s0
	v_lshrrev_b32_e32 v4, 16, v4
	v_cndmask_b32_e32 v4, v5, v4, vcc
	global_store_short v[0:1], v4, off
	s_mov_b64 s[0:1], 0
.LBB15_2161:
	s_mov_b64 s[6:7], 0
.LBB15_2162:
	s_mov_b64 s[4:5], 0
	s_and_b64 vcc, exec, s[6:7]
	s_cbranch_vccz .LBB15_2164
; %bb.2163:
	v_cmp_ne_u16_e64 s[0:1], s16, 11
	s_mov_b64 s[4:5], -1
.LBB15_2164:
	s_and_b64 vcc, exec, s[0:1]
	s_cbranch_vccnz .LBB15_2168
.LBB15_2165:
	s_mov_b64 s[0:1], 0
	s_branch .LBB15_2045
.LBB15_2166:
	s_or_saveexec_b64 s[10:11], s[10:11]
                                        ; implicit-def: $sgpr12
	s_xor_b64 exec, exec, s[10:11]
	s_cbranch_execz .LBB15_2119
.LBB15_2167:
	s_mov_b32 s12, 0x46000000
	v_add_f32_e64 v5, |v4|, s12
	v_and_b32_e32 v5, 0xff, v5
	v_cmp_ne_u32_e32 vcc, 0, v5
	s_andn2_b64 s[8:9], s[8:9], exec
	s_and_b64 s[14:15], vcc, exec
	s_mov_b32 s12, 0
	s_or_b64 s[8:9], s[8:9], s[14:15]
	s_or_b64 exec, exec, s[10:11]
	v_mov_b32_e32 v6, s12
	s_and_saveexec_b64 s[10:11], s[8:9]
	s_cbranch_execnz .LBB15_2120
	s_branch .LBB15_2121
.LBB15_2168:
	s_mov_b64 s[4:5], 0
	s_or_b64 s[2:3], s[2:3], exec
	s_trap 2
	s_branch .LBB15_2165
.LBB15_2169:
	s_or_saveexec_b64 s[8:9], s[8:9]
                                        ; implicit-def: $sgpr10
	s_xor_b64 exec, exec, s[8:9]
	s_cbranch_execz .LBB15_2131
.LBB15_2170:
	s_mov_b32 s10, 0x42800000
	v_add_f32_e64 v5, |v4|, s10
	v_and_b32_e32 v5, 0xff, v5
	v_cmp_ne_u32_e32 vcc, 0, v5
	s_andn2_b64 s[6:7], s[6:7], exec
	s_and_b64 s[12:13], vcc, exec
	s_mov_b32 s10, 0
	s_or_b64 s[6:7], s[6:7], s[12:13]
	s_or_b64 exec, exec, s[8:9]
	v_mov_b32_e32 v6, s10
	s_and_saveexec_b64 s[8:9], s[6:7]
	s_cbranch_execnz .LBB15_2132
	s_branch .LBB15_2133
	.section	.rodata,"a",@progbits
	.p2align	6, 0x0
	.amdhsa_kernel _ZN2at6native32elementwise_kernel_manual_unrollILi128ELi4EZNS0_15gpu_kernel_implINS0_13BUnaryFunctorIN3c104HalfES5_S5_ZNS0_20copysign_kernel_cudaERNS_18TensorIteratorBaseEEUlS5_S5_E_EEEEvS7_RKT_EUlibE0_EEviT1_
		.amdhsa_group_segment_fixed_size 0
		.amdhsa_private_segment_fixed_size 0
		.amdhsa_kernarg_size 360
		.amdhsa_user_sgpr_count 6
		.amdhsa_user_sgpr_private_segment_buffer 1
		.amdhsa_user_sgpr_dispatch_ptr 0
		.amdhsa_user_sgpr_queue_ptr 0
		.amdhsa_user_sgpr_kernarg_segment_ptr 1
		.amdhsa_user_sgpr_dispatch_id 0
		.amdhsa_user_sgpr_flat_scratch_init 0
		.amdhsa_user_sgpr_kernarg_preload_length 0
		.amdhsa_user_sgpr_kernarg_preload_offset 0
		.amdhsa_user_sgpr_private_segment_size 0
		.amdhsa_uses_dynamic_stack 0
		.amdhsa_system_sgpr_private_segment_wavefront_offset 0
		.amdhsa_system_sgpr_workgroup_id_x 1
		.amdhsa_system_sgpr_workgroup_id_y 0
		.amdhsa_system_sgpr_workgroup_id_z 0
		.amdhsa_system_sgpr_workgroup_info 0
		.amdhsa_system_vgpr_workitem_id 0
		.amdhsa_next_free_vgpr 18
		.amdhsa_next_free_sgpr 77
		.amdhsa_accum_offset 20
		.amdhsa_reserve_vcc 1
		.amdhsa_reserve_flat_scratch 0
		.amdhsa_float_round_mode_32 0
		.amdhsa_float_round_mode_16_64 0
		.amdhsa_float_denorm_mode_32 3
		.amdhsa_float_denorm_mode_16_64 3
		.amdhsa_dx10_clamp 1
		.amdhsa_ieee_mode 1
		.amdhsa_fp16_overflow 0
		.amdhsa_tg_split 0
		.amdhsa_exception_fp_ieee_invalid_op 0
		.amdhsa_exception_fp_denorm_src 0
		.amdhsa_exception_fp_ieee_div_zero 0
		.amdhsa_exception_fp_ieee_overflow 0
		.amdhsa_exception_fp_ieee_underflow 0
		.amdhsa_exception_fp_ieee_inexact 0
		.amdhsa_exception_int_div_zero 0
	.end_amdhsa_kernel
	.section	.text._ZN2at6native32elementwise_kernel_manual_unrollILi128ELi4EZNS0_15gpu_kernel_implINS0_13BUnaryFunctorIN3c104HalfES5_S5_ZNS0_20copysign_kernel_cudaERNS_18TensorIteratorBaseEEUlS5_S5_E_EEEEvS7_RKT_EUlibE0_EEviT1_,"axG",@progbits,_ZN2at6native32elementwise_kernel_manual_unrollILi128ELi4EZNS0_15gpu_kernel_implINS0_13BUnaryFunctorIN3c104HalfES5_S5_ZNS0_20copysign_kernel_cudaERNS_18TensorIteratorBaseEEUlS5_S5_E_EEEEvS7_RKT_EUlibE0_EEviT1_,comdat
.Lfunc_end15:
	.size	_ZN2at6native32elementwise_kernel_manual_unrollILi128ELi4EZNS0_15gpu_kernel_implINS0_13BUnaryFunctorIN3c104HalfES5_S5_ZNS0_20copysign_kernel_cudaERNS_18TensorIteratorBaseEEUlS5_S5_E_EEEEvS7_RKT_EUlibE0_EEviT1_, .Lfunc_end15-_ZN2at6native32elementwise_kernel_manual_unrollILi128ELi4EZNS0_15gpu_kernel_implINS0_13BUnaryFunctorIN3c104HalfES5_S5_ZNS0_20copysign_kernel_cudaERNS_18TensorIteratorBaseEEUlS5_S5_E_EEEEvS7_RKT_EUlibE0_EEviT1_
                                        ; -- End function
	.section	.AMDGPU.csdata,"",@progbits
; Kernel info:
; codeLenInByte = 40424
; NumSgprs: 81
; NumVgprs: 18
; NumAgprs: 0
; TotalNumVgprs: 18
; ScratchSize: 0
; MemoryBound: 0
; FloatMode: 240
; IeeeMode: 1
; LDSByteSize: 0 bytes/workgroup (compile time only)
; SGPRBlocks: 10
; VGPRBlocks: 2
; NumSGPRsForWavesPerEU: 81
; NumVGPRsForWavesPerEU: 18
; AccumOffset: 20
; Occupancy: 8
; WaveLimiterHint : 1
; COMPUTE_PGM_RSRC2:SCRATCH_EN: 0
; COMPUTE_PGM_RSRC2:USER_SGPR: 6
; COMPUTE_PGM_RSRC2:TRAP_HANDLER: 0
; COMPUTE_PGM_RSRC2:TGID_X_EN: 1
; COMPUTE_PGM_RSRC2:TGID_Y_EN: 0
; COMPUTE_PGM_RSRC2:TGID_Z_EN: 0
; COMPUTE_PGM_RSRC2:TIDIG_COMP_CNT: 0
; COMPUTE_PGM_RSRC3_GFX90A:ACCUM_OFFSET: 4
; COMPUTE_PGM_RSRC3_GFX90A:TG_SPLIT: 0
	.section	.text._ZN2at6native29vectorized_elementwise_kernelILi16ENS0_13BinaryFunctorIN3c104HalfES4_S4_ZNS0_20copysign_kernel_cudaERNS_18TensorIteratorBaseEEUlS4_S4_E_EESt5arrayIPcLm3EEEEviT0_T1_,"axG",@progbits,_ZN2at6native29vectorized_elementwise_kernelILi16ENS0_13BinaryFunctorIN3c104HalfES4_S4_ZNS0_20copysign_kernel_cudaERNS_18TensorIteratorBaseEEUlS4_S4_E_EESt5arrayIPcLm3EEEEviT0_T1_,comdat
	.globl	_ZN2at6native29vectorized_elementwise_kernelILi16ENS0_13BinaryFunctorIN3c104HalfES4_S4_ZNS0_20copysign_kernel_cudaERNS_18TensorIteratorBaseEEUlS4_S4_E_EESt5arrayIPcLm3EEEEviT0_T1_ ; -- Begin function _ZN2at6native29vectorized_elementwise_kernelILi16ENS0_13BinaryFunctorIN3c104HalfES4_S4_ZNS0_20copysign_kernel_cudaERNS_18TensorIteratorBaseEEUlS4_S4_E_EESt5arrayIPcLm3EEEEviT0_T1_
	.p2align	8
	.type	_ZN2at6native29vectorized_elementwise_kernelILi16ENS0_13BinaryFunctorIN3c104HalfES4_S4_ZNS0_20copysign_kernel_cudaERNS_18TensorIteratorBaseEEUlS4_S4_E_EESt5arrayIPcLm3EEEEviT0_T1_,@function
_ZN2at6native29vectorized_elementwise_kernelILi16ENS0_13BinaryFunctorIN3c104HalfES4_S4_ZNS0_20copysign_kernel_cudaERNS_18TensorIteratorBaseEEUlS4_S4_E_EESt5arrayIPcLm3EEEEviT0_T1_: ; @_ZN2at6native29vectorized_elementwise_kernelILi16ENS0_13BinaryFunctorIN3c104HalfES4_S4_ZNS0_20copysign_kernel_cudaERNS_18TensorIteratorBaseEEUlS4_S4_E_EESt5arrayIPcLm3EEEEviT0_T1_
; %bb.0:
	s_load_dword s0, s[4:5], 0x0
	s_load_dwordx4 s[8:11], s[4:5], 0x8
	s_load_dwordx2 s[12:13], s[4:5], 0x18
	s_lshl_b32 s2, s6, 11
	s_waitcnt lgkmcnt(0)
	s_sub_i32 s6, s0, s2
	s_cmpk_gt_i32 s6, 0x7ff
	s_mov_b64 s[0:1], -1
	s_cbranch_scc0 .LBB16_2
; %bb.1:
	s_ashr_i32 s3, s2, 31
	s_lshl_b64 s[0:1], s[2:3], 1
	s_add_u32 s4, s10, s0
	s_addc_u32 s5, s11, s1
	v_lshlrev_b32_e32 v1, 4, v0
	global_load_dwordx4 v[2:5], v1, s[4:5]
	s_add_u32 s4, s12, s0
	s_addc_u32 s5, s13, s1
	global_load_dwordx4 v[6:9], v1, s[4:5]
	s_movk_i32 s3, 0x7fff
	s_movk_i32 s4, 0x8000
	s_mov_b32 s5, 0x5040100
	s_add_u32 s0, s8, s0
	s_addc_u32 s1, s9, s1
	s_waitcnt vmcnt(1)
	v_and_b32_sdwa v10, v3, s3 dst_sel:DWORD dst_unused:UNUSED_PAD src0_sel:WORD_1 src1_sel:DWORD
	v_and_b32_e32 v3, 0x7fff, v3
	v_and_b32_sdwa v11, v2, s3 dst_sel:DWORD dst_unused:UNUSED_PAD src0_sel:WORD_1 src1_sel:DWORD
	v_and_b32_e32 v2, 0x7fff, v2
	;; [unrolled: 2-line block ×4, first 2 shown]
	s_waitcnt vmcnt(0)
	v_and_b32_sdwa v14, v7, s4 dst_sel:DWORD dst_unused:UNUSED_PAD src0_sel:WORD_1 src1_sel:DWORD
	v_and_b32_e32 v7, 0xffff8000, v7
	v_and_b32_sdwa v15, v6, s4 dst_sel:DWORD dst_unused:UNUSED_PAD src0_sel:WORD_1 src1_sel:DWORD
	v_and_b32_e32 v6, 0xffff8000, v6
	;; [unrolled: 2-line block ×4, first 2 shown]
	v_or_b32_e32 v2, v6, v2
	v_or_b32_e32 v6, v15, v11
	;; [unrolled: 1-line block ×8, first 2 shown]
	v_perm_b32 v5, v9, v5, s5
	v_perm_b32 v4, v8, v4, s5
	;; [unrolled: 1-line block ×4, first 2 shown]
	global_store_dwordx4 v1, v[2:5], s[0:1]
	s_mov_b64 s[0:1], 0
.LBB16_2:
	s_andn2_b64 vcc, exec, s[0:1]
	s_cbranch_vccnz .LBB16_26
; %bb.3:
	v_cmp_gt_i32_e32 vcc, s6, v0
	v_mov_b32_e32 v1, 0
	v_or_b32_e32 v2, s2, v0
	v_mov_b32_e32 v3, 0
	v_mov_b32_e32 v4, 0
	v_mov_b32_e32 v11, v0
	s_and_saveexec_b64 s[4:5], vcc
	s_cbranch_execz .LBB16_5
; %bb.4:
	v_mov_b32_e32 v3, 0
	v_lshlrev_b64 v[4:5], 1, v[2:3]
	v_mov_b32_e32 v3, s13
	v_add_co_u32_e64 v6, s[0:1], s12, v4
	v_addc_co_u32_e64 v7, s[0:1], v3, v5, s[0:1]
	v_mov_b32_e32 v3, s11
	v_add_co_u32_e64 v4, s[0:1], s10, v4
	v_addc_co_u32_e64 v5, s[0:1], v3, v5, s[0:1]
	global_load_ushort v3, v[4:5], off
	global_load_ushort v8, v[6:7], off
	v_or_b32_e32 v11, 0x100, v0
	s_waitcnt vmcnt(1)
	v_and_b32_e32 v3, 0x7fff, v3
	s_waitcnt vmcnt(0)
	v_and_b32_e32 v4, 0xffff8000, v8
.LBB16_5:
	s_or_b64 exec, exec, s[4:5]
	v_cmp_gt_i32_e64 s[0:1], s6, v11
	v_mov_b32_e32 v6, 0
	s_and_saveexec_b64 s[4:5], s[0:1]
	s_cbranch_execz .LBB16_7
; %bb.6:
	v_add_u32_e32 v6, s2, v11
	v_mov_b32_e32 v7, 0
	v_lshlrev_b64 v[6:7], 1, v[6:7]
	v_mov_b32_e32 v1, s13
	v_add_co_u32_e64 v8, s[0:1], s12, v6
	v_addc_co_u32_e64 v9, s[0:1], v1, v7, s[0:1]
	v_mov_b32_e32 v1, s11
	v_add_co_u32_e64 v6, s[0:1], s10, v6
	v_addc_co_u32_e64 v7, s[0:1], v1, v7, s[0:1]
	global_load_ushort v1, v[6:7], off
	global_load_ushort v5, v[8:9], off
	v_add_u32_e32 v11, 0x100, v11
	s_waitcnt vmcnt(1)
	v_and_b32_e32 v1, 0x7fff, v1
	s_waitcnt vmcnt(0)
	v_and_b32_e32 v6, 0xffff8000, v5
.LBB16_7:
	s_or_b64 exec, exec, s[4:5]
	v_cmp_gt_i32_e64 s[0:1], s6, v11
	v_mov_b32_e32 v5, 0
	v_mov_b32_e32 v7, 0
	;; [unrolled: 1-line block ×3, first 2 shown]
	s_and_saveexec_b64 s[4:5], s[0:1]
	s_cbranch_execz .LBB16_9
; %bb.8:
	v_add_u32_e32 v8, s2, v11
	v_mov_b32_e32 v9, 0
	v_lshlrev_b64 v[8:9], 1, v[8:9]
	v_mov_b32_e32 v7, s13
	v_add_co_u32_e64 v12, s[0:1], s12, v8
	v_addc_co_u32_e64 v13, s[0:1], v7, v9, s[0:1]
	v_mov_b32_e32 v7, s11
	v_add_co_u32_e64 v8, s[0:1], s10, v8
	v_addc_co_u32_e64 v9, s[0:1], v7, v9, s[0:1]
	global_load_ushort v7, v[8:9], off
	global_load_ushort v10, v[12:13], off
	v_add_u32_e32 v11, 0x100, v11
	s_waitcnt vmcnt(1)
	v_and_b32_e32 v7, 0x7fff, v7
	s_waitcnt vmcnt(0)
	v_and_b32_e32 v8, 0xffff8000, v10
.LBB16_9:
	s_or_b64 exec, exec, s[4:5]
	v_cmp_gt_i32_e64 s[0:1], s6, v11
	v_mov_b32_e32 v10, 0
	s_and_saveexec_b64 s[4:5], s[0:1]
	s_cbranch_execz .LBB16_11
; %bb.10:
	v_add_u32_e32 v12, s2, v11
	v_mov_b32_e32 v13, 0
	v_lshlrev_b64 v[12:13], 1, v[12:13]
	v_mov_b32_e32 v5, s13
	v_add_co_u32_e64 v14, s[0:1], s12, v12
	v_addc_co_u32_e64 v15, s[0:1], v5, v13, s[0:1]
	v_mov_b32_e32 v5, s11
	v_add_co_u32_e64 v12, s[0:1], s10, v12
	v_addc_co_u32_e64 v13, s[0:1], v5, v13, s[0:1]
	global_load_ushort v5, v[12:13], off
	global_load_ushort v9, v[14:15], off
	v_add_u32_e32 v11, 0x100, v11
	s_waitcnt vmcnt(1)
	v_and_b32_e32 v5, 0x7fff, v5
	s_waitcnt vmcnt(0)
	v_and_b32_e32 v10, 0xffff8000, v9
.LBB16_11:
	s_or_b64 exec, exec, s[4:5]
	v_cmp_gt_i32_e64 s[0:1], s6, v11
	v_mov_b32_e32 v9, 0
	v_mov_b32_e32 v13, 0
	;; [unrolled: 1-line block ×3, first 2 shown]
	s_and_saveexec_b64 s[4:5], s[0:1]
	s_cbranch_execz .LBB16_13
; %bb.12:
	v_add_u32_e32 v12, s2, v11
	v_mov_b32_e32 v13, 0
	v_lshlrev_b64 v[12:13], 1, v[12:13]
	v_mov_b32_e32 v15, s13
	v_add_co_u32_e64 v14, s[0:1], s12, v12
	v_addc_co_u32_e64 v15, s[0:1], v15, v13, s[0:1]
	v_mov_b32_e32 v16, s11
	v_add_co_u32_e64 v12, s[0:1], s10, v12
	v_addc_co_u32_e64 v13, s[0:1], v16, v13, s[0:1]
	global_load_ushort v16, v[12:13], off
	global_load_ushort v17, v[14:15], off
	v_add_u32_e32 v11, 0x100, v11
	s_waitcnt vmcnt(1)
	v_and_b32_e32 v13, 0x7fff, v16
	s_waitcnt vmcnt(0)
	v_and_b32_e32 v14, 0xffff8000, v17
.LBB16_13:
	s_or_b64 exec, exec, s[4:5]
	v_cmp_gt_i32_e64 s[0:1], s6, v11
	v_mov_b32_e32 v15, 0
	s_and_saveexec_b64 s[4:5], s[0:1]
	s_cbranch_execz .LBB16_15
; %bb.14:
	v_add_u32_e32 v16, s2, v11
	v_mov_b32_e32 v17, 0
	v_lshlrev_b64 v[16:17], 1, v[16:17]
	v_mov_b32_e32 v9, s13
	v_add_co_u32_e64 v18, s[0:1], s12, v16
	v_addc_co_u32_e64 v19, s[0:1], v9, v17, s[0:1]
	v_mov_b32_e32 v9, s11
	v_add_co_u32_e64 v16, s[0:1], s10, v16
	v_addc_co_u32_e64 v17, s[0:1], v9, v17, s[0:1]
	global_load_ushort v9, v[16:17], off
	global_load_ushort v12, v[18:19], off
	v_add_u32_e32 v11, 0x100, v11
	s_waitcnt vmcnt(1)
	v_and_b32_e32 v9, 0x7fff, v9
	s_waitcnt vmcnt(0)
	v_and_b32_e32 v15, 0xffff8000, v12
.LBB16_15:
	s_or_b64 exec, exec, s[4:5]
	v_cmp_gt_i32_e64 s[0:1], s6, v11
	v_mov_b32_e32 v12, 0
	v_mov_b32_e32 v16, 0
	;; [unrolled: 1-line block ×3, first 2 shown]
	s_and_saveexec_b64 s[4:5], s[0:1]
	s_cbranch_execnz .LBB16_27
; %bb.16:
	s_or_b64 exec, exec, s[4:5]
	v_cmp_gt_i32_e64 s[0:1], s6, v11
	s_and_saveexec_b64 s[4:5], s[0:1]
	s_cbranch_execnz .LBB16_28
.LBB16_17:
	s_or_b64 exec, exec, s[4:5]
	s_and_saveexec_b64 s[0:1], vcc
	s_cbranch_execnz .LBB16_29
.LBB16_18:
	s_or_b64 exec, exec, s[0:1]
	v_cmp_gt_i32_e32 vcc, s6, v0
	s_and_saveexec_b64 s[0:1], vcc
	s_cbranch_execnz .LBB16_30
.LBB16_19:
	s_or_b64 exec, exec, s[0:1]
	v_cmp_gt_i32_e32 vcc, s6, v0
	s_and_saveexec_b64 s[0:1], vcc
	s_cbranch_execnz .LBB16_31
.LBB16_20:
	s_or_b64 exec, exec, s[0:1]
	v_cmp_gt_i32_e32 vcc, s6, v0
	s_and_saveexec_b64 s[0:1], vcc
	s_cbranch_execnz .LBB16_32
.LBB16_21:
	s_or_b64 exec, exec, s[0:1]
	v_cmp_gt_i32_e32 vcc, s6, v0
	s_and_saveexec_b64 s[0:1], vcc
	s_cbranch_execnz .LBB16_33
.LBB16_22:
	s_or_b64 exec, exec, s[0:1]
	v_cmp_gt_i32_e32 vcc, s6, v0
	s_and_saveexec_b64 s[0:1], vcc
	s_cbranch_execnz .LBB16_34
.LBB16_23:
	s_or_b64 exec, exec, s[0:1]
	v_cmp_gt_i32_e32 vcc, s6, v0
	s_and_saveexec_b64 s[0:1], vcc
	s_cbranch_execnz .LBB16_35
.LBB16_24:
	s_or_b64 exec, exec, s[0:1]
	v_cmp_gt_i32_e32 vcc, s6, v0
	s_and_saveexec_b64 s[0:1], vcc
	s_cbranch_execz .LBB16_26
.LBB16_25:
	v_add_u32_e32 v0, s2, v0
	v_mov_b32_e32 v1, 0
	v_lshlrev_b64 v[0:1], 1, v[0:1]
	v_mov_b32_e32 v2, s9
	v_add_co_u32_e32 v0, vcc, s8, v0
	v_addc_co_u32_e32 v1, vcc, v2, v1, vcc
	global_store_short v[0:1], v12, off
.LBB16_26:
	s_endpgm
.LBB16_27:
	v_add_u32_e32 v16, s2, v11
	v_mov_b32_e32 v17, 0
	v_lshlrev_b64 v[16:17], 1, v[16:17]
	v_mov_b32_e32 v19, s13
	v_add_co_u32_e64 v18, s[0:1], s12, v16
	v_addc_co_u32_e64 v19, s[0:1], v19, v17, s[0:1]
	v_mov_b32_e32 v20, s11
	v_add_co_u32_e64 v16, s[0:1], s10, v16
	v_addc_co_u32_e64 v17, s[0:1], v20, v17, s[0:1]
	global_load_ushort v20, v[16:17], off
	global_load_ushort v21, v[18:19], off
	v_add_u32_e32 v11, 0x100, v11
	s_waitcnt vmcnt(1)
	v_and_b32_e32 v16, 0x7fff, v20
	s_waitcnt vmcnt(0)
	v_and_b32_e32 v17, 0xffff8000, v21
	s_or_b64 exec, exec, s[4:5]
	v_cmp_gt_i32_e64 s[0:1], s6, v11
	s_and_saveexec_b64 s[4:5], s[0:1]
	s_cbranch_execz .LBB16_17
.LBB16_28:
	v_add_u32_e32 v18, s2, v11
	v_mov_b32_e32 v19, 0
	v_lshlrev_b64 v[18:19], 1, v[18:19]
	v_mov_b32_e32 v11, s13
	v_add_co_u32_e64 v20, s[0:1], s12, v18
	v_addc_co_u32_e64 v21, s[0:1], v11, v19, s[0:1]
	v_mov_b32_e32 v11, s11
	v_add_co_u32_e64 v18, s[0:1], s10, v18
	v_addc_co_u32_e64 v19, s[0:1], v11, v19, s[0:1]
	global_load_ushort v11, v[18:19], off
	global_load_ushort v12, v[20:21], off
	s_waitcnt vmcnt(1)
	v_and_b32_e32 v11, 0x7fff, v11
	s_waitcnt vmcnt(0)
	v_and_b32_e32 v12, 0xffff8000, v12
	v_or_b32_e32 v12, v12, v11
	s_or_b64 exec, exec, s[4:5]
	s_and_saveexec_b64 s[0:1], vcc
	s_cbranch_execz .LBB16_18
.LBB16_29:
	v_or_b32_e32 v4, v4, v3
	v_mov_b32_e32 v3, 0
	v_lshlrev_b64 v[2:3], 1, v[2:3]
	v_mov_b32_e32 v11, s9
	v_add_co_u32_e32 v2, vcc, s8, v2
	v_or_b32_e32 v0, 0x100, v0
	v_addc_co_u32_e32 v3, vcc, v11, v3, vcc
	global_store_short v[2:3], v4, off
	s_or_b64 exec, exec, s[0:1]
	v_cmp_gt_i32_e32 vcc, s6, v0
	s_and_saveexec_b64 s[0:1], vcc
	s_cbranch_execz .LBB16_19
.LBB16_30:
	v_add_u32_e32 v2, s2, v0
	v_mov_b32_e32 v3, 0
	v_lshlrev_b64 v[2:3], 1, v[2:3]
	v_mov_b32_e32 v4, s9
	v_add_co_u32_e32 v2, vcc, s8, v2
	v_or_b32_e32 v1, v6, v1
	v_addc_co_u32_e32 v3, vcc, v4, v3, vcc
	v_add_u32_e32 v0, 0x100, v0
	global_store_short v[2:3], v1, off
	s_or_b64 exec, exec, s[0:1]
	v_cmp_gt_i32_e32 vcc, s6, v0
	s_and_saveexec_b64 s[0:1], vcc
	s_cbranch_execz .LBB16_20
.LBB16_31:
	v_add_u32_e32 v2, s2, v0
	v_mov_b32_e32 v3, 0
	v_lshlrev_b64 v[2:3], 1, v[2:3]
	v_mov_b32_e32 v4, s9
	v_add_co_u32_e32 v2, vcc, s8, v2
	v_or_b32_e32 v1, v8, v7
	v_addc_co_u32_e32 v3, vcc, v4, v3, vcc
	v_add_u32_e32 v0, 0x100, v0
	global_store_short v[2:3], v1, off
	s_or_b64 exec, exec, s[0:1]
	v_cmp_gt_i32_e32 vcc, s6, v0
	s_and_saveexec_b64 s[0:1], vcc
	s_cbranch_execz .LBB16_21
.LBB16_32:
	v_add_u32_e32 v2, s2, v0
	v_mov_b32_e32 v3, 0
	v_lshlrev_b64 v[2:3], 1, v[2:3]
	v_mov_b32_e32 v4, s9
	v_add_co_u32_e32 v2, vcc, s8, v2
	v_or_b32_e32 v1, v10, v5
	v_addc_co_u32_e32 v3, vcc, v4, v3, vcc
	v_add_u32_e32 v0, 0x100, v0
	global_store_short v[2:3], v1, off
	s_or_b64 exec, exec, s[0:1]
	v_cmp_gt_i32_e32 vcc, s6, v0
	s_and_saveexec_b64 s[0:1], vcc
	s_cbranch_execz .LBB16_22
.LBB16_33:
	v_add_u32_e32 v2, s2, v0
	v_mov_b32_e32 v3, 0
	v_lshlrev_b64 v[2:3], 1, v[2:3]
	v_mov_b32_e32 v4, s9
	v_add_co_u32_e32 v2, vcc, s8, v2
	v_or_b32_e32 v1, v14, v13
	v_addc_co_u32_e32 v3, vcc, v4, v3, vcc
	v_add_u32_e32 v0, 0x100, v0
	global_store_short v[2:3], v1, off
	s_or_b64 exec, exec, s[0:1]
	v_cmp_gt_i32_e32 vcc, s6, v0
	s_and_saveexec_b64 s[0:1], vcc
	s_cbranch_execz .LBB16_23
.LBB16_34:
	v_add_u32_e32 v2, s2, v0
	v_mov_b32_e32 v3, 0
	v_lshlrev_b64 v[2:3], 1, v[2:3]
	v_mov_b32_e32 v4, s9
	v_add_co_u32_e32 v2, vcc, s8, v2
	v_or_b32_e32 v1, v15, v9
	v_addc_co_u32_e32 v3, vcc, v4, v3, vcc
	v_add_u32_e32 v0, 0x100, v0
	global_store_short v[2:3], v1, off
	s_or_b64 exec, exec, s[0:1]
	v_cmp_gt_i32_e32 vcc, s6, v0
	s_and_saveexec_b64 s[0:1], vcc
	s_cbranch_execz .LBB16_24
.LBB16_35:
	v_add_u32_e32 v2, s2, v0
	v_mov_b32_e32 v3, 0
	v_lshlrev_b64 v[2:3], 1, v[2:3]
	v_mov_b32_e32 v4, s9
	v_add_co_u32_e32 v2, vcc, s8, v2
	v_or_b32_e32 v1, v17, v16
	v_addc_co_u32_e32 v3, vcc, v4, v3, vcc
	v_add_u32_e32 v0, 0x100, v0
	global_store_short v[2:3], v1, off
	s_or_b64 exec, exec, s[0:1]
	v_cmp_gt_i32_e32 vcc, s6, v0
	s_and_saveexec_b64 s[0:1], vcc
	s_cbranch_execnz .LBB16_25
	s_branch .LBB16_26
	.section	.rodata,"a",@progbits
	.p2align	6, 0x0
	.amdhsa_kernel _ZN2at6native29vectorized_elementwise_kernelILi16ENS0_13BinaryFunctorIN3c104HalfES4_S4_ZNS0_20copysign_kernel_cudaERNS_18TensorIteratorBaseEEUlS4_S4_E_EESt5arrayIPcLm3EEEEviT0_T1_
		.amdhsa_group_segment_fixed_size 0
		.amdhsa_private_segment_fixed_size 0
		.amdhsa_kernarg_size 32
		.amdhsa_user_sgpr_count 6
		.amdhsa_user_sgpr_private_segment_buffer 1
		.amdhsa_user_sgpr_dispatch_ptr 0
		.amdhsa_user_sgpr_queue_ptr 0
		.amdhsa_user_sgpr_kernarg_segment_ptr 1
		.amdhsa_user_sgpr_dispatch_id 0
		.amdhsa_user_sgpr_flat_scratch_init 0
		.amdhsa_user_sgpr_kernarg_preload_length 0
		.amdhsa_user_sgpr_kernarg_preload_offset 0
		.amdhsa_user_sgpr_private_segment_size 0
		.amdhsa_uses_dynamic_stack 0
		.amdhsa_system_sgpr_private_segment_wavefront_offset 0
		.amdhsa_system_sgpr_workgroup_id_x 1
		.amdhsa_system_sgpr_workgroup_id_y 0
		.amdhsa_system_sgpr_workgroup_id_z 0
		.amdhsa_system_sgpr_workgroup_info 0
		.amdhsa_system_vgpr_workitem_id 0
		.amdhsa_next_free_vgpr 22
		.amdhsa_next_free_sgpr 14
		.amdhsa_accum_offset 24
		.amdhsa_reserve_vcc 1
		.amdhsa_reserve_flat_scratch 0
		.amdhsa_float_round_mode_32 0
		.amdhsa_float_round_mode_16_64 0
		.amdhsa_float_denorm_mode_32 3
		.amdhsa_float_denorm_mode_16_64 3
		.amdhsa_dx10_clamp 1
		.amdhsa_ieee_mode 1
		.amdhsa_fp16_overflow 0
		.amdhsa_tg_split 0
		.amdhsa_exception_fp_ieee_invalid_op 0
		.amdhsa_exception_fp_denorm_src 0
		.amdhsa_exception_fp_ieee_div_zero 0
		.amdhsa_exception_fp_ieee_overflow 0
		.amdhsa_exception_fp_ieee_underflow 0
		.amdhsa_exception_fp_ieee_inexact 0
		.amdhsa_exception_int_div_zero 0
	.end_amdhsa_kernel
	.section	.text._ZN2at6native29vectorized_elementwise_kernelILi16ENS0_13BinaryFunctorIN3c104HalfES4_S4_ZNS0_20copysign_kernel_cudaERNS_18TensorIteratorBaseEEUlS4_S4_E_EESt5arrayIPcLm3EEEEviT0_T1_,"axG",@progbits,_ZN2at6native29vectorized_elementwise_kernelILi16ENS0_13BinaryFunctorIN3c104HalfES4_S4_ZNS0_20copysign_kernel_cudaERNS_18TensorIteratorBaseEEUlS4_S4_E_EESt5arrayIPcLm3EEEEviT0_T1_,comdat
.Lfunc_end16:
	.size	_ZN2at6native29vectorized_elementwise_kernelILi16ENS0_13BinaryFunctorIN3c104HalfES4_S4_ZNS0_20copysign_kernel_cudaERNS_18TensorIteratorBaseEEUlS4_S4_E_EESt5arrayIPcLm3EEEEviT0_T1_, .Lfunc_end16-_ZN2at6native29vectorized_elementwise_kernelILi16ENS0_13BinaryFunctorIN3c104HalfES4_S4_ZNS0_20copysign_kernel_cudaERNS_18TensorIteratorBaseEEUlS4_S4_E_EESt5arrayIPcLm3EEEEviT0_T1_
                                        ; -- End function
	.section	.AMDGPU.csdata,"",@progbits
; Kernel info:
; codeLenInByte = 2024
; NumSgprs: 18
; NumVgprs: 22
; NumAgprs: 0
; TotalNumVgprs: 22
; ScratchSize: 0
; MemoryBound: 0
; FloatMode: 240
; IeeeMode: 1
; LDSByteSize: 0 bytes/workgroup (compile time only)
; SGPRBlocks: 2
; VGPRBlocks: 2
; NumSGPRsForWavesPerEU: 18
; NumVGPRsForWavesPerEU: 22
; AccumOffset: 24
; Occupancy: 8
; WaveLimiterHint : 0
; COMPUTE_PGM_RSRC2:SCRATCH_EN: 0
; COMPUTE_PGM_RSRC2:USER_SGPR: 6
; COMPUTE_PGM_RSRC2:TRAP_HANDLER: 0
; COMPUTE_PGM_RSRC2:TGID_X_EN: 1
; COMPUTE_PGM_RSRC2:TGID_Y_EN: 0
; COMPUTE_PGM_RSRC2:TGID_Z_EN: 0
; COMPUTE_PGM_RSRC2:TIDIG_COMP_CNT: 0
; COMPUTE_PGM_RSRC3_GFX90A:ACCUM_OFFSET: 5
; COMPUTE_PGM_RSRC3_GFX90A:TG_SPLIT: 0
	.section	.text._ZN2at6native29vectorized_elementwise_kernelILi8ENS0_13BinaryFunctorIN3c104HalfES4_S4_ZNS0_20copysign_kernel_cudaERNS_18TensorIteratorBaseEEUlS4_S4_E_EESt5arrayIPcLm3EEEEviT0_T1_,"axG",@progbits,_ZN2at6native29vectorized_elementwise_kernelILi8ENS0_13BinaryFunctorIN3c104HalfES4_S4_ZNS0_20copysign_kernel_cudaERNS_18TensorIteratorBaseEEUlS4_S4_E_EESt5arrayIPcLm3EEEEviT0_T1_,comdat
	.globl	_ZN2at6native29vectorized_elementwise_kernelILi8ENS0_13BinaryFunctorIN3c104HalfES4_S4_ZNS0_20copysign_kernel_cudaERNS_18TensorIteratorBaseEEUlS4_S4_E_EESt5arrayIPcLm3EEEEviT0_T1_ ; -- Begin function _ZN2at6native29vectorized_elementwise_kernelILi8ENS0_13BinaryFunctorIN3c104HalfES4_S4_ZNS0_20copysign_kernel_cudaERNS_18TensorIteratorBaseEEUlS4_S4_E_EESt5arrayIPcLm3EEEEviT0_T1_
	.p2align	8
	.type	_ZN2at6native29vectorized_elementwise_kernelILi8ENS0_13BinaryFunctorIN3c104HalfES4_S4_ZNS0_20copysign_kernel_cudaERNS_18TensorIteratorBaseEEUlS4_S4_E_EESt5arrayIPcLm3EEEEviT0_T1_,@function
_ZN2at6native29vectorized_elementwise_kernelILi8ENS0_13BinaryFunctorIN3c104HalfES4_S4_ZNS0_20copysign_kernel_cudaERNS_18TensorIteratorBaseEEUlS4_S4_E_EESt5arrayIPcLm3EEEEviT0_T1_: ; @_ZN2at6native29vectorized_elementwise_kernelILi8ENS0_13BinaryFunctorIN3c104HalfES4_S4_ZNS0_20copysign_kernel_cudaERNS_18TensorIteratorBaseEEUlS4_S4_E_EESt5arrayIPcLm3EEEEviT0_T1_
; %bb.0:
	s_load_dword s0, s[4:5], 0x0
	s_load_dwordx4 s[8:11], s[4:5], 0x8
	s_load_dwordx2 s[12:13], s[4:5], 0x18
	s_lshl_b32 s2, s6, 11
	s_waitcnt lgkmcnt(0)
	s_sub_i32 s6, s0, s2
	s_cmpk_gt_i32 s6, 0x7ff
	s_mov_b64 s[0:1], -1
	s_cbranch_scc0 .LBB17_2
; %bb.1:
	s_ashr_i32 s3, s2, 31
	s_lshl_b64 s[0:1], s[2:3], 1
	s_add_u32 s4, s10, s0
	s_addc_u32 s5, s11, s1
	v_lshlrev_b32_e32 v1, 4, v0
	global_load_dwordx4 v[2:5], v1, s[4:5]
	s_add_u32 s4, s12, s0
	s_addc_u32 s5, s13, s1
	global_load_dwordx4 v[6:9], v1, s[4:5]
	s_movk_i32 s3, 0x7fff
	s_movk_i32 s4, 0x8000
	s_mov_b32 s5, 0x5040100
	s_add_u32 s0, s8, s0
	s_addc_u32 s1, s9, s1
	s_waitcnt vmcnt(1)
	v_and_b32_sdwa v10, v3, s3 dst_sel:DWORD dst_unused:UNUSED_PAD src0_sel:WORD_1 src1_sel:DWORD
	v_and_b32_e32 v3, 0x7fff, v3
	v_and_b32_sdwa v11, v2, s3 dst_sel:DWORD dst_unused:UNUSED_PAD src0_sel:WORD_1 src1_sel:DWORD
	v_and_b32_e32 v2, 0x7fff, v2
	;; [unrolled: 2-line block ×4, first 2 shown]
	s_waitcnt vmcnt(0)
	v_and_b32_sdwa v14, v7, s4 dst_sel:DWORD dst_unused:UNUSED_PAD src0_sel:WORD_1 src1_sel:DWORD
	v_and_b32_e32 v7, 0xffff8000, v7
	v_and_b32_sdwa v15, v6, s4 dst_sel:DWORD dst_unused:UNUSED_PAD src0_sel:WORD_1 src1_sel:DWORD
	v_and_b32_e32 v6, 0xffff8000, v6
	;; [unrolled: 2-line block ×4, first 2 shown]
	v_or_b32_e32 v2, v6, v2
	v_or_b32_e32 v6, v15, v11
	;; [unrolled: 1-line block ×8, first 2 shown]
	v_perm_b32 v5, v9, v5, s5
	v_perm_b32 v4, v8, v4, s5
	v_perm_b32 v3, v7, v3, s5
	v_perm_b32 v2, v6, v2, s5
	global_store_dwordx4 v1, v[2:5], s[0:1]
	s_mov_b64 s[0:1], 0
.LBB17_2:
	s_andn2_b64 vcc, exec, s[0:1]
	s_cbranch_vccnz .LBB17_26
; %bb.3:
	v_cmp_gt_i32_e32 vcc, s6, v0
	v_mov_b32_e32 v1, 0
	v_or_b32_e32 v2, s2, v0
	v_mov_b32_e32 v3, 0
	v_mov_b32_e32 v4, 0
	;; [unrolled: 1-line block ×3, first 2 shown]
	s_and_saveexec_b64 s[4:5], vcc
	s_cbranch_execz .LBB17_5
; %bb.4:
	v_mov_b32_e32 v3, 0
	v_lshlrev_b64 v[4:5], 1, v[2:3]
	v_mov_b32_e32 v3, s13
	v_add_co_u32_e64 v6, s[0:1], s12, v4
	v_addc_co_u32_e64 v7, s[0:1], v3, v5, s[0:1]
	v_mov_b32_e32 v3, s11
	v_add_co_u32_e64 v4, s[0:1], s10, v4
	v_addc_co_u32_e64 v5, s[0:1], v3, v5, s[0:1]
	global_load_ushort v3, v[4:5], off
	global_load_ushort v8, v[6:7], off
	v_or_b32_e32 v11, 0x100, v0
	s_waitcnt vmcnt(1)
	v_and_b32_e32 v3, 0x7fff, v3
	s_waitcnt vmcnt(0)
	v_and_b32_e32 v4, 0xffff8000, v8
.LBB17_5:
	s_or_b64 exec, exec, s[4:5]
	v_cmp_gt_i32_e64 s[0:1], s6, v11
	v_mov_b32_e32 v6, 0
	s_and_saveexec_b64 s[4:5], s[0:1]
	s_cbranch_execz .LBB17_7
; %bb.6:
	v_add_u32_e32 v6, s2, v11
	v_mov_b32_e32 v7, 0
	v_lshlrev_b64 v[6:7], 1, v[6:7]
	v_mov_b32_e32 v1, s13
	v_add_co_u32_e64 v8, s[0:1], s12, v6
	v_addc_co_u32_e64 v9, s[0:1], v1, v7, s[0:1]
	v_mov_b32_e32 v1, s11
	v_add_co_u32_e64 v6, s[0:1], s10, v6
	v_addc_co_u32_e64 v7, s[0:1], v1, v7, s[0:1]
	global_load_ushort v1, v[6:7], off
	global_load_ushort v5, v[8:9], off
	v_add_u32_e32 v11, 0x100, v11
	s_waitcnt vmcnt(1)
	v_and_b32_e32 v1, 0x7fff, v1
	s_waitcnt vmcnt(0)
	v_and_b32_e32 v6, 0xffff8000, v5
.LBB17_7:
	s_or_b64 exec, exec, s[4:5]
	v_cmp_gt_i32_e64 s[0:1], s6, v11
	v_mov_b32_e32 v5, 0
	v_mov_b32_e32 v7, 0
	;; [unrolled: 1-line block ×3, first 2 shown]
	s_and_saveexec_b64 s[4:5], s[0:1]
	s_cbranch_execz .LBB17_9
; %bb.8:
	v_add_u32_e32 v8, s2, v11
	v_mov_b32_e32 v9, 0
	v_lshlrev_b64 v[8:9], 1, v[8:9]
	v_mov_b32_e32 v7, s13
	v_add_co_u32_e64 v12, s[0:1], s12, v8
	v_addc_co_u32_e64 v13, s[0:1], v7, v9, s[0:1]
	v_mov_b32_e32 v7, s11
	v_add_co_u32_e64 v8, s[0:1], s10, v8
	v_addc_co_u32_e64 v9, s[0:1], v7, v9, s[0:1]
	global_load_ushort v7, v[8:9], off
	global_load_ushort v10, v[12:13], off
	v_add_u32_e32 v11, 0x100, v11
	s_waitcnt vmcnt(1)
	v_and_b32_e32 v7, 0x7fff, v7
	s_waitcnt vmcnt(0)
	v_and_b32_e32 v8, 0xffff8000, v10
.LBB17_9:
	s_or_b64 exec, exec, s[4:5]
	v_cmp_gt_i32_e64 s[0:1], s6, v11
	v_mov_b32_e32 v10, 0
	s_and_saveexec_b64 s[4:5], s[0:1]
	s_cbranch_execz .LBB17_11
; %bb.10:
	v_add_u32_e32 v12, s2, v11
	v_mov_b32_e32 v13, 0
	v_lshlrev_b64 v[12:13], 1, v[12:13]
	v_mov_b32_e32 v5, s13
	v_add_co_u32_e64 v14, s[0:1], s12, v12
	v_addc_co_u32_e64 v15, s[0:1], v5, v13, s[0:1]
	v_mov_b32_e32 v5, s11
	v_add_co_u32_e64 v12, s[0:1], s10, v12
	v_addc_co_u32_e64 v13, s[0:1], v5, v13, s[0:1]
	global_load_ushort v5, v[12:13], off
	global_load_ushort v9, v[14:15], off
	v_add_u32_e32 v11, 0x100, v11
	s_waitcnt vmcnt(1)
	v_and_b32_e32 v5, 0x7fff, v5
	s_waitcnt vmcnt(0)
	v_and_b32_e32 v10, 0xffff8000, v9
.LBB17_11:
	s_or_b64 exec, exec, s[4:5]
	v_cmp_gt_i32_e64 s[0:1], s6, v11
	v_mov_b32_e32 v9, 0
	v_mov_b32_e32 v13, 0
	;; [unrolled: 1-line block ×3, first 2 shown]
	s_and_saveexec_b64 s[4:5], s[0:1]
	s_cbranch_execz .LBB17_13
; %bb.12:
	v_add_u32_e32 v12, s2, v11
	v_mov_b32_e32 v13, 0
	v_lshlrev_b64 v[12:13], 1, v[12:13]
	v_mov_b32_e32 v15, s13
	v_add_co_u32_e64 v14, s[0:1], s12, v12
	v_addc_co_u32_e64 v15, s[0:1], v15, v13, s[0:1]
	v_mov_b32_e32 v16, s11
	v_add_co_u32_e64 v12, s[0:1], s10, v12
	v_addc_co_u32_e64 v13, s[0:1], v16, v13, s[0:1]
	global_load_ushort v16, v[12:13], off
	global_load_ushort v17, v[14:15], off
	v_add_u32_e32 v11, 0x100, v11
	s_waitcnt vmcnt(1)
	v_and_b32_e32 v13, 0x7fff, v16
	s_waitcnt vmcnt(0)
	v_and_b32_e32 v14, 0xffff8000, v17
.LBB17_13:
	s_or_b64 exec, exec, s[4:5]
	v_cmp_gt_i32_e64 s[0:1], s6, v11
	v_mov_b32_e32 v15, 0
	s_and_saveexec_b64 s[4:5], s[0:1]
	s_cbranch_execz .LBB17_15
; %bb.14:
	v_add_u32_e32 v16, s2, v11
	v_mov_b32_e32 v17, 0
	v_lshlrev_b64 v[16:17], 1, v[16:17]
	v_mov_b32_e32 v9, s13
	v_add_co_u32_e64 v18, s[0:1], s12, v16
	v_addc_co_u32_e64 v19, s[0:1], v9, v17, s[0:1]
	v_mov_b32_e32 v9, s11
	v_add_co_u32_e64 v16, s[0:1], s10, v16
	v_addc_co_u32_e64 v17, s[0:1], v9, v17, s[0:1]
	global_load_ushort v9, v[16:17], off
	global_load_ushort v12, v[18:19], off
	v_add_u32_e32 v11, 0x100, v11
	s_waitcnt vmcnt(1)
	v_and_b32_e32 v9, 0x7fff, v9
	s_waitcnt vmcnt(0)
	v_and_b32_e32 v15, 0xffff8000, v12
.LBB17_15:
	s_or_b64 exec, exec, s[4:5]
	v_cmp_gt_i32_e64 s[0:1], s6, v11
	v_mov_b32_e32 v12, 0
	v_mov_b32_e32 v16, 0
	;; [unrolled: 1-line block ×3, first 2 shown]
	s_and_saveexec_b64 s[4:5], s[0:1]
	s_cbranch_execnz .LBB17_27
; %bb.16:
	s_or_b64 exec, exec, s[4:5]
	v_cmp_gt_i32_e64 s[0:1], s6, v11
	s_and_saveexec_b64 s[4:5], s[0:1]
	s_cbranch_execnz .LBB17_28
.LBB17_17:
	s_or_b64 exec, exec, s[4:5]
	s_and_saveexec_b64 s[0:1], vcc
	s_cbranch_execnz .LBB17_29
.LBB17_18:
	s_or_b64 exec, exec, s[0:1]
	v_cmp_gt_i32_e32 vcc, s6, v0
	s_and_saveexec_b64 s[0:1], vcc
	s_cbranch_execnz .LBB17_30
.LBB17_19:
	s_or_b64 exec, exec, s[0:1]
	v_cmp_gt_i32_e32 vcc, s6, v0
	s_and_saveexec_b64 s[0:1], vcc
	s_cbranch_execnz .LBB17_31
.LBB17_20:
	s_or_b64 exec, exec, s[0:1]
	v_cmp_gt_i32_e32 vcc, s6, v0
	s_and_saveexec_b64 s[0:1], vcc
	s_cbranch_execnz .LBB17_32
.LBB17_21:
	s_or_b64 exec, exec, s[0:1]
	v_cmp_gt_i32_e32 vcc, s6, v0
	s_and_saveexec_b64 s[0:1], vcc
	s_cbranch_execnz .LBB17_33
.LBB17_22:
	s_or_b64 exec, exec, s[0:1]
	v_cmp_gt_i32_e32 vcc, s6, v0
	s_and_saveexec_b64 s[0:1], vcc
	s_cbranch_execnz .LBB17_34
.LBB17_23:
	s_or_b64 exec, exec, s[0:1]
	v_cmp_gt_i32_e32 vcc, s6, v0
	s_and_saveexec_b64 s[0:1], vcc
	s_cbranch_execnz .LBB17_35
.LBB17_24:
	s_or_b64 exec, exec, s[0:1]
	v_cmp_gt_i32_e32 vcc, s6, v0
	s_and_saveexec_b64 s[0:1], vcc
	s_cbranch_execz .LBB17_26
.LBB17_25:
	v_add_u32_e32 v0, s2, v0
	v_mov_b32_e32 v1, 0
	v_lshlrev_b64 v[0:1], 1, v[0:1]
	v_mov_b32_e32 v2, s9
	v_add_co_u32_e32 v0, vcc, s8, v0
	v_addc_co_u32_e32 v1, vcc, v2, v1, vcc
	global_store_short v[0:1], v12, off
.LBB17_26:
	s_endpgm
.LBB17_27:
	v_add_u32_e32 v16, s2, v11
	v_mov_b32_e32 v17, 0
	v_lshlrev_b64 v[16:17], 1, v[16:17]
	v_mov_b32_e32 v19, s13
	v_add_co_u32_e64 v18, s[0:1], s12, v16
	v_addc_co_u32_e64 v19, s[0:1], v19, v17, s[0:1]
	v_mov_b32_e32 v20, s11
	v_add_co_u32_e64 v16, s[0:1], s10, v16
	v_addc_co_u32_e64 v17, s[0:1], v20, v17, s[0:1]
	global_load_ushort v20, v[16:17], off
	global_load_ushort v21, v[18:19], off
	v_add_u32_e32 v11, 0x100, v11
	s_waitcnt vmcnt(1)
	v_and_b32_e32 v16, 0x7fff, v20
	s_waitcnt vmcnt(0)
	v_and_b32_e32 v17, 0xffff8000, v21
	s_or_b64 exec, exec, s[4:5]
	v_cmp_gt_i32_e64 s[0:1], s6, v11
	s_and_saveexec_b64 s[4:5], s[0:1]
	s_cbranch_execz .LBB17_17
.LBB17_28:
	v_add_u32_e32 v18, s2, v11
	v_mov_b32_e32 v19, 0
	v_lshlrev_b64 v[18:19], 1, v[18:19]
	v_mov_b32_e32 v11, s13
	v_add_co_u32_e64 v20, s[0:1], s12, v18
	v_addc_co_u32_e64 v21, s[0:1], v11, v19, s[0:1]
	v_mov_b32_e32 v11, s11
	v_add_co_u32_e64 v18, s[0:1], s10, v18
	v_addc_co_u32_e64 v19, s[0:1], v11, v19, s[0:1]
	global_load_ushort v11, v[18:19], off
	global_load_ushort v12, v[20:21], off
	s_waitcnt vmcnt(1)
	v_and_b32_e32 v11, 0x7fff, v11
	s_waitcnt vmcnt(0)
	v_and_b32_e32 v12, 0xffff8000, v12
	v_or_b32_e32 v12, v12, v11
	s_or_b64 exec, exec, s[4:5]
	s_and_saveexec_b64 s[0:1], vcc
	s_cbranch_execz .LBB17_18
.LBB17_29:
	v_or_b32_e32 v4, v4, v3
	v_mov_b32_e32 v3, 0
	v_lshlrev_b64 v[2:3], 1, v[2:3]
	v_mov_b32_e32 v11, s9
	v_add_co_u32_e32 v2, vcc, s8, v2
	v_or_b32_e32 v0, 0x100, v0
	v_addc_co_u32_e32 v3, vcc, v11, v3, vcc
	global_store_short v[2:3], v4, off
	s_or_b64 exec, exec, s[0:1]
	v_cmp_gt_i32_e32 vcc, s6, v0
	s_and_saveexec_b64 s[0:1], vcc
	s_cbranch_execz .LBB17_19
.LBB17_30:
	v_add_u32_e32 v2, s2, v0
	v_mov_b32_e32 v3, 0
	v_lshlrev_b64 v[2:3], 1, v[2:3]
	v_mov_b32_e32 v4, s9
	v_add_co_u32_e32 v2, vcc, s8, v2
	v_or_b32_e32 v1, v6, v1
	v_addc_co_u32_e32 v3, vcc, v4, v3, vcc
	v_add_u32_e32 v0, 0x100, v0
	global_store_short v[2:3], v1, off
	s_or_b64 exec, exec, s[0:1]
	v_cmp_gt_i32_e32 vcc, s6, v0
	s_and_saveexec_b64 s[0:1], vcc
	s_cbranch_execz .LBB17_20
.LBB17_31:
	v_add_u32_e32 v2, s2, v0
	v_mov_b32_e32 v3, 0
	v_lshlrev_b64 v[2:3], 1, v[2:3]
	v_mov_b32_e32 v4, s9
	v_add_co_u32_e32 v2, vcc, s8, v2
	v_or_b32_e32 v1, v8, v7
	v_addc_co_u32_e32 v3, vcc, v4, v3, vcc
	v_add_u32_e32 v0, 0x100, v0
	global_store_short v[2:3], v1, off
	s_or_b64 exec, exec, s[0:1]
	v_cmp_gt_i32_e32 vcc, s6, v0
	s_and_saveexec_b64 s[0:1], vcc
	s_cbranch_execz .LBB17_21
.LBB17_32:
	v_add_u32_e32 v2, s2, v0
	v_mov_b32_e32 v3, 0
	v_lshlrev_b64 v[2:3], 1, v[2:3]
	v_mov_b32_e32 v4, s9
	v_add_co_u32_e32 v2, vcc, s8, v2
	v_or_b32_e32 v1, v10, v5
	v_addc_co_u32_e32 v3, vcc, v4, v3, vcc
	v_add_u32_e32 v0, 0x100, v0
	global_store_short v[2:3], v1, off
	s_or_b64 exec, exec, s[0:1]
	v_cmp_gt_i32_e32 vcc, s6, v0
	s_and_saveexec_b64 s[0:1], vcc
	s_cbranch_execz .LBB17_22
.LBB17_33:
	v_add_u32_e32 v2, s2, v0
	v_mov_b32_e32 v3, 0
	v_lshlrev_b64 v[2:3], 1, v[2:3]
	v_mov_b32_e32 v4, s9
	v_add_co_u32_e32 v2, vcc, s8, v2
	v_or_b32_e32 v1, v14, v13
	v_addc_co_u32_e32 v3, vcc, v4, v3, vcc
	v_add_u32_e32 v0, 0x100, v0
	global_store_short v[2:3], v1, off
	s_or_b64 exec, exec, s[0:1]
	v_cmp_gt_i32_e32 vcc, s6, v0
	s_and_saveexec_b64 s[0:1], vcc
	s_cbranch_execz .LBB17_23
.LBB17_34:
	v_add_u32_e32 v2, s2, v0
	v_mov_b32_e32 v3, 0
	v_lshlrev_b64 v[2:3], 1, v[2:3]
	v_mov_b32_e32 v4, s9
	v_add_co_u32_e32 v2, vcc, s8, v2
	v_or_b32_e32 v1, v15, v9
	v_addc_co_u32_e32 v3, vcc, v4, v3, vcc
	v_add_u32_e32 v0, 0x100, v0
	global_store_short v[2:3], v1, off
	s_or_b64 exec, exec, s[0:1]
	v_cmp_gt_i32_e32 vcc, s6, v0
	s_and_saveexec_b64 s[0:1], vcc
	s_cbranch_execz .LBB17_24
.LBB17_35:
	v_add_u32_e32 v2, s2, v0
	v_mov_b32_e32 v3, 0
	v_lshlrev_b64 v[2:3], 1, v[2:3]
	v_mov_b32_e32 v4, s9
	v_add_co_u32_e32 v2, vcc, s8, v2
	v_or_b32_e32 v1, v17, v16
	v_addc_co_u32_e32 v3, vcc, v4, v3, vcc
	v_add_u32_e32 v0, 0x100, v0
	global_store_short v[2:3], v1, off
	s_or_b64 exec, exec, s[0:1]
	v_cmp_gt_i32_e32 vcc, s6, v0
	s_and_saveexec_b64 s[0:1], vcc
	s_cbranch_execnz .LBB17_25
	s_branch .LBB17_26
	.section	.rodata,"a",@progbits
	.p2align	6, 0x0
	.amdhsa_kernel _ZN2at6native29vectorized_elementwise_kernelILi8ENS0_13BinaryFunctorIN3c104HalfES4_S4_ZNS0_20copysign_kernel_cudaERNS_18TensorIteratorBaseEEUlS4_S4_E_EESt5arrayIPcLm3EEEEviT0_T1_
		.amdhsa_group_segment_fixed_size 0
		.amdhsa_private_segment_fixed_size 0
		.amdhsa_kernarg_size 32
		.amdhsa_user_sgpr_count 6
		.amdhsa_user_sgpr_private_segment_buffer 1
		.amdhsa_user_sgpr_dispatch_ptr 0
		.amdhsa_user_sgpr_queue_ptr 0
		.amdhsa_user_sgpr_kernarg_segment_ptr 1
		.amdhsa_user_sgpr_dispatch_id 0
		.amdhsa_user_sgpr_flat_scratch_init 0
		.amdhsa_user_sgpr_kernarg_preload_length 0
		.amdhsa_user_sgpr_kernarg_preload_offset 0
		.amdhsa_user_sgpr_private_segment_size 0
		.amdhsa_uses_dynamic_stack 0
		.amdhsa_system_sgpr_private_segment_wavefront_offset 0
		.amdhsa_system_sgpr_workgroup_id_x 1
		.amdhsa_system_sgpr_workgroup_id_y 0
		.amdhsa_system_sgpr_workgroup_id_z 0
		.amdhsa_system_sgpr_workgroup_info 0
		.amdhsa_system_vgpr_workitem_id 0
		.amdhsa_next_free_vgpr 22
		.amdhsa_next_free_sgpr 14
		.amdhsa_accum_offset 24
		.amdhsa_reserve_vcc 1
		.amdhsa_reserve_flat_scratch 0
		.amdhsa_float_round_mode_32 0
		.amdhsa_float_round_mode_16_64 0
		.amdhsa_float_denorm_mode_32 3
		.amdhsa_float_denorm_mode_16_64 3
		.amdhsa_dx10_clamp 1
		.amdhsa_ieee_mode 1
		.amdhsa_fp16_overflow 0
		.amdhsa_tg_split 0
		.amdhsa_exception_fp_ieee_invalid_op 0
		.amdhsa_exception_fp_denorm_src 0
		.amdhsa_exception_fp_ieee_div_zero 0
		.amdhsa_exception_fp_ieee_overflow 0
		.amdhsa_exception_fp_ieee_underflow 0
		.amdhsa_exception_fp_ieee_inexact 0
		.amdhsa_exception_int_div_zero 0
	.end_amdhsa_kernel
	.section	.text._ZN2at6native29vectorized_elementwise_kernelILi8ENS0_13BinaryFunctorIN3c104HalfES4_S4_ZNS0_20copysign_kernel_cudaERNS_18TensorIteratorBaseEEUlS4_S4_E_EESt5arrayIPcLm3EEEEviT0_T1_,"axG",@progbits,_ZN2at6native29vectorized_elementwise_kernelILi8ENS0_13BinaryFunctorIN3c104HalfES4_S4_ZNS0_20copysign_kernel_cudaERNS_18TensorIteratorBaseEEUlS4_S4_E_EESt5arrayIPcLm3EEEEviT0_T1_,comdat
.Lfunc_end17:
	.size	_ZN2at6native29vectorized_elementwise_kernelILi8ENS0_13BinaryFunctorIN3c104HalfES4_S4_ZNS0_20copysign_kernel_cudaERNS_18TensorIteratorBaseEEUlS4_S4_E_EESt5arrayIPcLm3EEEEviT0_T1_, .Lfunc_end17-_ZN2at6native29vectorized_elementwise_kernelILi8ENS0_13BinaryFunctorIN3c104HalfES4_S4_ZNS0_20copysign_kernel_cudaERNS_18TensorIteratorBaseEEUlS4_S4_E_EESt5arrayIPcLm3EEEEviT0_T1_
                                        ; -- End function
	.section	.AMDGPU.csdata,"",@progbits
; Kernel info:
; codeLenInByte = 2024
; NumSgprs: 18
; NumVgprs: 22
; NumAgprs: 0
; TotalNumVgprs: 22
; ScratchSize: 0
; MemoryBound: 0
; FloatMode: 240
; IeeeMode: 1
; LDSByteSize: 0 bytes/workgroup (compile time only)
; SGPRBlocks: 2
; VGPRBlocks: 2
; NumSGPRsForWavesPerEU: 18
; NumVGPRsForWavesPerEU: 22
; AccumOffset: 24
; Occupancy: 8
; WaveLimiterHint : 0
; COMPUTE_PGM_RSRC2:SCRATCH_EN: 0
; COMPUTE_PGM_RSRC2:USER_SGPR: 6
; COMPUTE_PGM_RSRC2:TRAP_HANDLER: 0
; COMPUTE_PGM_RSRC2:TGID_X_EN: 1
; COMPUTE_PGM_RSRC2:TGID_Y_EN: 0
; COMPUTE_PGM_RSRC2:TGID_Z_EN: 0
; COMPUTE_PGM_RSRC2:TIDIG_COMP_CNT: 0
; COMPUTE_PGM_RSRC3_GFX90A:ACCUM_OFFSET: 5
; COMPUTE_PGM_RSRC3_GFX90A:TG_SPLIT: 0
	.section	.text._ZN2at6native29vectorized_elementwise_kernelILi4ENS0_13BinaryFunctorIN3c104HalfES4_S4_ZNS0_20copysign_kernel_cudaERNS_18TensorIteratorBaseEEUlS4_S4_E_EESt5arrayIPcLm3EEEEviT0_T1_,"axG",@progbits,_ZN2at6native29vectorized_elementwise_kernelILi4ENS0_13BinaryFunctorIN3c104HalfES4_S4_ZNS0_20copysign_kernel_cudaERNS_18TensorIteratorBaseEEUlS4_S4_E_EESt5arrayIPcLm3EEEEviT0_T1_,comdat
	.globl	_ZN2at6native29vectorized_elementwise_kernelILi4ENS0_13BinaryFunctorIN3c104HalfES4_S4_ZNS0_20copysign_kernel_cudaERNS_18TensorIteratorBaseEEUlS4_S4_E_EESt5arrayIPcLm3EEEEviT0_T1_ ; -- Begin function _ZN2at6native29vectorized_elementwise_kernelILi4ENS0_13BinaryFunctorIN3c104HalfES4_S4_ZNS0_20copysign_kernel_cudaERNS_18TensorIteratorBaseEEUlS4_S4_E_EESt5arrayIPcLm3EEEEviT0_T1_
	.p2align	8
	.type	_ZN2at6native29vectorized_elementwise_kernelILi4ENS0_13BinaryFunctorIN3c104HalfES4_S4_ZNS0_20copysign_kernel_cudaERNS_18TensorIteratorBaseEEUlS4_S4_E_EESt5arrayIPcLm3EEEEviT0_T1_,@function
_ZN2at6native29vectorized_elementwise_kernelILi4ENS0_13BinaryFunctorIN3c104HalfES4_S4_ZNS0_20copysign_kernel_cudaERNS_18TensorIteratorBaseEEUlS4_S4_E_EESt5arrayIPcLm3EEEEviT0_T1_: ; @_ZN2at6native29vectorized_elementwise_kernelILi4ENS0_13BinaryFunctorIN3c104HalfES4_S4_ZNS0_20copysign_kernel_cudaERNS_18TensorIteratorBaseEEUlS4_S4_E_EESt5arrayIPcLm3EEEEviT0_T1_
; %bb.0:
	s_load_dword s0, s[4:5], 0x0
	s_load_dwordx4 s[8:11], s[4:5], 0x8
	s_load_dwordx2 s[12:13], s[4:5], 0x18
	s_lshl_b32 s2, s6, 11
	s_waitcnt lgkmcnt(0)
	s_sub_i32 s6, s0, s2
	s_cmpk_gt_i32 s6, 0x7ff
	s_mov_b64 s[0:1], -1
	s_cbranch_scc0 .LBB18_2
; %bb.1:
	s_ashr_i32 s3, s2, 31
	s_lshl_b64 s[0:1], s[2:3], 1
	s_add_u32 s4, s10, s0
	s_addc_u32 s5, s11, s1
	v_lshlrev_b32_e32 v1, 3, v0
	s_add_u32 s14, s12, s0
	global_load_dwordx2 v[2:3], v1, s[4:5]
	global_load_dwordx2 v[4:5], v1, s[4:5] offset:2048
	s_addc_u32 s15, s13, s1
	global_load_dwordx2 v[6:7], v1, s[14:15]
	global_load_dwordx2 v[8:9], v1, s[14:15] offset:2048
	s_mov_b32 s3, 0x8000
	s_mov_b32 s4, 0x80008000
	s_add_u32 s0, s8, s0
	s_addc_u32 s1, s9, s1
	s_waitcnt vmcnt(3)
	v_and_b32_e32 v10, 0x7fff, v3
	v_bfe_u32 v3, v3, 16, 15
	s_waitcnt vmcnt(1)
	v_lshrrev_b32_e32 v12, 16, v7
	v_and_b32_e32 v11, 0x7fff, v5
	v_bfe_u32 v5, v5, 16, 15
	s_waitcnt vmcnt(0)
	v_lshrrev_b32_e32 v13, 16, v9
	v_and_or_b32 v3, v12, s3, v3
	v_and_or_b32 v7, v7, s3, v10
	;; [unrolled: 1-line block ×3, first 2 shown]
	v_lshlrev_b32_e32 v3, 16, v3
	v_and_or_b32 v9, v9, s3, v11
	v_bfi_b32 v2, s4, v6, v2
	v_lshlrev_b32_e32 v5, 16, v5
	v_or_b32_e32 v3, v7, v3
	v_bfi_b32 v4, s4, v8, v4
	v_or_b32_e32 v5, v9, v5
	global_store_dwordx2 v1, v[2:3], s[0:1]
	global_store_dwordx2 v1, v[4:5], s[0:1] offset:2048
	s_mov_b64 s[0:1], 0
.LBB18_2:
	s_andn2_b64 vcc, exec, s[0:1]
	s_cbranch_vccnz .LBB18_26
; %bb.3:
	v_cmp_gt_i32_e32 vcc, s6, v0
	v_mov_b32_e32 v1, 0
	v_or_b32_e32 v2, s2, v0
	v_mov_b32_e32 v3, 0
	v_mov_b32_e32 v4, 0
	;; [unrolled: 1-line block ×3, first 2 shown]
	s_and_saveexec_b64 s[4:5], vcc
	s_cbranch_execz .LBB18_5
; %bb.4:
	v_mov_b32_e32 v3, 0
	v_lshlrev_b64 v[4:5], 1, v[2:3]
	v_mov_b32_e32 v3, s13
	v_add_co_u32_e64 v6, s[0:1], s12, v4
	v_addc_co_u32_e64 v7, s[0:1], v3, v5, s[0:1]
	v_mov_b32_e32 v3, s11
	v_add_co_u32_e64 v4, s[0:1], s10, v4
	v_addc_co_u32_e64 v5, s[0:1], v3, v5, s[0:1]
	global_load_ushort v3, v[4:5], off
	global_load_ushort v8, v[6:7], off
	v_or_b32_e32 v11, 0x100, v0
	s_waitcnt vmcnt(1)
	v_and_b32_e32 v3, 0x7fff, v3
	s_waitcnt vmcnt(0)
	v_and_b32_e32 v4, 0xffff8000, v8
.LBB18_5:
	s_or_b64 exec, exec, s[4:5]
	v_cmp_gt_i32_e64 s[0:1], s6, v11
	v_mov_b32_e32 v6, 0
	s_and_saveexec_b64 s[4:5], s[0:1]
	s_cbranch_execz .LBB18_7
; %bb.6:
	v_add_u32_e32 v6, s2, v11
	v_mov_b32_e32 v7, 0
	v_lshlrev_b64 v[6:7], 1, v[6:7]
	v_mov_b32_e32 v1, s13
	v_add_co_u32_e64 v8, s[0:1], s12, v6
	v_addc_co_u32_e64 v9, s[0:1], v1, v7, s[0:1]
	v_mov_b32_e32 v1, s11
	v_add_co_u32_e64 v6, s[0:1], s10, v6
	v_addc_co_u32_e64 v7, s[0:1], v1, v7, s[0:1]
	global_load_ushort v1, v[6:7], off
	global_load_ushort v5, v[8:9], off
	v_add_u32_e32 v11, 0x100, v11
	s_waitcnt vmcnt(1)
	v_and_b32_e32 v1, 0x7fff, v1
	s_waitcnt vmcnt(0)
	v_and_b32_e32 v6, 0xffff8000, v5
.LBB18_7:
	s_or_b64 exec, exec, s[4:5]
	v_cmp_gt_i32_e64 s[0:1], s6, v11
	v_mov_b32_e32 v5, 0
	v_mov_b32_e32 v7, 0
	;; [unrolled: 1-line block ×3, first 2 shown]
	s_and_saveexec_b64 s[4:5], s[0:1]
	s_cbranch_execz .LBB18_9
; %bb.8:
	v_add_u32_e32 v8, s2, v11
	v_mov_b32_e32 v9, 0
	v_lshlrev_b64 v[8:9], 1, v[8:9]
	v_mov_b32_e32 v7, s13
	v_add_co_u32_e64 v12, s[0:1], s12, v8
	v_addc_co_u32_e64 v13, s[0:1], v7, v9, s[0:1]
	v_mov_b32_e32 v7, s11
	v_add_co_u32_e64 v8, s[0:1], s10, v8
	v_addc_co_u32_e64 v9, s[0:1], v7, v9, s[0:1]
	global_load_ushort v7, v[8:9], off
	global_load_ushort v10, v[12:13], off
	v_add_u32_e32 v11, 0x100, v11
	s_waitcnt vmcnt(1)
	v_and_b32_e32 v7, 0x7fff, v7
	s_waitcnt vmcnt(0)
	v_and_b32_e32 v8, 0xffff8000, v10
.LBB18_9:
	s_or_b64 exec, exec, s[4:5]
	v_cmp_gt_i32_e64 s[0:1], s6, v11
	v_mov_b32_e32 v10, 0
	s_and_saveexec_b64 s[4:5], s[0:1]
	s_cbranch_execz .LBB18_11
; %bb.10:
	v_add_u32_e32 v12, s2, v11
	v_mov_b32_e32 v13, 0
	v_lshlrev_b64 v[12:13], 1, v[12:13]
	v_mov_b32_e32 v5, s13
	v_add_co_u32_e64 v14, s[0:1], s12, v12
	v_addc_co_u32_e64 v15, s[0:1], v5, v13, s[0:1]
	v_mov_b32_e32 v5, s11
	v_add_co_u32_e64 v12, s[0:1], s10, v12
	v_addc_co_u32_e64 v13, s[0:1], v5, v13, s[0:1]
	global_load_ushort v5, v[12:13], off
	global_load_ushort v9, v[14:15], off
	v_add_u32_e32 v11, 0x100, v11
	s_waitcnt vmcnt(1)
	v_and_b32_e32 v5, 0x7fff, v5
	s_waitcnt vmcnt(0)
	v_and_b32_e32 v10, 0xffff8000, v9
.LBB18_11:
	s_or_b64 exec, exec, s[4:5]
	v_cmp_gt_i32_e64 s[0:1], s6, v11
	v_mov_b32_e32 v9, 0
	v_mov_b32_e32 v13, 0
	v_mov_b32_e32 v14, 0
	s_and_saveexec_b64 s[4:5], s[0:1]
	s_cbranch_execz .LBB18_13
; %bb.12:
	v_add_u32_e32 v12, s2, v11
	v_mov_b32_e32 v13, 0
	v_lshlrev_b64 v[12:13], 1, v[12:13]
	v_mov_b32_e32 v15, s13
	v_add_co_u32_e64 v14, s[0:1], s12, v12
	v_addc_co_u32_e64 v15, s[0:1], v15, v13, s[0:1]
	v_mov_b32_e32 v16, s11
	v_add_co_u32_e64 v12, s[0:1], s10, v12
	v_addc_co_u32_e64 v13, s[0:1], v16, v13, s[0:1]
	global_load_ushort v16, v[12:13], off
	global_load_ushort v17, v[14:15], off
	v_add_u32_e32 v11, 0x100, v11
	s_waitcnt vmcnt(1)
	v_and_b32_e32 v13, 0x7fff, v16
	s_waitcnt vmcnt(0)
	v_and_b32_e32 v14, 0xffff8000, v17
.LBB18_13:
	s_or_b64 exec, exec, s[4:5]
	v_cmp_gt_i32_e64 s[0:1], s6, v11
	v_mov_b32_e32 v15, 0
	s_and_saveexec_b64 s[4:5], s[0:1]
	s_cbranch_execz .LBB18_15
; %bb.14:
	v_add_u32_e32 v16, s2, v11
	v_mov_b32_e32 v17, 0
	v_lshlrev_b64 v[16:17], 1, v[16:17]
	v_mov_b32_e32 v9, s13
	v_add_co_u32_e64 v18, s[0:1], s12, v16
	v_addc_co_u32_e64 v19, s[0:1], v9, v17, s[0:1]
	v_mov_b32_e32 v9, s11
	v_add_co_u32_e64 v16, s[0:1], s10, v16
	v_addc_co_u32_e64 v17, s[0:1], v9, v17, s[0:1]
	global_load_ushort v9, v[16:17], off
	global_load_ushort v12, v[18:19], off
	v_add_u32_e32 v11, 0x100, v11
	s_waitcnt vmcnt(1)
	v_and_b32_e32 v9, 0x7fff, v9
	s_waitcnt vmcnt(0)
	v_and_b32_e32 v15, 0xffff8000, v12
.LBB18_15:
	s_or_b64 exec, exec, s[4:5]
	v_cmp_gt_i32_e64 s[0:1], s6, v11
	v_mov_b32_e32 v12, 0
	v_mov_b32_e32 v16, 0
	;; [unrolled: 1-line block ×3, first 2 shown]
	s_and_saveexec_b64 s[4:5], s[0:1]
	s_cbranch_execnz .LBB18_27
; %bb.16:
	s_or_b64 exec, exec, s[4:5]
	v_cmp_gt_i32_e64 s[0:1], s6, v11
	s_and_saveexec_b64 s[4:5], s[0:1]
	s_cbranch_execnz .LBB18_28
.LBB18_17:
	s_or_b64 exec, exec, s[4:5]
	s_and_saveexec_b64 s[0:1], vcc
	s_cbranch_execnz .LBB18_29
.LBB18_18:
	s_or_b64 exec, exec, s[0:1]
	v_cmp_gt_i32_e32 vcc, s6, v0
	s_and_saveexec_b64 s[0:1], vcc
	s_cbranch_execnz .LBB18_30
.LBB18_19:
	s_or_b64 exec, exec, s[0:1]
	v_cmp_gt_i32_e32 vcc, s6, v0
	s_and_saveexec_b64 s[0:1], vcc
	s_cbranch_execnz .LBB18_31
.LBB18_20:
	s_or_b64 exec, exec, s[0:1]
	v_cmp_gt_i32_e32 vcc, s6, v0
	s_and_saveexec_b64 s[0:1], vcc
	s_cbranch_execnz .LBB18_32
.LBB18_21:
	s_or_b64 exec, exec, s[0:1]
	v_cmp_gt_i32_e32 vcc, s6, v0
	s_and_saveexec_b64 s[0:1], vcc
	s_cbranch_execnz .LBB18_33
.LBB18_22:
	s_or_b64 exec, exec, s[0:1]
	v_cmp_gt_i32_e32 vcc, s6, v0
	s_and_saveexec_b64 s[0:1], vcc
	s_cbranch_execnz .LBB18_34
.LBB18_23:
	s_or_b64 exec, exec, s[0:1]
	v_cmp_gt_i32_e32 vcc, s6, v0
	s_and_saveexec_b64 s[0:1], vcc
	s_cbranch_execnz .LBB18_35
.LBB18_24:
	s_or_b64 exec, exec, s[0:1]
	v_cmp_gt_i32_e32 vcc, s6, v0
	s_and_saveexec_b64 s[0:1], vcc
	s_cbranch_execz .LBB18_26
.LBB18_25:
	v_add_u32_e32 v0, s2, v0
	v_mov_b32_e32 v1, 0
	v_lshlrev_b64 v[0:1], 1, v[0:1]
	v_mov_b32_e32 v2, s9
	v_add_co_u32_e32 v0, vcc, s8, v0
	v_addc_co_u32_e32 v1, vcc, v2, v1, vcc
	global_store_short v[0:1], v12, off
.LBB18_26:
	s_endpgm
.LBB18_27:
	v_add_u32_e32 v16, s2, v11
	v_mov_b32_e32 v17, 0
	v_lshlrev_b64 v[16:17], 1, v[16:17]
	v_mov_b32_e32 v19, s13
	v_add_co_u32_e64 v18, s[0:1], s12, v16
	v_addc_co_u32_e64 v19, s[0:1], v19, v17, s[0:1]
	v_mov_b32_e32 v20, s11
	v_add_co_u32_e64 v16, s[0:1], s10, v16
	v_addc_co_u32_e64 v17, s[0:1], v20, v17, s[0:1]
	global_load_ushort v20, v[16:17], off
	global_load_ushort v21, v[18:19], off
	v_add_u32_e32 v11, 0x100, v11
	s_waitcnt vmcnt(1)
	v_and_b32_e32 v16, 0x7fff, v20
	s_waitcnt vmcnt(0)
	v_and_b32_e32 v17, 0xffff8000, v21
	s_or_b64 exec, exec, s[4:5]
	v_cmp_gt_i32_e64 s[0:1], s6, v11
	s_and_saveexec_b64 s[4:5], s[0:1]
	s_cbranch_execz .LBB18_17
.LBB18_28:
	v_add_u32_e32 v18, s2, v11
	v_mov_b32_e32 v19, 0
	v_lshlrev_b64 v[18:19], 1, v[18:19]
	v_mov_b32_e32 v11, s13
	v_add_co_u32_e64 v20, s[0:1], s12, v18
	v_addc_co_u32_e64 v21, s[0:1], v11, v19, s[0:1]
	v_mov_b32_e32 v11, s11
	v_add_co_u32_e64 v18, s[0:1], s10, v18
	v_addc_co_u32_e64 v19, s[0:1], v11, v19, s[0:1]
	global_load_ushort v11, v[18:19], off
	global_load_ushort v12, v[20:21], off
	s_waitcnt vmcnt(1)
	v_and_b32_e32 v11, 0x7fff, v11
	s_waitcnt vmcnt(0)
	v_and_b32_e32 v12, 0xffff8000, v12
	v_or_b32_e32 v12, v12, v11
	s_or_b64 exec, exec, s[4:5]
	s_and_saveexec_b64 s[0:1], vcc
	s_cbranch_execz .LBB18_18
.LBB18_29:
	v_or_b32_e32 v4, v4, v3
	v_mov_b32_e32 v3, 0
	v_lshlrev_b64 v[2:3], 1, v[2:3]
	v_mov_b32_e32 v11, s9
	v_add_co_u32_e32 v2, vcc, s8, v2
	v_or_b32_e32 v0, 0x100, v0
	v_addc_co_u32_e32 v3, vcc, v11, v3, vcc
	global_store_short v[2:3], v4, off
	s_or_b64 exec, exec, s[0:1]
	v_cmp_gt_i32_e32 vcc, s6, v0
	s_and_saveexec_b64 s[0:1], vcc
	s_cbranch_execz .LBB18_19
.LBB18_30:
	v_add_u32_e32 v2, s2, v0
	v_mov_b32_e32 v3, 0
	v_lshlrev_b64 v[2:3], 1, v[2:3]
	v_mov_b32_e32 v4, s9
	v_add_co_u32_e32 v2, vcc, s8, v2
	v_or_b32_e32 v1, v6, v1
	v_addc_co_u32_e32 v3, vcc, v4, v3, vcc
	v_add_u32_e32 v0, 0x100, v0
	global_store_short v[2:3], v1, off
	s_or_b64 exec, exec, s[0:1]
	v_cmp_gt_i32_e32 vcc, s6, v0
	s_and_saveexec_b64 s[0:1], vcc
	s_cbranch_execz .LBB18_20
.LBB18_31:
	v_add_u32_e32 v2, s2, v0
	v_mov_b32_e32 v3, 0
	v_lshlrev_b64 v[2:3], 1, v[2:3]
	v_mov_b32_e32 v4, s9
	v_add_co_u32_e32 v2, vcc, s8, v2
	v_or_b32_e32 v1, v8, v7
	v_addc_co_u32_e32 v3, vcc, v4, v3, vcc
	v_add_u32_e32 v0, 0x100, v0
	global_store_short v[2:3], v1, off
	s_or_b64 exec, exec, s[0:1]
	v_cmp_gt_i32_e32 vcc, s6, v0
	s_and_saveexec_b64 s[0:1], vcc
	s_cbranch_execz .LBB18_21
.LBB18_32:
	v_add_u32_e32 v2, s2, v0
	v_mov_b32_e32 v3, 0
	v_lshlrev_b64 v[2:3], 1, v[2:3]
	v_mov_b32_e32 v4, s9
	v_add_co_u32_e32 v2, vcc, s8, v2
	v_or_b32_e32 v1, v10, v5
	v_addc_co_u32_e32 v3, vcc, v4, v3, vcc
	v_add_u32_e32 v0, 0x100, v0
	global_store_short v[2:3], v1, off
	s_or_b64 exec, exec, s[0:1]
	v_cmp_gt_i32_e32 vcc, s6, v0
	s_and_saveexec_b64 s[0:1], vcc
	s_cbranch_execz .LBB18_22
.LBB18_33:
	v_add_u32_e32 v2, s2, v0
	v_mov_b32_e32 v3, 0
	v_lshlrev_b64 v[2:3], 1, v[2:3]
	v_mov_b32_e32 v4, s9
	v_add_co_u32_e32 v2, vcc, s8, v2
	v_or_b32_e32 v1, v14, v13
	v_addc_co_u32_e32 v3, vcc, v4, v3, vcc
	v_add_u32_e32 v0, 0x100, v0
	global_store_short v[2:3], v1, off
	s_or_b64 exec, exec, s[0:1]
	v_cmp_gt_i32_e32 vcc, s6, v0
	s_and_saveexec_b64 s[0:1], vcc
	s_cbranch_execz .LBB18_23
.LBB18_34:
	v_add_u32_e32 v2, s2, v0
	v_mov_b32_e32 v3, 0
	v_lshlrev_b64 v[2:3], 1, v[2:3]
	v_mov_b32_e32 v4, s9
	v_add_co_u32_e32 v2, vcc, s8, v2
	v_or_b32_e32 v1, v15, v9
	v_addc_co_u32_e32 v3, vcc, v4, v3, vcc
	v_add_u32_e32 v0, 0x100, v0
	global_store_short v[2:3], v1, off
	s_or_b64 exec, exec, s[0:1]
	v_cmp_gt_i32_e32 vcc, s6, v0
	s_and_saveexec_b64 s[0:1], vcc
	s_cbranch_execz .LBB18_24
.LBB18_35:
	v_add_u32_e32 v2, s2, v0
	v_mov_b32_e32 v3, 0
	v_lshlrev_b64 v[2:3], 1, v[2:3]
	v_mov_b32_e32 v4, s9
	v_add_co_u32_e32 v2, vcc, s8, v2
	v_or_b32_e32 v1, v17, v16
	v_addc_co_u32_e32 v3, vcc, v4, v3, vcc
	v_add_u32_e32 v0, 0x100, v0
	global_store_short v[2:3], v1, off
	s_or_b64 exec, exec, s[0:1]
	v_cmp_gt_i32_e32 vcc, s6, v0
	s_and_saveexec_b64 s[0:1], vcc
	s_cbranch_execnz .LBB18_25
	s_branch .LBB18_26
	.section	.rodata,"a",@progbits
	.p2align	6, 0x0
	.amdhsa_kernel _ZN2at6native29vectorized_elementwise_kernelILi4ENS0_13BinaryFunctorIN3c104HalfES4_S4_ZNS0_20copysign_kernel_cudaERNS_18TensorIteratorBaseEEUlS4_S4_E_EESt5arrayIPcLm3EEEEviT0_T1_
		.amdhsa_group_segment_fixed_size 0
		.amdhsa_private_segment_fixed_size 0
		.amdhsa_kernarg_size 32
		.amdhsa_user_sgpr_count 6
		.amdhsa_user_sgpr_private_segment_buffer 1
		.amdhsa_user_sgpr_dispatch_ptr 0
		.amdhsa_user_sgpr_queue_ptr 0
		.amdhsa_user_sgpr_kernarg_segment_ptr 1
		.amdhsa_user_sgpr_dispatch_id 0
		.amdhsa_user_sgpr_flat_scratch_init 0
		.amdhsa_user_sgpr_kernarg_preload_length 0
		.amdhsa_user_sgpr_kernarg_preload_offset 0
		.amdhsa_user_sgpr_private_segment_size 0
		.amdhsa_uses_dynamic_stack 0
		.amdhsa_system_sgpr_private_segment_wavefront_offset 0
		.amdhsa_system_sgpr_workgroup_id_x 1
		.amdhsa_system_sgpr_workgroup_id_y 0
		.amdhsa_system_sgpr_workgroup_id_z 0
		.amdhsa_system_sgpr_workgroup_info 0
		.amdhsa_system_vgpr_workitem_id 0
		.amdhsa_next_free_vgpr 22
		.amdhsa_next_free_sgpr 16
		.amdhsa_accum_offset 24
		.amdhsa_reserve_vcc 1
		.amdhsa_reserve_flat_scratch 0
		.amdhsa_float_round_mode_32 0
		.amdhsa_float_round_mode_16_64 0
		.amdhsa_float_denorm_mode_32 3
		.amdhsa_float_denorm_mode_16_64 3
		.amdhsa_dx10_clamp 1
		.amdhsa_ieee_mode 1
		.amdhsa_fp16_overflow 0
		.amdhsa_tg_split 0
		.amdhsa_exception_fp_ieee_invalid_op 0
		.amdhsa_exception_fp_denorm_src 0
		.amdhsa_exception_fp_ieee_div_zero 0
		.amdhsa_exception_fp_ieee_overflow 0
		.amdhsa_exception_fp_ieee_underflow 0
		.amdhsa_exception_fp_ieee_inexact 0
		.amdhsa_exception_int_div_zero 0
	.end_amdhsa_kernel
	.section	.text._ZN2at6native29vectorized_elementwise_kernelILi4ENS0_13BinaryFunctorIN3c104HalfES4_S4_ZNS0_20copysign_kernel_cudaERNS_18TensorIteratorBaseEEUlS4_S4_E_EESt5arrayIPcLm3EEEEviT0_T1_,"axG",@progbits,_ZN2at6native29vectorized_elementwise_kernelILi4ENS0_13BinaryFunctorIN3c104HalfES4_S4_ZNS0_20copysign_kernel_cudaERNS_18TensorIteratorBaseEEUlS4_S4_E_EESt5arrayIPcLm3EEEEviT0_T1_,comdat
.Lfunc_end18:
	.size	_ZN2at6native29vectorized_elementwise_kernelILi4ENS0_13BinaryFunctorIN3c104HalfES4_S4_ZNS0_20copysign_kernel_cudaERNS_18TensorIteratorBaseEEUlS4_S4_E_EESt5arrayIPcLm3EEEEviT0_T1_, .Lfunc_end18-_ZN2at6native29vectorized_elementwise_kernelILi4ENS0_13BinaryFunctorIN3c104HalfES4_S4_ZNS0_20copysign_kernel_cudaERNS_18TensorIteratorBaseEEUlS4_S4_E_EESt5arrayIPcLm3EEEEviT0_T1_
                                        ; -- End function
	.section	.AMDGPU.csdata,"",@progbits
; Kernel info:
; codeLenInByte = 1964
; NumSgprs: 20
; NumVgprs: 22
; NumAgprs: 0
; TotalNumVgprs: 22
; ScratchSize: 0
; MemoryBound: 0
; FloatMode: 240
; IeeeMode: 1
; LDSByteSize: 0 bytes/workgroup (compile time only)
; SGPRBlocks: 2
; VGPRBlocks: 2
; NumSGPRsForWavesPerEU: 20
; NumVGPRsForWavesPerEU: 22
; AccumOffset: 24
; Occupancy: 8
; WaveLimiterHint : 1
; COMPUTE_PGM_RSRC2:SCRATCH_EN: 0
; COMPUTE_PGM_RSRC2:USER_SGPR: 6
; COMPUTE_PGM_RSRC2:TRAP_HANDLER: 0
; COMPUTE_PGM_RSRC2:TGID_X_EN: 1
; COMPUTE_PGM_RSRC2:TGID_Y_EN: 0
; COMPUTE_PGM_RSRC2:TGID_Z_EN: 0
; COMPUTE_PGM_RSRC2:TIDIG_COMP_CNT: 0
; COMPUTE_PGM_RSRC3_GFX90A:ACCUM_OFFSET: 5
; COMPUTE_PGM_RSRC3_GFX90A:TG_SPLIT: 0
	.section	.text._ZN2at6native29vectorized_elementwise_kernelILi2ENS0_13BinaryFunctorIN3c104HalfES4_S4_ZNS0_20copysign_kernel_cudaERNS_18TensorIteratorBaseEEUlS4_S4_E_EESt5arrayIPcLm3EEEEviT0_T1_,"axG",@progbits,_ZN2at6native29vectorized_elementwise_kernelILi2ENS0_13BinaryFunctorIN3c104HalfES4_S4_ZNS0_20copysign_kernel_cudaERNS_18TensorIteratorBaseEEUlS4_S4_E_EESt5arrayIPcLm3EEEEviT0_T1_,comdat
	.globl	_ZN2at6native29vectorized_elementwise_kernelILi2ENS0_13BinaryFunctorIN3c104HalfES4_S4_ZNS0_20copysign_kernel_cudaERNS_18TensorIteratorBaseEEUlS4_S4_E_EESt5arrayIPcLm3EEEEviT0_T1_ ; -- Begin function _ZN2at6native29vectorized_elementwise_kernelILi2ENS0_13BinaryFunctorIN3c104HalfES4_S4_ZNS0_20copysign_kernel_cudaERNS_18TensorIteratorBaseEEUlS4_S4_E_EESt5arrayIPcLm3EEEEviT0_T1_
	.p2align	8
	.type	_ZN2at6native29vectorized_elementwise_kernelILi2ENS0_13BinaryFunctorIN3c104HalfES4_S4_ZNS0_20copysign_kernel_cudaERNS_18TensorIteratorBaseEEUlS4_S4_E_EESt5arrayIPcLm3EEEEviT0_T1_,@function
_ZN2at6native29vectorized_elementwise_kernelILi2ENS0_13BinaryFunctorIN3c104HalfES4_S4_ZNS0_20copysign_kernel_cudaERNS_18TensorIteratorBaseEEUlS4_S4_E_EESt5arrayIPcLm3EEEEviT0_T1_: ; @_ZN2at6native29vectorized_elementwise_kernelILi2ENS0_13BinaryFunctorIN3c104HalfES4_S4_ZNS0_20copysign_kernel_cudaERNS_18TensorIteratorBaseEEUlS4_S4_E_EESt5arrayIPcLm3EEEEviT0_T1_
; %bb.0:
	s_load_dword s0, s[4:5], 0x0
	s_load_dwordx4 s[8:11], s[4:5], 0x8
	s_load_dwordx2 s[12:13], s[4:5], 0x18
	s_lshl_b32 s2, s6, 11
	s_waitcnt lgkmcnt(0)
	s_sub_i32 s6, s0, s2
	s_cmpk_gt_i32 s6, 0x7ff
	s_mov_b64 s[0:1], -1
	s_cbranch_scc0 .LBB19_2
; %bb.1:
	s_ashr_i32 s3, s2, 31
	s_lshl_b64 s[0:1], s[2:3], 1
	s_add_u32 s4, s10, s0
	s_addc_u32 s5, s11, s1
	v_lshlrev_b32_e32 v1, 2, v0
	s_add_u32 s14, s12, s0
	s_addc_u32 s15, s13, s1
	global_load_dword v2, v1, s[4:5]
	global_load_dword v3, v1, s[4:5] offset:1024
	global_load_dword v4, v1, s[4:5] offset:2048
	;; [unrolled: 1-line block ×3, first 2 shown]
	global_load_dword v6, v1, s[14:15]
	global_load_dword v7, v1, s[14:15] offset:1024
	global_load_dword v8, v1, s[14:15] offset:2048
	;; [unrolled: 1-line block ×3, first 2 shown]
	s_mov_b32 s3, 0x80008000
	s_add_u32 s0, s8, s0
	s_addc_u32 s1, s9, s1
	s_waitcnt vmcnt(3)
	v_bfi_b32 v2, s3, v6, v2
	s_waitcnt vmcnt(2)
	v_bfi_b32 v3, s3, v7, v3
	;; [unrolled: 2-line block ×4, first 2 shown]
	global_store_dword v1, v2, s[0:1]
	global_store_dword v1, v3, s[0:1] offset:1024
	global_store_dword v1, v4, s[0:1] offset:2048
	;; [unrolled: 1-line block ×3, first 2 shown]
	s_mov_b64 s[0:1], 0
.LBB19_2:
	s_andn2_b64 vcc, exec, s[0:1]
	s_cbranch_vccnz .LBB19_26
; %bb.3:
	v_cmp_gt_i32_e32 vcc, s6, v0
	v_mov_b32_e32 v1, 0
	v_or_b32_e32 v2, s2, v0
	v_mov_b32_e32 v3, 0
	v_mov_b32_e32 v4, 0
	v_mov_b32_e32 v11, v0
	s_and_saveexec_b64 s[4:5], vcc
	s_cbranch_execz .LBB19_5
; %bb.4:
	v_mov_b32_e32 v3, 0
	v_lshlrev_b64 v[4:5], 1, v[2:3]
	v_mov_b32_e32 v3, s13
	v_add_co_u32_e64 v6, s[0:1], s12, v4
	v_addc_co_u32_e64 v7, s[0:1], v3, v5, s[0:1]
	v_mov_b32_e32 v3, s11
	v_add_co_u32_e64 v4, s[0:1], s10, v4
	v_addc_co_u32_e64 v5, s[0:1], v3, v5, s[0:1]
	global_load_ushort v3, v[4:5], off
	global_load_ushort v8, v[6:7], off
	v_or_b32_e32 v11, 0x100, v0
	s_waitcnt vmcnt(1)
	v_and_b32_e32 v3, 0x7fff, v3
	s_waitcnt vmcnt(0)
	v_and_b32_e32 v4, 0xffff8000, v8
.LBB19_5:
	s_or_b64 exec, exec, s[4:5]
	v_cmp_gt_i32_e64 s[0:1], s6, v11
	v_mov_b32_e32 v6, 0
	s_and_saveexec_b64 s[4:5], s[0:1]
	s_cbranch_execz .LBB19_7
; %bb.6:
	v_add_u32_e32 v6, s2, v11
	v_mov_b32_e32 v7, 0
	v_lshlrev_b64 v[6:7], 1, v[6:7]
	v_mov_b32_e32 v1, s13
	v_add_co_u32_e64 v8, s[0:1], s12, v6
	v_addc_co_u32_e64 v9, s[0:1], v1, v7, s[0:1]
	v_mov_b32_e32 v1, s11
	v_add_co_u32_e64 v6, s[0:1], s10, v6
	v_addc_co_u32_e64 v7, s[0:1], v1, v7, s[0:1]
	global_load_ushort v1, v[6:7], off
	global_load_ushort v5, v[8:9], off
	v_add_u32_e32 v11, 0x100, v11
	s_waitcnt vmcnt(1)
	v_and_b32_e32 v1, 0x7fff, v1
	s_waitcnt vmcnt(0)
	v_and_b32_e32 v6, 0xffff8000, v5
.LBB19_7:
	s_or_b64 exec, exec, s[4:5]
	v_cmp_gt_i32_e64 s[0:1], s6, v11
	v_mov_b32_e32 v5, 0
	v_mov_b32_e32 v7, 0
	;; [unrolled: 1-line block ×3, first 2 shown]
	s_and_saveexec_b64 s[4:5], s[0:1]
	s_cbranch_execz .LBB19_9
; %bb.8:
	v_add_u32_e32 v8, s2, v11
	v_mov_b32_e32 v9, 0
	v_lshlrev_b64 v[8:9], 1, v[8:9]
	v_mov_b32_e32 v7, s13
	v_add_co_u32_e64 v12, s[0:1], s12, v8
	v_addc_co_u32_e64 v13, s[0:1], v7, v9, s[0:1]
	v_mov_b32_e32 v7, s11
	v_add_co_u32_e64 v8, s[0:1], s10, v8
	v_addc_co_u32_e64 v9, s[0:1], v7, v9, s[0:1]
	global_load_ushort v7, v[8:9], off
	global_load_ushort v10, v[12:13], off
	v_add_u32_e32 v11, 0x100, v11
	s_waitcnt vmcnt(1)
	v_and_b32_e32 v7, 0x7fff, v7
	s_waitcnt vmcnt(0)
	v_and_b32_e32 v8, 0xffff8000, v10
.LBB19_9:
	s_or_b64 exec, exec, s[4:5]
	v_cmp_gt_i32_e64 s[0:1], s6, v11
	v_mov_b32_e32 v10, 0
	s_and_saveexec_b64 s[4:5], s[0:1]
	s_cbranch_execz .LBB19_11
; %bb.10:
	v_add_u32_e32 v12, s2, v11
	v_mov_b32_e32 v13, 0
	v_lshlrev_b64 v[12:13], 1, v[12:13]
	v_mov_b32_e32 v5, s13
	v_add_co_u32_e64 v14, s[0:1], s12, v12
	v_addc_co_u32_e64 v15, s[0:1], v5, v13, s[0:1]
	v_mov_b32_e32 v5, s11
	v_add_co_u32_e64 v12, s[0:1], s10, v12
	v_addc_co_u32_e64 v13, s[0:1], v5, v13, s[0:1]
	global_load_ushort v5, v[12:13], off
	global_load_ushort v9, v[14:15], off
	v_add_u32_e32 v11, 0x100, v11
	s_waitcnt vmcnt(1)
	v_and_b32_e32 v5, 0x7fff, v5
	s_waitcnt vmcnt(0)
	v_and_b32_e32 v10, 0xffff8000, v9
.LBB19_11:
	s_or_b64 exec, exec, s[4:5]
	v_cmp_gt_i32_e64 s[0:1], s6, v11
	v_mov_b32_e32 v9, 0
	v_mov_b32_e32 v13, 0
	;; [unrolled: 1-line block ×3, first 2 shown]
	s_and_saveexec_b64 s[4:5], s[0:1]
	s_cbranch_execz .LBB19_13
; %bb.12:
	v_add_u32_e32 v12, s2, v11
	v_mov_b32_e32 v13, 0
	v_lshlrev_b64 v[12:13], 1, v[12:13]
	v_mov_b32_e32 v15, s13
	v_add_co_u32_e64 v14, s[0:1], s12, v12
	v_addc_co_u32_e64 v15, s[0:1], v15, v13, s[0:1]
	v_mov_b32_e32 v16, s11
	v_add_co_u32_e64 v12, s[0:1], s10, v12
	v_addc_co_u32_e64 v13, s[0:1], v16, v13, s[0:1]
	global_load_ushort v16, v[12:13], off
	global_load_ushort v17, v[14:15], off
	v_add_u32_e32 v11, 0x100, v11
	s_waitcnt vmcnt(1)
	v_and_b32_e32 v13, 0x7fff, v16
	s_waitcnt vmcnt(0)
	v_and_b32_e32 v14, 0xffff8000, v17
.LBB19_13:
	s_or_b64 exec, exec, s[4:5]
	v_cmp_gt_i32_e64 s[0:1], s6, v11
	v_mov_b32_e32 v15, 0
	s_and_saveexec_b64 s[4:5], s[0:1]
	s_cbranch_execz .LBB19_15
; %bb.14:
	v_add_u32_e32 v16, s2, v11
	v_mov_b32_e32 v17, 0
	v_lshlrev_b64 v[16:17], 1, v[16:17]
	v_mov_b32_e32 v9, s13
	v_add_co_u32_e64 v18, s[0:1], s12, v16
	v_addc_co_u32_e64 v19, s[0:1], v9, v17, s[0:1]
	v_mov_b32_e32 v9, s11
	v_add_co_u32_e64 v16, s[0:1], s10, v16
	v_addc_co_u32_e64 v17, s[0:1], v9, v17, s[0:1]
	global_load_ushort v9, v[16:17], off
	global_load_ushort v12, v[18:19], off
	v_add_u32_e32 v11, 0x100, v11
	s_waitcnt vmcnt(1)
	v_and_b32_e32 v9, 0x7fff, v9
	s_waitcnt vmcnt(0)
	v_and_b32_e32 v15, 0xffff8000, v12
.LBB19_15:
	s_or_b64 exec, exec, s[4:5]
	v_cmp_gt_i32_e64 s[0:1], s6, v11
	v_mov_b32_e32 v12, 0
	v_mov_b32_e32 v16, 0
	;; [unrolled: 1-line block ×3, first 2 shown]
	s_and_saveexec_b64 s[4:5], s[0:1]
	s_cbranch_execnz .LBB19_27
; %bb.16:
	s_or_b64 exec, exec, s[4:5]
	v_cmp_gt_i32_e64 s[0:1], s6, v11
	s_and_saveexec_b64 s[4:5], s[0:1]
	s_cbranch_execnz .LBB19_28
.LBB19_17:
	s_or_b64 exec, exec, s[4:5]
	s_and_saveexec_b64 s[0:1], vcc
	s_cbranch_execnz .LBB19_29
.LBB19_18:
	s_or_b64 exec, exec, s[0:1]
	v_cmp_gt_i32_e32 vcc, s6, v0
	s_and_saveexec_b64 s[0:1], vcc
	s_cbranch_execnz .LBB19_30
.LBB19_19:
	s_or_b64 exec, exec, s[0:1]
	v_cmp_gt_i32_e32 vcc, s6, v0
	s_and_saveexec_b64 s[0:1], vcc
	s_cbranch_execnz .LBB19_31
.LBB19_20:
	s_or_b64 exec, exec, s[0:1]
	v_cmp_gt_i32_e32 vcc, s6, v0
	s_and_saveexec_b64 s[0:1], vcc
	s_cbranch_execnz .LBB19_32
.LBB19_21:
	s_or_b64 exec, exec, s[0:1]
	v_cmp_gt_i32_e32 vcc, s6, v0
	s_and_saveexec_b64 s[0:1], vcc
	s_cbranch_execnz .LBB19_33
.LBB19_22:
	s_or_b64 exec, exec, s[0:1]
	v_cmp_gt_i32_e32 vcc, s6, v0
	s_and_saveexec_b64 s[0:1], vcc
	s_cbranch_execnz .LBB19_34
.LBB19_23:
	s_or_b64 exec, exec, s[0:1]
	v_cmp_gt_i32_e32 vcc, s6, v0
	s_and_saveexec_b64 s[0:1], vcc
	s_cbranch_execnz .LBB19_35
.LBB19_24:
	s_or_b64 exec, exec, s[0:1]
	v_cmp_gt_i32_e32 vcc, s6, v0
	s_and_saveexec_b64 s[0:1], vcc
	s_cbranch_execz .LBB19_26
.LBB19_25:
	v_add_u32_e32 v0, s2, v0
	v_mov_b32_e32 v1, 0
	v_lshlrev_b64 v[0:1], 1, v[0:1]
	v_mov_b32_e32 v2, s9
	v_add_co_u32_e32 v0, vcc, s8, v0
	v_addc_co_u32_e32 v1, vcc, v2, v1, vcc
	global_store_short v[0:1], v12, off
.LBB19_26:
	s_endpgm
.LBB19_27:
	v_add_u32_e32 v16, s2, v11
	v_mov_b32_e32 v17, 0
	v_lshlrev_b64 v[16:17], 1, v[16:17]
	v_mov_b32_e32 v19, s13
	v_add_co_u32_e64 v18, s[0:1], s12, v16
	v_addc_co_u32_e64 v19, s[0:1], v19, v17, s[0:1]
	v_mov_b32_e32 v20, s11
	v_add_co_u32_e64 v16, s[0:1], s10, v16
	v_addc_co_u32_e64 v17, s[0:1], v20, v17, s[0:1]
	global_load_ushort v20, v[16:17], off
	global_load_ushort v21, v[18:19], off
	v_add_u32_e32 v11, 0x100, v11
	s_waitcnt vmcnt(1)
	v_and_b32_e32 v16, 0x7fff, v20
	s_waitcnt vmcnt(0)
	v_and_b32_e32 v17, 0xffff8000, v21
	s_or_b64 exec, exec, s[4:5]
	v_cmp_gt_i32_e64 s[0:1], s6, v11
	s_and_saveexec_b64 s[4:5], s[0:1]
	s_cbranch_execz .LBB19_17
.LBB19_28:
	v_add_u32_e32 v18, s2, v11
	v_mov_b32_e32 v19, 0
	v_lshlrev_b64 v[18:19], 1, v[18:19]
	v_mov_b32_e32 v11, s13
	v_add_co_u32_e64 v20, s[0:1], s12, v18
	v_addc_co_u32_e64 v21, s[0:1], v11, v19, s[0:1]
	v_mov_b32_e32 v11, s11
	v_add_co_u32_e64 v18, s[0:1], s10, v18
	v_addc_co_u32_e64 v19, s[0:1], v11, v19, s[0:1]
	global_load_ushort v11, v[18:19], off
	global_load_ushort v12, v[20:21], off
	s_waitcnt vmcnt(1)
	v_and_b32_e32 v11, 0x7fff, v11
	s_waitcnt vmcnt(0)
	v_and_b32_e32 v12, 0xffff8000, v12
	v_or_b32_e32 v12, v12, v11
	s_or_b64 exec, exec, s[4:5]
	s_and_saveexec_b64 s[0:1], vcc
	s_cbranch_execz .LBB19_18
.LBB19_29:
	v_or_b32_e32 v4, v4, v3
	v_mov_b32_e32 v3, 0
	v_lshlrev_b64 v[2:3], 1, v[2:3]
	v_mov_b32_e32 v11, s9
	v_add_co_u32_e32 v2, vcc, s8, v2
	v_or_b32_e32 v0, 0x100, v0
	v_addc_co_u32_e32 v3, vcc, v11, v3, vcc
	global_store_short v[2:3], v4, off
	s_or_b64 exec, exec, s[0:1]
	v_cmp_gt_i32_e32 vcc, s6, v0
	s_and_saveexec_b64 s[0:1], vcc
	s_cbranch_execz .LBB19_19
.LBB19_30:
	v_add_u32_e32 v2, s2, v0
	v_mov_b32_e32 v3, 0
	v_lshlrev_b64 v[2:3], 1, v[2:3]
	v_mov_b32_e32 v4, s9
	v_add_co_u32_e32 v2, vcc, s8, v2
	v_or_b32_e32 v1, v6, v1
	v_addc_co_u32_e32 v3, vcc, v4, v3, vcc
	v_add_u32_e32 v0, 0x100, v0
	global_store_short v[2:3], v1, off
	s_or_b64 exec, exec, s[0:1]
	v_cmp_gt_i32_e32 vcc, s6, v0
	s_and_saveexec_b64 s[0:1], vcc
	s_cbranch_execz .LBB19_20
.LBB19_31:
	v_add_u32_e32 v2, s2, v0
	v_mov_b32_e32 v3, 0
	v_lshlrev_b64 v[2:3], 1, v[2:3]
	v_mov_b32_e32 v4, s9
	v_add_co_u32_e32 v2, vcc, s8, v2
	v_or_b32_e32 v1, v8, v7
	v_addc_co_u32_e32 v3, vcc, v4, v3, vcc
	v_add_u32_e32 v0, 0x100, v0
	global_store_short v[2:3], v1, off
	s_or_b64 exec, exec, s[0:1]
	v_cmp_gt_i32_e32 vcc, s6, v0
	s_and_saveexec_b64 s[0:1], vcc
	s_cbranch_execz .LBB19_21
.LBB19_32:
	v_add_u32_e32 v2, s2, v0
	v_mov_b32_e32 v3, 0
	v_lshlrev_b64 v[2:3], 1, v[2:3]
	v_mov_b32_e32 v4, s9
	v_add_co_u32_e32 v2, vcc, s8, v2
	v_or_b32_e32 v1, v10, v5
	v_addc_co_u32_e32 v3, vcc, v4, v3, vcc
	v_add_u32_e32 v0, 0x100, v0
	global_store_short v[2:3], v1, off
	s_or_b64 exec, exec, s[0:1]
	v_cmp_gt_i32_e32 vcc, s6, v0
	s_and_saveexec_b64 s[0:1], vcc
	s_cbranch_execz .LBB19_22
.LBB19_33:
	v_add_u32_e32 v2, s2, v0
	v_mov_b32_e32 v3, 0
	v_lshlrev_b64 v[2:3], 1, v[2:3]
	v_mov_b32_e32 v4, s9
	v_add_co_u32_e32 v2, vcc, s8, v2
	v_or_b32_e32 v1, v14, v13
	v_addc_co_u32_e32 v3, vcc, v4, v3, vcc
	v_add_u32_e32 v0, 0x100, v0
	global_store_short v[2:3], v1, off
	s_or_b64 exec, exec, s[0:1]
	v_cmp_gt_i32_e32 vcc, s6, v0
	s_and_saveexec_b64 s[0:1], vcc
	s_cbranch_execz .LBB19_23
.LBB19_34:
	v_add_u32_e32 v2, s2, v0
	v_mov_b32_e32 v3, 0
	v_lshlrev_b64 v[2:3], 1, v[2:3]
	v_mov_b32_e32 v4, s9
	v_add_co_u32_e32 v2, vcc, s8, v2
	v_or_b32_e32 v1, v15, v9
	v_addc_co_u32_e32 v3, vcc, v4, v3, vcc
	v_add_u32_e32 v0, 0x100, v0
	global_store_short v[2:3], v1, off
	s_or_b64 exec, exec, s[0:1]
	v_cmp_gt_i32_e32 vcc, s6, v0
	s_and_saveexec_b64 s[0:1], vcc
	s_cbranch_execz .LBB19_24
.LBB19_35:
	v_add_u32_e32 v2, s2, v0
	v_mov_b32_e32 v3, 0
	v_lshlrev_b64 v[2:3], 1, v[2:3]
	v_mov_b32_e32 v4, s9
	v_add_co_u32_e32 v2, vcc, s8, v2
	v_or_b32_e32 v1, v17, v16
	v_addc_co_u32_e32 v3, vcc, v4, v3, vcc
	v_add_u32_e32 v0, 0x100, v0
	global_store_short v[2:3], v1, off
	s_or_b64 exec, exec, s[0:1]
	v_cmp_gt_i32_e32 vcc, s6, v0
	s_and_saveexec_b64 s[0:1], vcc
	s_cbranch_execnz .LBB19_25
	s_branch .LBB19_26
	.section	.rodata,"a",@progbits
	.p2align	6, 0x0
	.amdhsa_kernel _ZN2at6native29vectorized_elementwise_kernelILi2ENS0_13BinaryFunctorIN3c104HalfES4_S4_ZNS0_20copysign_kernel_cudaERNS_18TensorIteratorBaseEEUlS4_S4_E_EESt5arrayIPcLm3EEEEviT0_T1_
		.amdhsa_group_segment_fixed_size 0
		.amdhsa_private_segment_fixed_size 0
		.amdhsa_kernarg_size 32
		.amdhsa_user_sgpr_count 6
		.amdhsa_user_sgpr_private_segment_buffer 1
		.amdhsa_user_sgpr_dispatch_ptr 0
		.amdhsa_user_sgpr_queue_ptr 0
		.amdhsa_user_sgpr_kernarg_segment_ptr 1
		.amdhsa_user_sgpr_dispatch_id 0
		.amdhsa_user_sgpr_flat_scratch_init 0
		.amdhsa_user_sgpr_kernarg_preload_length 0
		.amdhsa_user_sgpr_kernarg_preload_offset 0
		.amdhsa_user_sgpr_private_segment_size 0
		.amdhsa_uses_dynamic_stack 0
		.amdhsa_system_sgpr_private_segment_wavefront_offset 0
		.amdhsa_system_sgpr_workgroup_id_x 1
		.amdhsa_system_sgpr_workgroup_id_y 0
		.amdhsa_system_sgpr_workgroup_id_z 0
		.amdhsa_system_sgpr_workgroup_info 0
		.amdhsa_system_vgpr_workitem_id 0
		.amdhsa_next_free_vgpr 22
		.amdhsa_next_free_sgpr 16
		.amdhsa_accum_offset 24
		.amdhsa_reserve_vcc 1
		.amdhsa_reserve_flat_scratch 0
		.amdhsa_float_round_mode_32 0
		.amdhsa_float_round_mode_16_64 0
		.amdhsa_float_denorm_mode_32 3
		.amdhsa_float_denorm_mode_16_64 3
		.amdhsa_dx10_clamp 1
		.amdhsa_ieee_mode 1
		.amdhsa_fp16_overflow 0
		.amdhsa_tg_split 0
		.amdhsa_exception_fp_ieee_invalid_op 0
		.amdhsa_exception_fp_denorm_src 0
		.amdhsa_exception_fp_ieee_div_zero 0
		.amdhsa_exception_fp_ieee_overflow 0
		.amdhsa_exception_fp_ieee_underflow 0
		.amdhsa_exception_fp_ieee_inexact 0
		.amdhsa_exception_int_div_zero 0
	.end_amdhsa_kernel
	.section	.text._ZN2at6native29vectorized_elementwise_kernelILi2ENS0_13BinaryFunctorIN3c104HalfES4_S4_ZNS0_20copysign_kernel_cudaERNS_18TensorIteratorBaseEEUlS4_S4_E_EESt5arrayIPcLm3EEEEviT0_T1_,"axG",@progbits,_ZN2at6native29vectorized_elementwise_kernelILi2ENS0_13BinaryFunctorIN3c104HalfES4_S4_ZNS0_20copysign_kernel_cudaERNS_18TensorIteratorBaseEEUlS4_S4_E_EESt5arrayIPcLm3EEEEviT0_T1_,comdat
.Lfunc_end19:
	.size	_ZN2at6native29vectorized_elementwise_kernelILi2ENS0_13BinaryFunctorIN3c104HalfES4_S4_ZNS0_20copysign_kernel_cudaERNS_18TensorIteratorBaseEEUlS4_S4_E_EESt5arrayIPcLm3EEEEviT0_T1_, .Lfunc_end19-_ZN2at6native29vectorized_elementwise_kernelILi2ENS0_13BinaryFunctorIN3c104HalfES4_S4_ZNS0_20copysign_kernel_cudaERNS_18TensorIteratorBaseEEUlS4_S4_E_EESt5arrayIPcLm3EEEEviT0_T1_
                                        ; -- End function
	.section	.AMDGPU.csdata,"",@progbits
; Kernel info:
; codeLenInByte = 1936
; NumSgprs: 20
; NumVgprs: 22
; NumAgprs: 0
; TotalNumVgprs: 22
; ScratchSize: 0
; MemoryBound: 0
; FloatMode: 240
; IeeeMode: 1
; LDSByteSize: 0 bytes/workgroup (compile time only)
; SGPRBlocks: 2
; VGPRBlocks: 2
; NumSGPRsForWavesPerEU: 20
; NumVGPRsForWavesPerEU: 22
; AccumOffset: 24
; Occupancy: 8
; WaveLimiterHint : 1
; COMPUTE_PGM_RSRC2:SCRATCH_EN: 0
; COMPUTE_PGM_RSRC2:USER_SGPR: 6
; COMPUTE_PGM_RSRC2:TRAP_HANDLER: 0
; COMPUTE_PGM_RSRC2:TGID_X_EN: 1
; COMPUTE_PGM_RSRC2:TGID_Y_EN: 0
; COMPUTE_PGM_RSRC2:TGID_Z_EN: 0
; COMPUTE_PGM_RSRC2:TIDIG_COMP_CNT: 0
; COMPUTE_PGM_RSRC3_GFX90A:ACCUM_OFFSET: 5
; COMPUTE_PGM_RSRC3_GFX90A:TG_SPLIT: 0
	.section	.text._ZN2at6native27unrolled_elementwise_kernelINS0_13BinaryFunctorIN3c104HalfES4_S4_ZNS0_20copysign_kernel_cudaERNS_18TensorIteratorBaseEEUlS4_S4_E_EESt5arrayIPcLm3EELi4E23TrivialOffsetCalculatorILi2EjESC_ILi1EjENS0_6memory15LoadWithoutCastENSF_16StoreWithoutCastEEEviT_T0_T2_T3_T4_T5_,"axG",@progbits,_ZN2at6native27unrolled_elementwise_kernelINS0_13BinaryFunctorIN3c104HalfES4_S4_ZNS0_20copysign_kernel_cudaERNS_18TensorIteratorBaseEEUlS4_S4_E_EESt5arrayIPcLm3EELi4E23TrivialOffsetCalculatorILi2EjESC_ILi1EjENS0_6memory15LoadWithoutCastENSF_16StoreWithoutCastEEEviT_T0_T2_T3_T4_T5_,comdat
	.globl	_ZN2at6native27unrolled_elementwise_kernelINS0_13BinaryFunctorIN3c104HalfES4_S4_ZNS0_20copysign_kernel_cudaERNS_18TensorIteratorBaseEEUlS4_S4_E_EESt5arrayIPcLm3EELi4E23TrivialOffsetCalculatorILi2EjESC_ILi1EjENS0_6memory15LoadWithoutCastENSF_16StoreWithoutCastEEEviT_T0_T2_T3_T4_T5_ ; -- Begin function _ZN2at6native27unrolled_elementwise_kernelINS0_13BinaryFunctorIN3c104HalfES4_S4_ZNS0_20copysign_kernel_cudaERNS_18TensorIteratorBaseEEUlS4_S4_E_EESt5arrayIPcLm3EELi4E23TrivialOffsetCalculatorILi2EjESC_ILi1EjENS0_6memory15LoadWithoutCastENSF_16StoreWithoutCastEEEviT_T0_T2_T3_T4_T5_
	.p2align	8
	.type	_ZN2at6native27unrolled_elementwise_kernelINS0_13BinaryFunctorIN3c104HalfES4_S4_ZNS0_20copysign_kernel_cudaERNS_18TensorIteratorBaseEEUlS4_S4_E_EESt5arrayIPcLm3EELi4E23TrivialOffsetCalculatorILi2EjESC_ILi1EjENS0_6memory15LoadWithoutCastENSF_16StoreWithoutCastEEEviT_T0_T2_T3_T4_T5_,@function
_ZN2at6native27unrolled_elementwise_kernelINS0_13BinaryFunctorIN3c104HalfES4_S4_ZNS0_20copysign_kernel_cudaERNS_18TensorIteratorBaseEEUlS4_S4_E_EESt5arrayIPcLm3EELi4E23TrivialOffsetCalculatorILi2EjESC_ILi1EjENS0_6memory15LoadWithoutCastENSF_16StoreWithoutCastEEEviT_T0_T2_T3_T4_T5_: ; @_ZN2at6native27unrolled_elementwise_kernelINS0_13BinaryFunctorIN3c104HalfES4_S4_ZNS0_20copysign_kernel_cudaERNS_18TensorIteratorBaseEEUlS4_S4_E_EESt5arrayIPcLm3EELi4E23TrivialOffsetCalculatorILi2EjESC_ILi1EjENS0_6memory15LoadWithoutCastENSF_16StoreWithoutCastEEEviT_T0_T2_T3_T4_T5_
; %bb.0:
	s_load_dword s0, s[4:5], 0x0
	s_load_dwordx4 s[8:11], s[4:5], 0x8
	s_load_dwordx2 s[2:3], s[4:5], 0x18
	s_lshl_b32 s6, s6, 10
	v_mov_b32_e32 v1, 0
	s_waitcnt lgkmcnt(0)
	s_sub_i32 s7, s0, s6
	v_cmp_gt_i32_e32 vcc, s7, v0
	v_or_b32_e32 v2, s6, v0
	v_mov_b32_e32 v4, 0
	v_mov_b32_e32 v5, 0
	;; [unrolled: 1-line block ×3, first 2 shown]
	s_and_saveexec_b64 s[4:5], vcc
	s_cbranch_execz .LBB20_2
; %bb.1:
	v_mov_b32_e32 v3, 0
	v_lshlrev_b64 v[4:5], 1, v[2:3]
	v_mov_b32_e32 v3, s11
	v_add_co_u32_e64 v6, s[0:1], s10, v4
	v_addc_co_u32_e64 v7, s[0:1], v3, v5, s[0:1]
	v_mov_b32_e32 v3, s3
	v_add_co_u32_e64 v4, s[0:1], s2, v4
	v_addc_co_u32_e64 v5, s[0:1], v3, v5, s[0:1]
	global_load_ushort v8, v[6:7], off
	global_load_ushort v9, v[4:5], off
	v_or_b32_e32 v3, 0x100, v0
	s_waitcnt vmcnt(1)
	v_and_b32_e32 v4, 0x7fff, v8
	s_waitcnt vmcnt(0)
	v_and_b32_e32 v5, 0xffff8000, v9
.LBB20_2:
	s_or_b64 exec, exec, s[4:5]
	v_cmp_gt_i32_e64 s[0:1], s7, v3
	v_mov_b32_e32 v7, 0
	s_and_saveexec_b64 s[4:5], s[0:1]
	s_cbranch_execz .LBB20_4
; %bb.3:
	v_add_u32_e32 v6, s6, v3
	v_mov_b32_e32 v7, 0
	v_lshlrev_b64 v[6:7], 1, v[6:7]
	v_mov_b32_e32 v1, s11
	v_add_co_u32_e64 v8, s[0:1], s10, v6
	v_addc_co_u32_e64 v9, s[0:1], v1, v7, s[0:1]
	v_mov_b32_e32 v1, s3
	v_add_co_u32_e64 v6, s[0:1], s2, v6
	v_addc_co_u32_e64 v7, s[0:1], v1, v7, s[0:1]
	global_load_ushort v1, v[8:9], off
	global_load_ushort v10, v[6:7], off
	v_add_u32_e32 v3, 0x100, v3
	s_waitcnt vmcnt(1)
	v_and_b32_e32 v1, 0x7fff, v1
	s_waitcnt vmcnt(0)
	v_and_b32_e32 v7, 0xffff8000, v10
.LBB20_4:
	s_or_b64 exec, exec, s[4:5]
	v_cmp_gt_i32_e64 s[0:1], s7, v3
	v_mov_b32_e32 v6, 0
	v_mov_b32_e32 v8, 0
	;; [unrolled: 1-line block ×3, first 2 shown]
	s_and_saveexec_b64 s[4:5], s[0:1]
	s_cbranch_execnz .LBB20_11
; %bb.5:
	s_or_b64 exec, exec, s[4:5]
	v_cmp_gt_i32_e64 s[0:1], s7, v3
	s_and_saveexec_b64 s[4:5], s[0:1]
	s_cbranch_execnz .LBB20_12
.LBB20_6:
	s_or_b64 exec, exec, s[4:5]
	s_and_saveexec_b64 s[0:1], vcc
	s_cbranch_execnz .LBB20_13
.LBB20_7:
	s_or_b64 exec, exec, s[0:1]
	v_cmp_gt_i32_e32 vcc, s7, v0
	s_and_saveexec_b64 s[0:1], vcc
	s_cbranch_execnz .LBB20_14
.LBB20_8:
	s_or_b64 exec, exec, s[0:1]
	v_cmp_gt_i32_e32 vcc, s7, v0
	s_and_saveexec_b64 s[0:1], vcc
	s_cbranch_execnz .LBB20_15
.LBB20_9:
	s_or_b64 exec, exec, s[0:1]
	v_cmp_gt_i32_e32 vcc, s7, v0
	s_and_saveexec_b64 s[0:1], vcc
	s_cbranch_execnz .LBB20_16
.LBB20_10:
	s_endpgm
.LBB20_11:
	v_add_u32_e32 v8, s6, v3
	v_mov_b32_e32 v9, 0
	v_lshlrev_b64 v[8:9], 1, v[8:9]
	v_mov_b32_e32 v11, s11
	v_add_co_u32_e64 v10, s[0:1], s10, v8
	v_addc_co_u32_e64 v11, s[0:1], v11, v9, s[0:1]
	v_mov_b32_e32 v12, s3
	v_add_co_u32_e64 v8, s[0:1], s2, v8
	v_addc_co_u32_e64 v9, s[0:1], v12, v9, s[0:1]
	global_load_ushort v12, v[10:11], off
	global_load_ushort v13, v[8:9], off
	v_add_u32_e32 v3, 0x100, v3
	s_waitcnt vmcnt(1)
	v_and_b32_e32 v8, 0x7fff, v12
	s_waitcnt vmcnt(0)
	v_and_b32_e32 v9, 0xffff8000, v13
	s_or_b64 exec, exec, s[4:5]
	v_cmp_gt_i32_e64 s[0:1], s7, v3
	s_and_saveexec_b64 s[4:5], s[0:1]
	s_cbranch_execz .LBB20_6
.LBB20_12:
	v_add_u32_e32 v10, s6, v3
	v_mov_b32_e32 v11, 0
	v_lshlrev_b64 v[10:11], 1, v[10:11]
	v_mov_b32_e32 v3, s3
	v_add_co_u32_e64 v12, s[0:1], s2, v10
	v_addc_co_u32_e64 v13, s[0:1], v3, v11, s[0:1]
	v_mov_b32_e32 v3, s11
	v_add_co_u32_e64 v10, s[0:1], s10, v10
	v_addc_co_u32_e64 v11, s[0:1], v3, v11, s[0:1]
	global_load_ushort v3, v[10:11], off
	global_load_ushort v6, v[12:13], off
	s_waitcnt vmcnt(1)
	v_and_b32_e32 v3, 0x7fff, v3
	s_waitcnt vmcnt(0)
	v_and_b32_e32 v6, 0xffff8000, v6
	v_or_b32_e32 v6, v6, v3
	s_or_b64 exec, exec, s[4:5]
	s_and_saveexec_b64 s[0:1], vcc
	s_cbranch_execz .LBB20_7
.LBB20_13:
	v_mov_b32_e32 v3, 0
	v_lshlrev_b64 v[2:3], 1, v[2:3]
	v_mov_b32_e32 v10, s9
	v_add_co_u32_e32 v2, vcc, s8, v2
	v_or_b32_e32 v0, 0x100, v0
	v_addc_co_u32_e32 v3, vcc, v10, v3, vcc
	v_or_b32_e32 v4, v5, v4
	global_store_short v[2:3], v4, off
	s_or_b64 exec, exec, s[0:1]
	v_cmp_gt_i32_e32 vcc, s7, v0
	s_and_saveexec_b64 s[0:1], vcc
	s_cbranch_execz .LBB20_8
.LBB20_14:
	v_or_b32_e32 v2, v7, v1
	v_add_u32_e32 v3, 0x100, v0
	v_add_u32_e32 v0, s6, v0
	v_mov_b32_e32 v1, 0
	v_lshlrev_b64 v[0:1], 1, v[0:1]
	v_mov_b32_e32 v4, s9
	v_add_co_u32_e32 v0, vcc, s8, v0
	v_addc_co_u32_e32 v1, vcc, v4, v1, vcc
	global_store_short v[0:1], v2, off
	v_mov_b32_e32 v0, v3
	s_or_b64 exec, exec, s[0:1]
	v_cmp_gt_i32_e32 vcc, s7, v0
	s_and_saveexec_b64 s[0:1], vcc
	s_cbranch_execz .LBB20_9
.LBB20_15:
	v_add_u32_e32 v3, 0x100, v0
	v_add_u32_e32 v0, s6, v0
	v_mov_b32_e32 v1, 0
	v_lshlrev_b64 v[0:1], 1, v[0:1]
	v_mov_b32_e32 v4, s9
	v_add_co_u32_e32 v0, vcc, s8, v0
	v_or_b32_e32 v2, v9, v8
	v_addc_co_u32_e32 v1, vcc, v4, v1, vcc
	global_store_short v[0:1], v2, off
	v_mov_b32_e32 v0, v3
	s_or_b64 exec, exec, s[0:1]
	v_cmp_gt_i32_e32 vcc, s7, v0
	s_and_saveexec_b64 s[0:1], vcc
	s_cbranch_execz .LBB20_10
.LBB20_16:
	v_add_u32_e32 v0, s6, v0
	v_mov_b32_e32 v1, 0
	v_lshlrev_b64 v[0:1], 1, v[0:1]
	v_mov_b32_e32 v2, s9
	v_add_co_u32_e32 v0, vcc, s8, v0
	v_addc_co_u32_e32 v1, vcc, v2, v1, vcc
	global_store_short v[0:1], v6, off
	s_endpgm
	.section	.rodata,"a",@progbits
	.p2align	6, 0x0
	.amdhsa_kernel _ZN2at6native27unrolled_elementwise_kernelINS0_13BinaryFunctorIN3c104HalfES4_S4_ZNS0_20copysign_kernel_cudaERNS_18TensorIteratorBaseEEUlS4_S4_E_EESt5arrayIPcLm3EELi4E23TrivialOffsetCalculatorILi2EjESC_ILi1EjENS0_6memory15LoadWithoutCastENSF_16StoreWithoutCastEEEviT_T0_T2_T3_T4_T5_
		.amdhsa_group_segment_fixed_size 0
		.amdhsa_private_segment_fixed_size 0
		.amdhsa_kernarg_size 36
		.amdhsa_user_sgpr_count 6
		.amdhsa_user_sgpr_private_segment_buffer 1
		.amdhsa_user_sgpr_dispatch_ptr 0
		.amdhsa_user_sgpr_queue_ptr 0
		.amdhsa_user_sgpr_kernarg_segment_ptr 1
		.amdhsa_user_sgpr_dispatch_id 0
		.amdhsa_user_sgpr_flat_scratch_init 0
		.amdhsa_user_sgpr_kernarg_preload_length 0
		.amdhsa_user_sgpr_kernarg_preload_offset 0
		.amdhsa_user_sgpr_private_segment_size 0
		.amdhsa_uses_dynamic_stack 0
		.amdhsa_system_sgpr_private_segment_wavefront_offset 0
		.amdhsa_system_sgpr_workgroup_id_x 1
		.amdhsa_system_sgpr_workgroup_id_y 0
		.amdhsa_system_sgpr_workgroup_id_z 0
		.amdhsa_system_sgpr_workgroup_info 0
		.amdhsa_system_vgpr_workitem_id 0
		.amdhsa_next_free_vgpr 14
		.amdhsa_next_free_sgpr 12
		.amdhsa_accum_offset 16
		.amdhsa_reserve_vcc 1
		.amdhsa_reserve_flat_scratch 0
		.amdhsa_float_round_mode_32 0
		.amdhsa_float_round_mode_16_64 0
		.amdhsa_float_denorm_mode_32 3
		.amdhsa_float_denorm_mode_16_64 3
		.amdhsa_dx10_clamp 1
		.amdhsa_ieee_mode 1
		.amdhsa_fp16_overflow 0
		.amdhsa_tg_split 0
		.amdhsa_exception_fp_ieee_invalid_op 0
		.amdhsa_exception_fp_denorm_src 0
		.amdhsa_exception_fp_ieee_div_zero 0
		.amdhsa_exception_fp_ieee_overflow 0
		.amdhsa_exception_fp_ieee_underflow 0
		.amdhsa_exception_fp_ieee_inexact 0
		.amdhsa_exception_int_div_zero 0
	.end_amdhsa_kernel
	.section	.text._ZN2at6native27unrolled_elementwise_kernelINS0_13BinaryFunctorIN3c104HalfES4_S4_ZNS0_20copysign_kernel_cudaERNS_18TensorIteratorBaseEEUlS4_S4_E_EESt5arrayIPcLm3EELi4E23TrivialOffsetCalculatorILi2EjESC_ILi1EjENS0_6memory15LoadWithoutCastENSF_16StoreWithoutCastEEEviT_T0_T2_T3_T4_T5_,"axG",@progbits,_ZN2at6native27unrolled_elementwise_kernelINS0_13BinaryFunctorIN3c104HalfES4_S4_ZNS0_20copysign_kernel_cudaERNS_18TensorIteratorBaseEEUlS4_S4_E_EESt5arrayIPcLm3EELi4E23TrivialOffsetCalculatorILi2EjESC_ILi1EjENS0_6memory15LoadWithoutCastENSF_16StoreWithoutCastEEEviT_T0_T2_T3_T4_T5_,comdat
.Lfunc_end20:
	.size	_ZN2at6native27unrolled_elementwise_kernelINS0_13BinaryFunctorIN3c104HalfES4_S4_ZNS0_20copysign_kernel_cudaERNS_18TensorIteratorBaseEEUlS4_S4_E_EESt5arrayIPcLm3EELi4E23TrivialOffsetCalculatorILi2EjESC_ILi1EjENS0_6memory15LoadWithoutCastENSF_16StoreWithoutCastEEEviT_T0_T2_T3_T4_T5_, .Lfunc_end20-_ZN2at6native27unrolled_elementwise_kernelINS0_13BinaryFunctorIN3c104HalfES4_S4_ZNS0_20copysign_kernel_cudaERNS_18TensorIteratorBaseEEUlS4_S4_E_EESt5arrayIPcLm3EELi4E23TrivialOffsetCalculatorILi2EjESC_ILi1EjENS0_6memory15LoadWithoutCastENSF_16StoreWithoutCastEEEviT_T0_T2_T3_T4_T5_
                                        ; -- End function
	.section	.AMDGPU.csdata,"",@progbits
; Kernel info:
; codeLenInByte = 884
; NumSgprs: 16
; NumVgprs: 14
; NumAgprs: 0
; TotalNumVgprs: 14
; ScratchSize: 0
; MemoryBound: 0
; FloatMode: 240
; IeeeMode: 1
; LDSByteSize: 0 bytes/workgroup (compile time only)
; SGPRBlocks: 1
; VGPRBlocks: 1
; NumSGPRsForWavesPerEU: 16
; NumVGPRsForWavesPerEU: 14
; AccumOffset: 16
; Occupancy: 8
; WaveLimiterHint : 0
; COMPUTE_PGM_RSRC2:SCRATCH_EN: 0
; COMPUTE_PGM_RSRC2:USER_SGPR: 6
; COMPUTE_PGM_RSRC2:TRAP_HANDLER: 0
; COMPUTE_PGM_RSRC2:TGID_X_EN: 1
; COMPUTE_PGM_RSRC2:TGID_Y_EN: 0
; COMPUTE_PGM_RSRC2:TGID_Z_EN: 0
; COMPUTE_PGM_RSRC2:TIDIG_COMP_CNT: 0
; COMPUTE_PGM_RSRC3_GFX90A:ACCUM_OFFSET: 3
; COMPUTE_PGM_RSRC3_GFX90A:TG_SPLIT: 0
	.section	.text._ZN2at6native32elementwise_kernel_manual_unrollILi128ELi8EZNS0_22gpu_kernel_impl_nocastINS0_13BinaryFunctorIN3c104HalfES5_S5_ZNS0_20copysign_kernel_cudaERNS_18TensorIteratorBaseEEUlS5_S5_E_EEEEvS7_RKT_EUlibE_EEviT1_,"axG",@progbits,_ZN2at6native32elementwise_kernel_manual_unrollILi128ELi8EZNS0_22gpu_kernel_impl_nocastINS0_13BinaryFunctorIN3c104HalfES5_S5_ZNS0_20copysign_kernel_cudaERNS_18TensorIteratorBaseEEUlS5_S5_E_EEEEvS7_RKT_EUlibE_EEviT1_,comdat
	.globl	_ZN2at6native32elementwise_kernel_manual_unrollILi128ELi8EZNS0_22gpu_kernel_impl_nocastINS0_13BinaryFunctorIN3c104HalfES5_S5_ZNS0_20copysign_kernel_cudaERNS_18TensorIteratorBaseEEUlS5_S5_E_EEEEvS7_RKT_EUlibE_EEviT1_ ; -- Begin function _ZN2at6native32elementwise_kernel_manual_unrollILi128ELi8EZNS0_22gpu_kernel_impl_nocastINS0_13BinaryFunctorIN3c104HalfES5_S5_ZNS0_20copysign_kernel_cudaERNS_18TensorIteratorBaseEEUlS5_S5_E_EEEEvS7_RKT_EUlibE_EEviT1_
	.p2align	8
	.type	_ZN2at6native32elementwise_kernel_manual_unrollILi128ELi8EZNS0_22gpu_kernel_impl_nocastINS0_13BinaryFunctorIN3c104HalfES5_S5_ZNS0_20copysign_kernel_cudaERNS_18TensorIteratorBaseEEUlS5_S5_E_EEEEvS7_RKT_EUlibE_EEviT1_,@function
_ZN2at6native32elementwise_kernel_manual_unrollILi128ELi8EZNS0_22gpu_kernel_impl_nocastINS0_13BinaryFunctorIN3c104HalfES5_S5_ZNS0_20copysign_kernel_cudaERNS_18TensorIteratorBaseEEUlS5_S5_E_EEEEvS7_RKT_EUlibE_EEviT1_: ; @_ZN2at6native32elementwise_kernel_manual_unrollILi128ELi8EZNS0_22gpu_kernel_impl_nocastINS0_13BinaryFunctorIN3c104HalfES5_S5_ZNS0_20copysign_kernel_cudaERNS_18TensorIteratorBaseEEUlS5_S5_E_EEEEvS7_RKT_EUlibE_EEviT1_
; %bb.0:
	s_load_dword s36, s[4:5], 0x0
	s_load_dword s33, s[4:5], 0x8
	s_or_b32 s4, s4, 8
	v_lshl_or_b32 v36, s6, 10, v0
	v_or_b32_e32 v48, 0x380, v36
	s_waitcnt lgkmcnt(0)
	v_cmp_le_i32_e32 vcc, s36, v48
	s_add_i32 s34, s33, -1
	s_cmp_gt_u32 s34, 1
	s_cselect_b64 s[6:7], -1, 0
	s_and_saveexec_b64 s[0:1], vcc
	s_xor_b64 s[16:17], exec, s[0:1]
	s_cbranch_execz .LBB21_98
; %bb.1:
	s_load_dwordx4 s[12:15], s[4:5], 0x4
	s_load_dwordx2 s[22:23], s[4:5], 0x14
	s_load_dwordx4 s[8:11], s[4:5], 0xc4
	s_load_dwordx2 s[20:21], s[4:5], 0xd4
	s_load_dwordx2 s[18:19], s[4:5], 0x198
	s_load_dwordx4 s[0:3], s[4:5], 0x188
	s_cmp_lg_u32 s33, 0
	s_cselect_b64 s[26:27], -1, 0
	s_min_u32 s35, s34, 15
	s_cmp_gt_u32 s33, 1
	s_cselect_b64 s[24:25], -1, 0
	v_cmp_gt_i32_e32 vcc, s36, v36
	s_and_saveexec_b64 s[28:29], vcc
	s_cbranch_execnz .LBB21_9
; %bb.2:
	s_or_b64 exec, exec, s[28:29]
	v_cmp_gt_i32_e32 vcc, s36, v36
	s_and_saveexec_b64 s[28:29], vcc
	s_cbranch_execnz .LBB21_20
.LBB21_3:
	s_or_b64 exec, exec, s[28:29]
	v_cmp_gt_i32_e32 vcc, s36, v36
	s_and_saveexec_b64 s[28:29], vcc
	s_cbranch_execnz .LBB21_31
.LBB21_4:
	s_or_b64 exec, exec, s[28:29]
	v_cmp_gt_i32_e32 vcc, s36, v36
	s_and_saveexec_b64 s[28:29], vcc
	s_cbranch_execnz .LBB21_42
.LBB21_5:
	s_or_b64 exec, exec, s[28:29]
	v_cmp_gt_i32_e32 vcc, s36, v36
	s_and_saveexec_b64 s[28:29], vcc
	s_cbranch_execnz .LBB21_53
.LBB21_6:
	s_or_b64 exec, exec, s[28:29]
	v_cmp_gt_i32_e32 vcc, s36, v36
	s_and_saveexec_b64 s[28:29], vcc
	s_cbranch_execnz .LBB21_64
.LBB21_7:
	s_or_b64 exec, exec, s[28:29]
	v_cmp_gt_i32_e32 vcc, s36, v36
	s_and_saveexec_b64 s[28:29], vcc
	s_cbranch_execnz .LBB21_75
.LBB21_8:
	s_or_b64 exec, exec, s[28:29]
	v_cmp_gt_i32_e32 vcc, s36, v36
	s_and_saveexec_b64 s[28:29], vcc
	s_cbranch_execnz .LBB21_86
	s_branch .LBB21_97
.LBB21_9:
	s_andn2_b64 vcc, exec, s[6:7]
	s_cbranch_vccnz .LBB21_16
; %bb.10:
	s_andn2_b64 vcc, exec, s[26:27]
	v_mov_b32_e32 v2, 0
	v_mov_b32_e32 v4, 0
	;; [unrolled: 1-line block ×3, first 2 shown]
	s_cbranch_vccnz .LBB21_15
; %bb.11:
	s_add_i32 s30, s35, 1
	s_and_b32 s37, s30, 30
	s_add_u32 s30, s4, 0xffffffec
	s_addc_u32 s31, s5, -1
	v_mov_b32_e32 v0, 0
	v_mov_b32_e32 v1, v36
	;; [unrolled: 1-line block ×4, first 2 shown]
.LBB21_12:                              ; =>This Inner Loop Header: Depth=1
	s_mov_b64 s[38:39], s[30:31]
	s_load_dwordx4 s[40:43], s[38:39], 0x18
	s_load_dwordx2 s[48:49], s[38:39], 0x28
	s_load_dwordx2 s[50:51], s[38:39], 0xe8
	s_load_dwordx4 s[44:47], s[38:39], 0xd8
	s_add_u32 s30, s38, 24
	s_waitcnt lgkmcnt(0)
	v_mul_hi_u32 v3, s41, v1
	v_add_u32_e32 v3, v1, v3
	v_lshrrev_b32_e32 v3, s42, v3
	v_mul_lo_u32 v5, v3, s40
	v_mul_hi_u32 v6, s48, v3
	v_sub_u32_e32 v1, v1, v5
	v_add_u32_e32 v5, v3, v6
	v_mul_lo_u32 v6, v1, s44
	v_mul_lo_u32 v7, v1, s45
	;; [unrolled: 1-line block ×3, first 2 shown]
	v_lshrrev_b32_e32 v1, s49, v5
	v_mul_lo_u32 v5, v1, s43
	v_sub_u32_e32 v3, v3, v5
	s_addc_u32 s31, s39, 0
	s_add_i32 s37, s37, -2
	v_mul_lo_u32 v5, v3, s47
	v_mul_lo_u32 v9, v3, s50
	;; [unrolled: 1-line block ×3, first 2 shown]
	s_cmp_lg_u32 s37, 0
	v_add3_u32 v0, v6, v0, v5
	v_add3_u32 v2, v8, v2, v3
	;; [unrolled: 1-line block ×3, first 2 shown]
	s_cbranch_scc1 .LBB21_12
; %bb.13:
	s_bitcmp1_b32 s35, 0
	s_cselect_b64 s[38:39], -1, 0
	s_and_b64 vcc, exec, s[38:39]
	s_cbranch_vccnz .LBB21_15
; %bb.14:
	s_load_dwordx2 s[38:39], s[30:31], 0x18
	s_load_dword s37, s[30:31], 0x20
	s_load_dword s42, s[30:31], 0xe0
	s_load_dwordx2 s[40:41], s[30:31], 0xd8
	s_waitcnt lgkmcnt(0)
	v_mul_hi_u32 v3, s39, v1
	v_add_u32_e32 v3, v1, v3
	v_lshrrev_b32_e32 v3, s37, v3
	v_mul_lo_u32 v3, v3, s38
	v_sub_u32_e32 v3, v1, v3
	v_mad_u64_u32 v[0:1], s[30:31], v3, s40, v[0:1]
	v_mad_u64_u32 v[4:5], s[30:31], v3, s41, v[4:5]
	;; [unrolled: 1-line block ×3, first 2 shown]
.LBB21_15:
	s_cbranch_execz .LBB21_17
	s_branch .LBB21_19
.LBB21_16:
                                        ; implicit-def: $vgpr2
                                        ; implicit-def: $vgpr4
                                        ; implicit-def: $vgpr0
.LBB21_17:
	s_waitcnt lgkmcnt(0)
	v_mul_hi_u32 v0, s13, v36
	v_add_u32_e32 v0, v36, v0
	v_lshrrev_b32_e32 v1, s14, v0
	v_mul_lo_u32 v0, v1, s12
	v_sub_u32_e32 v3, v36, v0
	v_mul_lo_u32 v0, v3, s8
	v_mul_lo_u32 v2, v3, s10
	s_andn2_b64 vcc, exec, s[24:25]
	v_mul_lo_u32 v4, v3, s9
	s_cbranch_vccnz .LBB21_19
; %bb.18:
	v_mul_hi_u32 v3, s22, v1
	v_add_u32_e32 v3, v1, v3
	v_lshrrev_b32_e32 v3, s23, v3
	v_mul_lo_u32 v3, v3, s15
	v_sub_u32_e32 v3, v1, v3
	v_mad_u64_u32 v[0:1], s[30:31], v3, s11, v[0:1]
	v_mad_u64_u32 v[4:5], s[30:31], v3, s20, v[4:5]
	;; [unrolled: 1-line block ×3, first 2 shown]
.LBB21_19:
	s_waitcnt lgkmcnt(0)
	global_load_ushort v1, v4, s[2:3]
	global_load_ushort v3, v2, s[18:19]
	v_add_u32_e32 v36, 0x80, v36
	s_waitcnt vmcnt(1)
	v_and_b32_e32 v1, 0x7fff, v1
	s_waitcnt vmcnt(0)
	v_and_b32_e32 v2, 0xffff8000, v3
	v_or_b32_e32 v1, v2, v1
	global_store_short v0, v1, s[0:1]
	s_or_b64 exec, exec, s[28:29]
	v_cmp_gt_i32_e32 vcc, s36, v36
	s_and_saveexec_b64 s[28:29], vcc
	s_cbranch_execz .LBB21_3
.LBB21_20:
	s_andn2_b64 vcc, exec, s[6:7]
	s_cbranch_vccnz .LBB21_27
; %bb.21:
	s_andn2_b64 vcc, exec, s[26:27]
	v_mov_b32_e32 v2, 0
	v_mov_b32_e32 v4, 0
	;; [unrolled: 1-line block ×3, first 2 shown]
	s_cbranch_vccnz .LBB21_26
; %bb.22:
	s_add_i32 s30, s35, 1
	s_and_b32 s37, s30, 30
	s_add_u32 s30, s4, 0xffffffec
	s_addc_u32 s31, s5, -1
	v_mov_b32_e32 v0, 0
	v_mov_b32_e32 v1, v36
	;; [unrolled: 1-line block ×4, first 2 shown]
.LBB21_23:                              ; =>This Inner Loop Header: Depth=1
	s_mov_b64 s[38:39], s[30:31]
	s_load_dwordx4 s[40:43], s[38:39], 0x18
	s_load_dwordx2 s[48:49], s[38:39], 0x28
	s_load_dwordx2 s[50:51], s[38:39], 0xe8
	s_load_dwordx4 s[44:47], s[38:39], 0xd8
	s_add_u32 s30, s38, 24
	s_waitcnt lgkmcnt(0)
	v_mul_hi_u32 v3, s41, v1
	v_add_u32_e32 v3, v1, v3
	v_lshrrev_b32_e32 v3, s42, v3
	v_mul_lo_u32 v5, v3, s40
	v_mul_hi_u32 v6, s48, v3
	v_sub_u32_e32 v1, v1, v5
	v_add_u32_e32 v5, v3, v6
	v_mul_lo_u32 v6, v1, s44
	v_mul_lo_u32 v7, v1, s45
	;; [unrolled: 1-line block ×3, first 2 shown]
	v_lshrrev_b32_e32 v1, s49, v5
	v_mul_lo_u32 v5, v1, s43
	v_sub_u32_e32 v3, v3, v5
	s_addc_u32 s31, s39, 0
	s_add_i32 s37, s37, -2
	v_mul_lo_u32 v5, v3, s47
	v_mul_lo_u32 v9, v3, s50
	;; [unrolled: 1-line block ×3, first 2 shown]
	s_cmp_eq_u32 s37, 0
	v_add3_u32 v0, v6, v0, v5
	v_add3_u32 v2, v8, v2, v3
	;; [unrolled: 1-line block ×3, first 2 shown]
	s_cbranch_scc0 .LBB21_23
; %bb.24:
	s_bitcmp1_b32 s35, 0
	s_cselect_b64 s[38:39], -1, 0
	s_and_b64 vcc, exec, s[38:39]
	s_cbranch_vccnz .LBB21_26
; %bb.25:
	s_load_dwordx2 s[38:39], s[30:31], 0x18
	s_load_dword s37, s[30:31], 0x20
	s_load_dword s42, s[30:31], 0xe0
	s_load_dwordx2 s[40:41], s[30:31], 0xd8
	s_waitcnt lgkmcnt(0)
	v_mul_hi_u32 v3, s39, v1
	v_add_u32_e32 v3, v1, v3
	v_lshrrev_b32_e32 v3, s37, v3
	v_mul_lo_u32 v3, v3, s38
	v_sub_u32_e32 v3, v1, v3
	v_mad_u64_u32 v[0:1], s[30:31], v3, s40, v[0:1]
	v_mad_u64_u32 v[4:5], s[30:31], v3, s41, v[4:5]
	v_mad_u64_u32 v[2:3], s[30:31], v3, s42, v[2:3]
.LBB21_26:
	s_cbranch_execz .LBB21_28
	s_branch .LBB21_30
.LBB21_27:
                                        ; implicit-def: $vgpr2
                                        ; implicit-def: $vgpr4
                                        ; implicit-def: $vgpr0
.LBB21_28:
	s_waitcnt lgkmcnt(0)
	v_mul_hi_u32 v0, s13, v36
	v_add_u32_e32 v0, v36, v0
	v_lshrrev_b32_e32 v1, s14, v0
	v_mul_lo_u32 v0, v1, s12
	v_sub_u32_e32 v3, v36, v0
	v_mul_lo_u32 v0, v3, s8
	v_mul_lo_u32 v2, v3, s10
	s_andn2_b64 vcc, exec, s[24:25]
	v_mul_lo_u32 v4, v3, s9
	s_cbranch_vccnz .LBB21_30
; %bb.29:
	v_mul_hi_u32 v3, s22, v1
	v_add_u32_e32 v3, v1, v3
	v_lshrrev_b32_e32 v3, s23, v3
	v_mul_lo_u32 v3, v3, s15
	v_sub_u32_e32 v3, v1, v3
	v_mad_u64_u32 v[0:1], s[30:31], v3, s11, v[0:1]
	v_mad_u64_u32 v[4:5], s[30:31], v3, s20, v[4:5]
	;; [unrolled: 1-line block ×3, first 2 shown]
.LBB21_30:
	s_waitcnt lgkmcnt(0)
	global_load_ushort v1, v4, s[2:3]
	global_load_ushort v3, v2, s[18:19]
	v_add_u32_e32 v36, 0x80, v36
	s_waitcnt vmcnt(1)
	v_and_b32_e32 v1, 0x7fff, v1
	s_waitcnt vmcnt(0)
	v_and_b32_e32 v2, 0xffff8000, v3
	v_or_b32_e32 v1, v2, v1
	global_store_short v0, v1, s[0:1]
	s_or_b64 exec, exec, s[28:29]
	v_cmp_gt_i32_e32 vcc, s36, v36
	s_and_saveexec_b64 s[28:29], vcc
	s_cbranch_execz .LBB21_4
.LBB21_31:
	s_andn2_b64 vcc, exec, s[6:7]
	s_cbranch_vccnz .LBB21_38
; %bb.32:
	s_andn2_b64 vcc, exec, s[26:27]
	v_mov_b32_e32 v2, 0
	v_mov_b32_e32 v4, 0
	;; [unrolled: 1-line block ×3, first 2 shown]
	s_cbranch_vccnz .LBB21_37
; %bb.33:
	s_add_i32 s30, s35, 1
	s_and_b32 s37, s30, 30
	s_add_u32 s30, s4, 0xffffffec
	s_addc_u32 s31, s5, -1
	v_mov_b32_e32 v0, 0
	v_mov_b32_e32 v1, v36
	;; [unrolled: 1-line block ×4, first 2 shown]
.LBB21_34:                              ; =>This Inner Loop Header: Depth=1
	s_mov_b64 s[38:39], s[30:31]
	s_load_dwordx4 s[40:43], s[38:39], 0x18
	s_load_dwordx2 s[48:49], s[38:39], 0x28
	s_load_dwordx2 s[50:51], s[38:39], 0xe8
	s_load_dwordx4 s[44:47], s[38:39], 0xd8
	s_add_u32 s30, s38, 24
	s_waitcnt lgkmcnt(0)
	v_mul_hi_u32 v3, s41, v1
	v_add_u32_e32 v3, v1, v3
	v_lshrrev_b32_e32 v3, s42, v3
	v_mul_lo_u32 v5, v3, s40
	v_mul_hi_u32 v6, s48, v3
	v_sub_u32_e32 v1, v1, v5
	v_add_u32_e32 v5, v3, v6
	v_mul_lo_u32 v6, v1, s44
	v_mul_lo_u32 v7, v1, s45
	;; [unrolled: 1-line block ×3, first 2 shown]
	v_lshrrev_b32_e32 v1, s49, v5
	v_mul_lo_u32 v5, v1, s43
	v_sub_u32_e32 v3, v3, v5
	s_addc_u32 s31, s39, 0
	s_add_i32 s37, s37, -2
	v_mul_lo_u32 v5, v3, s47
	v_mul_lo_u32 v9, v3, s50
	;; [unrolled: 1-line block ×3, first 2 shown]
	s_cmp_eq_u32 s37, 0
	v_add3_u32 v0, v6, v0, v5
	v_add3_u32 v2, v8, v2, v3
	;; [unrolled: 1-line block ×3, first 2 shown]
	s_cbranch_scc0 .LBB21_34
; %bb.35:
	s_bitcmp1_b32 s35, 0
	s_cselect_b64 s[38:39], -1, 0
	s_and_b64 vcc, exec, s[38:39]
	s_cbranch_vccnz .LBB21_37
; %bb.36:
	s_load_dwordx2 s[38:39], s[30:31], 0x18
	s_load_dword s37, s[30:31], 0x20
	s_load_dword s42, s[30:31], 0xe0
	s_load_dwordx2 s[40:41], s[30:31], 0xd8
	s_waitcnt lgkmcnt(0)
	v_mul_hi_u32 v3, s39, v1
	v_add_u32_e32 v3, v1, v3
	v_lshrrev_b32_e32 v3, s37, v3
	v_mul_lo_u32 v3, v3, s38
	v_sub_u32_e32 v3, v1, v3
	v_mad_u64_u32 v[0:1], s[30:31], v3, s40, v[0:1]
	v_mad_u64_u32 v[4:5], s[30:31], v3, s41, v[4:5]
	;; [unrolled: 1-line block ×3, first 2 shown]
.LBB21_37:
	s_cbranch_execz .LBB21_39
	s_branch .LBB21_41
.LBB21_38:
                                        ; implicit-def: $vgpr2
                                        ; implicit-def: $vgpr4
                                        ; implicit-def: $vgpr0
.LBB21_39:
	s_waitcnt lgkmcnt(0)
	v_mul_hi_u32 v0, s13, v36
	v_add_u32_e32 v0, v36, v0
	v_lshrrev_b32_e32 v1, s14, v0
	v_mul_lo_u32 v0, v1, s12
	v_sub_u32_e32 v3, v36, v0
	v_mul_lo_u32 v0, v3, s8
	v_mul_lo_u32 v2, v3, s10
	s_andn2_b64 vcc, exec, s[24:25]
	v_mul_lo_u32 v4, v3, s9
	s_cbranch_vccnz .LBB21_41
; %bb.40:
	v_mul_hi_u32 v3, s22, v1
	v_add_u32_e32 v3, v1, v3
	v_lshrrev_b32_e32 v3, s23, v3
	v_mul_lo_u32 v3, v3, s15
	v_sub_u32_e32 v3, v1, v3
	v_mad_u64_u32 v[0:1], s[30:31], v3, s11, v[0:1]
	v_mad_u64_u32 v[4:5], s[30:31], v3, s20, v[4:5]
	;; [unrolled: 1-line block ×3, first 2 shown]
.LBB21_41:
	s_waitcnt lgkmcnt(0)
	global_load_ushort v1, v4, s[2:3]
	global_load_ushort v3, v2, s[18:19]
	v_add_u32_e32 v36, 0x80, v36
	s_waitcnt vmcnt(1)
	v_and_b32_e32 v1, 0x7fff, v1
	s_waitcnt vmcnt(0)
	v_and_b32_e32 v2, 0xffff8000, v3
	v_or_b32_e32 v1, v2, v1
	global_store_short v0, v1, s[0:1]
	s_or_b64 exec, exec, s[28:29]
	v_cmp_gt_i32_e32 vcc, s36, v36
	s_and_saveexec_b64 s[28:29], vcc
	s_cbranch_execz .LBB21_5
.LBB21_42:
	s_andn2_b64 vcc, exec, s[6:7]
	s_cbranch_vccnz .LBB21_49
; %bb.43:
	s_andn2_b64 vcc, exec, s[26:27]
	v_mov_b32_e32 v2, 0
	v_mov_b32_e32 v4, 0
	;; [unrolled: 1-line block ×3, first 2 shown]
	s_cbranch_vccnz .LBB21_48
; %bb.44:
	s_add_i32 s30, s35, 1
	s_and_b32 s37, s30, 30
	s_add_u32 s30, s4, 0xffffffec
	s_addc_u32 s31, s5, -1
	v_mov_b32_e32 v0, 0
	v_mov_b32_e32 v1, v36
	;; [unrolled: 1-line block ×4, first 2 shown]
.LBB21_45:                              ; =>This Inner Loop Header: Depth=1
	s_mov_b64 s[38:39], s[30:31]
	s_load_dwordx4 s[40:43], s[38:39], 0x18
	s_load_dwordx2 s[48:49], s[38:39], 0x28
	s_load_dwordx2 s[50:51], s[38:39], 0xe8
	s_load_dwordx4 s[44:47], s[38:39], 0xd8
	s_add_u32 s30, s38, 24
	s_waitcnt lgkmcnt(0)
	v_mul_hi_u32 v3, s41, v1
	v_add_u32_e32 v3, v1, v3
	v_lshrrev_b32_e32 v3, s42, v3
	v_mul_lo_u32 v5, v3, s40
	v_mul_hi_u32 v6, s48, v3
	v_sub_u32_e32 v1, v1, v5
	v_add_u32_e32 v5, v3, v6
	v_mul_lo_u32 v6, v1, s44
	v_mul_lo_u32 v7, v1, s45
	;; [unrolled: 1-line block ×3, first 2 shown]
	v_lshrrev_b32_e32 v1, s49, v5
	v_mul_lo_u32 v5, v1, s43
	v_sub_u32_e32 v3, v3, v5
	s_addc_u32 s31, s39, 0
	s_add_i32 s37, s37, -2
	v_mul_lo_u32 v5, v3, s47
	v_mul_lo_u32 v9, v3, s50
	;; [unrolled: 1-line block ×3, first 2 shown]
	s_cmp_eq_u32 s37, 0
	v_add3_u32 v0, v6, v0, v5
	v_add3_u32 v2, v8, v2, v3
	;; [unrolled: 1-line block ×3, first 2 shown]
	s_cbranch_scc0 .LBB21_45
; %bb.46:
	s_bitcmp1_b32 s35, 0
	s_cselect_b64 s[38:39], -1, 0
	s_and_b64 vcc, exec, s[38:39]
	s_cbranch_vccnz .LBB21_48
; %bb.47:
	s_load_dwordx2 s[38:39], s[30:31], 0x18
	s_load_dword s37, s[30:31], 0x20
	s_load_dword s42, s[30:31], 0xe0
	s_load_dwordx2 s[40:41], s[30:31], 0xd8
	s_waitcnt lgkmcnt(0)
	v_mul_hi_u32 v3, s39, v1
	v_add_u32_e32 v3, v1, v3
	v_lshrrev_b32_e32 v3, s37, v3
	v_mul_lo_u32 v3, v3, s38
	v_sub_u32_e32 v3, v1, v3
	v_mad_u64_u32 v[0:1], s[30:31], v3, s40, v[0:1]
	v_mad_u64_u32 v[4:5], s[30:31], v3, s41, v[4:5]
	;; [unrolled: 1-line block ×3, first 2 shown]
.LBB21_48:
	s_cbranch_execz .LBB21_50
	s_branch .LBB21_52
.LBB21_49:
                                        ; implicit-def: $vgpr2
                                        ; implicit-def: $vgpr4
                                        ; implicit-def: $vgpr0
.LBB21_50:
	s_waitcnt lgkmcnt(0)
	v_mul_hi_u32 v0, s13, v36
	v_add_u32_e32 v0, v36, v0
	v_lshrrev_b32_e32 v1, s14, v0
	v_mul_lo_u32 v0, v1, s12
	v_sub_u32_e32 v3, v36, v0
	v_mul_lo_u32 v0, v3, s8
	v_mul_lo_u32 v2, v3, s10
	s_andn2_b64 vcc, exec, s[24:25]
	v_mul_lo_u32 v4, v3, s9
	s_cbranch_vccnz .LBB21_52
; %bb.51:
	v_mul_hi_u32 v3, s22, v1
	v_add_u32_e32 v3, v1, v3
	v_lshrrev_b32_e32 v3, s23, v3
	v_mul_lo_u32 v3, v3, s15
	v_sub_u32_e32 v3, v1, v3
	v_mad_u64_u32 v[0:1], s[30:31], v3, s11, v[0:1]
	v_mad_u64_u32 v[4:5], s[30:31], v3, s20, v[4:5]
	;; [unrolled: 1-line block ×3, first 2 shown]
.LBB21_52:
	s_waitcnt lgkmcnt(0)
	global_load_ushort v1, v4, s[2:3]
	global_load_ushort v3, v2, s[18:19]
	v_add_u32_e32 v36, 0x80, v36
	s_waitcnt vmcnt(1)
	v_and_b32_e32 v1, 0x7fff, v1
	s_waitcnt vmcnt(0)
	v_and_b32_e32 v2, 0xffff8000, v3
	v_or_b32_e32 v1, v2, v1
	global_store_short v0, v1, s[0:1]
	s_or_b64 exec, exec, s[28:29]
	v_cmp_gt_i32_e32 vcc, s36, v36
	s_and_saveexec_b64 s[28:29], vcc
	s_cbranch_execz .LBB21_6
.LBB21_53:
	s_andn2_b64 vcc, exec, s[6:7]
	s_cbranch_vccnz .LBB21_60
; %bb.54:
	s_andn2_b64 vcc, exec, s[26:27]
	v_mov_b32_e32 v2, 0
	v_mov_b32_e32 v4, 0
	;; [unrolled: 1-line block ×3, first 2 shown]
	s_cbranch_vccnz .LBB21_59
; %bb.55:
	s_add_i32 s30, s35, 1
	s_and_b32 s37, s30, 30
	s_add_u32 s30, s4, 0xffffffec
	s_addc_u32 s31, s5, -1
	v_mov_b32_e32 v0, 0
	v_mov_b32_e32 v1, v36
	;; [unrolled: 1-line block ×4, first 2 shown]
.LBB21_56:                              ; =>This Inner Loop Header: Depth=1
	s_mov_b64 s[38:39], s[30:31]
	s_load_dwordx4 s[40:43], s[38:39], 0x18
	s_load_dwordx2 s[48:49], s[38:39], 0x28
	s_load_dwordx2 s[50:51], s[38:39], 0xe8
	s_load_dwordx4 s[44:47], s[38:39], 0xd8
	s_add_u32 s30, s38, 24
	s_waitcnt lgkmcnt(0)
	v_mul_hi_u32 v3, s41, v1
	v_add_u32_e32 v3, v1, v3
	v_lshrrev_b32_e32 v3, s42, v3
	v_mul_lo_u32 v5, v3, s40
	v_mul_hi_u32 v6, s48, v3
	v_sub_u32_e32 v1, v1, v5
	v_add_u32_e32 v5, v3, v6
	v_mul_lo_u32 v6, v1, s44
	v_mul_lo_u32 v7, v1, s45
	;; [unrolled: 1-line block ×3, first 2 shown]
	v_lshrrev_b32_e32 v1, s49, v5
	v_mul_lo_u32 v5, v1, s43
	v_sub_u32_e32 v3, v3, v5
	s_addc_u32 s31, s39, 0
	s_add_i32 s37, s37, -2
	v_mul_lo_u32 v5, v3, s47
	v_mul_lo_u32 v9, v3, s50
	;; [unrolled: 1-line block ×3, first 2 shown]
	s_cmp_eq_u32 s37, 0
	v_add3_u32 v0, v6, v0, v5
	v_add3_u32 v2, v8, v2, v3
	;; [unrolled: 1-line block ×3, first 2 shown]
	s_cbranch_scc0 .LBB21_56
; %bb.57:
	s_bitcmp1_b32 s35, 0
	s_cselect_b64 s[38:39], -1, 0
	s_and_b64 vcc, exec, s[38:39]
	s_cbranch_vccnz .LBB21_59
; %bb.58:
	s_load_dwordx2 s[38:39], s[30:31], 0x18
	s_load_dword s37, s[30:31], 0x20
	s_load_dword s42, s[30:31], 0xe0
	s_load_dwordx2 s[40:41], s[30:31], 0xd8
	s_waitcnt lgkmcnt(0)
	v_mul_hi_u32 v3, s39, v1
	v_add_u32_e32 v3, v1, v3
	v_lshrrev_b32_e32 v3, s37, v3
	v_mul_lo_u32 v3, v3, s38
	v_sub_u32_e32 v3, v1, v3
	v_mad_u64_u32 v[0:1], s[30:31], v3, s40, v[0:1]
	v_mad_u64_u32 v[4:5], s[30:31], v3, s41, v[4:5]
	;; [unrolled: 1-line block ×3, first 2 shown]
.LBB21_59:
	s_cbranch_execz .LBB21_61
	s_branch .LBB21_63
.LBB21_60:
                                        ; implicit-def: $vgpr2
                                        ; implicit-def: $vgpr4
                                        ; implicit-def: $vgpr0
.LBB21_61:
	s_waitcnt lgkmcnt(0)
	v_mul_hi_u32 v0, s13, v36
	v_add_u32_e32 v0, v36, v0
	v_lshrrev_b32_e32 v1, s14, v0
	v_mul_lo_u32 v0, v1, s12
	v_sub_u32_e32 v3, v36, v0
	v_mul_lo_u32 v0, v3, s8
	v_mul_lo_u32 v2, v3, s10
	s_andn2_b64 vcc, exec, s[24:25]
	v_mul_lo_u32 v4, v3, s9
	s_cbranch_vccnz .LBB21_63
; %bb.62:
	v_mul_hi_u32 v3, s22, v1
	v_add_u32_e32 v3, v1, v3
	v_lshrrev_b32_e32 v3, s23, v3
	v_mul_lo_u32 v3, v3, s15
	v_sub_u32_e32 v3, v1, v3
	v_mad_u64_u32 v[0:1], s[30:31], v3, s11, v[0:1]
	v_mad_u64_u32 v[4:5], s[30:31], v3, s20, v[4:5]
	;; [unrolled: 1-line block ×3, first 2 shown]
.LBB21_63:
	s_waitcnt lgkmcnt(0)
	global_load_ushort v1, v4, s[2:3]
	global_load_ushort v3, v2, s[18:19]
	v_add_u32_e32 v36, 0x80, v36
	s_waitcnt vmcnt(1)
	v_and_b32_e32 v1, 0x7fff, v1
	s_waitcnt vmcnt(0)
	v_and_b32_e32 v2, 0xffff8000, v3
	v_or_b32_e32 v1, v2, v1
	global_store_short v0, v1, s[0:1]
	s_or_b64 exec, exec, s[28:29]
	v_cmp_gt_i32_e32 vcc, s36, v36
	s_and_saveexec_b64 s[28:29], vcc
	s_cbranch_execz .LBB21_7
.LBB21_64:
	s_andn2_b64 vcc, exec, s[6:7]
	s_cbranch_vccnz .LBB21_71
; %bb.65:
	s_andn2_b64 vcc, exec, s[26:27]
	v_mov_b32_e32 v2, 0
	v_mov_b32_e32 v4, 0
	;; [unrolled: 1-line block ×3, first 2 shown]
	s_cbranch_vccnz .LBB21_70
; %bb.66:
	s_add_i32 s30, s35, 1
	s_and_b32 s37, s30, 30
	s_add_u32 s30, s4, 0xffffffec
	s_addc_u32 s31, s5, -1
	v_mov_b32_e32 v0, 0
	v_mov_b32_e32 v1, v36
	;; [unrolled: 1-line block ×4, first 2 shown]
.LBB21_67:                              ; =>This Inner Loop Header: Depth=1
	s_mov_b64 s[38:39], s[30:31]
	s_load_dwordx4 s[40:43], s[38:39], 0x18
	s_load_dwordx2 s[48:49], s[38:39], 0x28
	s_load_dwordx2 s[50:51], s[38:39], 0xe8
	s_load_dwordx4 s[44:47], s[38:39], 0xd8
	s_add_u32 s30, s38, 24
	s_waitcnt lgkmcnt(0)
	v_mul_hi_u32 v3, s41, v1
	v_add_u32_e32 v3, v1, v3
	v_lshrrev_b32_e32 v3, s42, v3
	v_mul_lo_u32 v5, v3, s40
	v_mul_hi_u32 v6, s48, v3
	v_sub_u32_e32 v1, v1, v5
	v_add_u32_e32 v5, v3, v6
	v_mul_lo_u32 v6, v1, s44
	v_mul_lo_u32 v7, v1, s45
	;; [unrolled: 1-line block ×3, first 2 shown]
	v_lshrrev_b32_e32 v1, s49, v5
	v_mul_lo_u32 v5, v1, s43
	v_sub_u32_e32 v3, v3, v5
	s_addc_u32 s31, s39, 0
	s_add_i32 s37, s37, -2
	v_mul_lo_u32 v5, v3, s47
	v_mul_lo_u32 v9, v3, s50
	;; [unrolled: 1-line block ×3, first 2 shown]
	s_cmp_eq_u32 s37, 0
	v_add3_u32 v0, v6, v0, v5
	v_add3_u32 v2, v8, v2, v3
	;; [unrolled: 1-line block ×3, first 2 shown]
	s_cbranch_scc0 .LBB21_67
; %bb.68:
	s_bitcmp1_b32 s35, 0
	s_cselect_b64 s[38:39], -1, 0
	s_and_b64 vcc, exec, s[38:39]
	s_cbranch_vccnz .LBB21_70
; %bb.69:
	s_load_dwordx2 s[38:39], s[30:31], 0x18
	s_load_dword s37, s[30:31], 0x20
	s_load_dword s42, s[30:31], 0xe0
	s_load_dwordx2 s[40:41], s[30:31], 0xd8
	s_waitcnt lgkmcnt(0)
	v_mul_hi_u32 v3, s39, v1
	v_add_u32_e32 v3, v1, v3
	v_lshrrev_b32_e32 v3, s37, v3
	v_mul_lo_u32 v3, v3, s38
	v_sub_u32_e32 v3, v1, v3
	v_mad_u64_u32 v[0:1], s[30:31], v3, s40, v[0:1]
	v_mad_u64_u32 v[4:5], s[30:31], v3, s41, v[4:5]
	;; [unrolled: 1-line block ×3, first 2 shown]
.LBB21_70:
	s_cbranch_execz .LBB21_72
	s_branch .LBB21_74
.LBB21_71:
                                        ; implicit-def: $vgpr2
                                        ; implicit-def: $vgpr4
                                        ; implicit-def: $vgpr0
.LBB21_72:
	s_waitcnt lgkmcnt(0)
	v_mul_hi_u32 v0, s13, v36
	v_add_u32_e32 v0, v36, v0
	v_lshrrev_b32_e32 v1, s14, v0
	v_mul_lo_u32 v0, v1, s12
	v_sub_u32_e32 v3, v36, v0
	v_mul_lo_u32 v0, v3, s8
	v_mul_lo_u32 v2, v3, s10
	s_andn2_b64 vcc, exec, s[24:25]
	v_mul_lo_u32 v4, v3, s9
	s_cbranch_vccnz .LBB21_74
; %bb.73:
	v_mul_hi_u32 v3, s22, v1
	v_add_u32_e32 v3, v1, v3
	v_lshrrev_b32_e32 v3, s23, v3
	v_mul_lo_u32 v3, v3, s15
	v_sub_u32_e32 v3, v1, v3
	v_mad_u64_u32 v[0:1], s[30:31], v3, s11, v[0:1]
	v_mad_u64_u32 v[4:5], s[30:31], v3, s20, v[4:5]
	;; [unrolled: 1-line block ×3, first 2 shown]
.LBB21_74:
	s_waitcnt lgkmcnt(0)
	global_load_ushort v1, v4, s[2:3]
	global_load_ushort v3, v2, s[18:19]
	v_add_u32_e32 v36, 0x80, v36
	s_waitcnt vmcnt(1)
	v_and_b32_e32 v1, 0x7fff, v1
	s_waitcnt vmcnt(0)
	v_and_b32_e32 v2, 0xffff8000, v3
	v_or_b32_e32 v1, v2, v1
	global_store_short v0, v1, s[0:1]
	s_or_b64 exec, exec, s[28:29]
	v_cmp_gt_i32_e32 vcc, s36, v36
	s_and_saveexec_b64 s[28:29], vcc
	s_cbranch_execz .LBB21_8
.LBB21_75:
	s_andn2_b64 vcc, exec, s[6:7]
	s_cbranch_vccnz .LBB21_82
; %bb.76:
	s_andn2_b64 vcc, exec, s[26:27]
	v_mov_b32_e32 v2, 0
	v_mov_b32_e32 v4, 0
	v_mov_b32_e32 v0, 0
	s_cbranch_vccnz .LBB21_81
; %bb.77:
	s_add_i32 s30, s35, 1
	s_and_b32 s37, s30, 30
	s_add_u32 s30, s4, 0xffffffec
	s_addc_u32 s31, s5, -1
	v_mov_b32_e32 v0, 0
	v_mov_b32_e32 v1, v36
	;; [unrolled: 1-line block ×4, first 2 shown]
.LBB21_78:                              ; =>This Inner Loop Header: Depth=1
	s_mov_b64 s[38:39], s[30:31]
	s_load_dwordx4 s[40:43], s[38:39], 0x18
	s_load_dwordx2 s[48:49], s[38:39], 0x28
	s_load_dwordx2 s[50:51], s[38:39], 0xe8
	s_load_dwordx4 s[44:47], s[38:39], 0xd8
	s_add_u32 s30, s38, 24
	s_waitcnt lgkmcnt(0)
	v_mul_hi_u32 v3, s41, v1
	v_add_u32_e32 v3, v1, v3
	v_lshrrev_b32_e32 v3, s42, v3
	v_mul_lo_u32 v5, v3, s40
	v_mul_hi_u32 v6, s48, v3
	v_sub_u32_e32 v1, v1, v5
	v_add_u32_e32 v5, v3, v6
	v_mul_lo_u32 v6, v1, s44
	v_mul_lo_u32 v7, v1, s45
	;; [unrolled: 1-line block ×3, first 2 shown]
	v_lshrrev_b32_e32 v1, s49, v5
	v_mul_lo_u32 v5, v1, s43
	v_sub_u32_e32 v3, v3, v5
	s_addc_u32 s31, s39, 0
	s_add_i32 s37, s37, -2
	v_mul_lo_u32 v5, v3, s47
	v_mul_lo_u32 v9, v3, s50
	;; [unrolled: 1-line block ×3, first 2 shown]
	s_cmp_eq_u32 s37, 0
	v_add3_u32 v0, v6, v0, v5
	v_add3_u32 v2, v8, v2, v3
	;; [unrolled: 1-line block ×3, first 2 shown]
	s_cbranch_scc0 .LBB21_78
; %bb.79:
	s_bitcmp1_b32 s35, 0
	s_cselect_b64 s[38:39], -1, 0
	s_and_b64 vcc, exec, s[38:39]
	s_cbranch_vccnz .LBB21_81
; %bb.80:
	s_load_dwordx2 s[38:39], s[30:31], 0x18
	s_load_dword s37, s[30:31], 0x20
	s_load_dword s42, s[30:31], 0xe0
	s_load_dwordx2 s[40:41], s[30:31], 0xd8
	s_waitcnt lgkmcnt(0)
	v_mul_hi_u32 v3, s39, v1
	v_add_u32_e32 v3, v1, v3
	v_lshrrev_b32_e32 v3, s37, v3
	v_mul_lo_u32 v3, v3, s38
	v_sub_u32_e32 v3, v1, v3
	v_mad_u64_u32 v[0:1], s[30:31], v3, s40, v[0:1]
	v_mad_u64_u32 v[4:5], s[30:31], v3, s41, v[4:5]
	;; [unrolled: 1-line block ×3, first 2 shown]
.LBB21_81:
	s_cbranch_execz .LBB21_83
	s_branch .LBB21_85
.LBB21_82:
                                        ; implicit-def: $vgpr2
                                        ; implicit-def: $vgpr4
                                        ; implicit-def: $vgpr0
.LBB21_83:
	s_waitcnt lgkmcnt(0)
	v_mul_hi_u32 v0, s13, v36
	v_add_u32_e32 v0, v36, v0
	v_lshrrev_b32_e32 v1, s14, v0
	v_mul_lo_u32 v0, v1, s12
	v_sub_u32_e32 v3, v36, v0
	v_mul_lo_u32 v0, v3, s8
	v_mul_lo_u32 v2, v3, s10
	s_andn2_b64 vcc, exec, s[24:25]
	v_mul_lo_u32 v4, v3, s9
	s_cbranch_vccnz .LBB21_85
; %bb.84:
	v_mul_hi_u32 v3, s22, v1
	v_add_u32_e32 v3, v1, v3
	v_lshrrev_b32_e32 v3, s23, v3
	v_mul_lo_u32 v3, v3, s15
	v_sub_u32_e32 v3, v1, v3
	v_mad_u64_u32 v[0:1], s[30:31], v3, s11, v[0:1]
	v_mad_u64_u32 v[4:5], s[30:31], v3, s20, v[4:5]
	;; [unrolled: 1-line block ×3, first 2 shown]
.LBB21_85:
	s_waitcnt lgkmcnt(0)
	global_load_ushort v1, v4, s[2:3]
	global_load_ushort v3, v2, s[18:19]
	v_add_u32_e32 v36, 0x80, v36
	s_waitcnt vmcnt(1)
	v_and_b32_e32 v1, 0x7fff, v1
	s_waitcnt vmcnt(0)
	v_and_b32_e32 v2, 0xffff8000, v3
	v_or_b32_e32 v1, v2, v1
	global_store_short v0, v1, s[0:1]
	s_or_b64 exec, exec, s[28:29]
	v_cmp_gt_i32_e32 vcc, s36, v36
	s_and_saveexec_b64 s[28:29], vcc
	s_cbranch_execz .LBB21_97
.LBB21_86:
	s_andn2_b64 vcc, exec, s[6:7]
	s_cbranch_vccnz .LBB21_93
; %bb.87:
	s_andn2_b64 vcc, exec, s[26:27]
	v_mov_b32_e32 v2, 0
	v_mov_b32_e32 v4, 0
	;; [unrolled: 1-line block ×3, first 2 shown]
	s_cbranch_vccnz .LBB21_92
; %bb.88:
	s_add_i32 s26, s35, 1
	s_and_b32 s30, s26, 30
	s_add_u32 s26, s4, 0xffffffec
	s_addc_u32 s27, s5, -1
	v_mov_b32_e32 v0, 0
	v_mov_b32_e32 v1, v36
	;; [unrolled: 1-line block ×4, first 2 shown]
.LBB21_89:                              ; =>This Inner Loop Header: Depth=1
	s_mov_b64 s[44:45], s[26:27]
	s_load_dwordx4 s[36:39], s[44:45], 0x18
	s_load_dwordx2 s[46:47], s[44:45], 0x28
	s_load_dwordx2 s[48:49], s[44:45], 0xe8
	s_load_dwordx4 s[40:43], s[44:45], 0xd8
	s_add_u32 s26, s44, 24
	s_waitcnt lgkmcnt(0)
	v_mul_hi_u32 v3, s37, v1
	v_add_u32_e32 v3, v1, v3
	v_lshrrev_b32_e32 v3, s38, v3
	v_mul_lo_u32 v5, v3, s36
	v_mul_hi_u32 v6, s46, v3
	v_sub_u32_e32 v1, v1, v5
	v_add_u32_e32 v5, v3, v6
	v_mul_lo_u32 v6, v1, s40
	v_mul_lo_u32 v7, v1, s41
	;; [unrolled: 1-line block ×3, first 2 shown]
	v_lshrrev_b32_e32 v1, s47, v5
	v_mul_lo_u32 v5, v1, s39
	v_sub_u32_e32 v3, v3, v5
	s_addc_u32 s27, s45, 0
	s_add_i32 s30, s30, -2
	v_mul_lo_u32 v5, v3, s43
	v_mul_lo_u32 v9, v3, s48
	;; [unrolled: 1-line block ×3, first 2 shown]
	s_cmp_eq_u32 s30, 0
	v_add3_u32 v0, v6, v0, v5
	v_add3_u32 v2, v8, v2, v3
	;; [unrolled: 1-line block ×3, first 2 shown]
	s_cbranch_scc0 .LBB21_89
; %bb.90:
	s_bitcmp1_b32 s35, 0
	s_cselect_b64 s[30:31], -1, 0
	s_and_b64 vcc, exec, s[30:31]
	s_cbranch_vccnz .LBB21_92
; %bb.91:
	s_load_dwordx2 s[30:31], s[26:27], 0x18
	s_load_dword s35, s[26:27], 0x20
	s_load_dword s38, s[26:27], 0xe0
	s_load_dwordx2 s[36:37], s[26:27], 0xd8
	s_waitcnt lgkmcnt(0)
	v_mul_hi_u32 v3, s31, v1
	v_add_u32_e32 v3, v1, v3
	v_lshrrev_b32_e32 v3, s35, v3
	v_mul_lo_u32 v3, v3, s30
	v_sub_u32_e32 v3, v1, v3
	v_mad_u64_u32 v[0:1], s[26:27], v3, s36, v[0:1]
	v_mad_u64_u32 v[4:5], s[26:27], v3, s37, v[4:5]
	;; [unrolled: 1-line block ×3, first 2 shown]
.LBB21_92:
	s_cbranch_execz .LBB21_94
	s_branch .LBB21_96
.LBB21_93:
                                        ; implicit-def: $vgpr2
                                        ; implicit-def: $vgpr4
                                        ; implicit-def: $vgpr0
.LBB21_94:
	s_waitcnt lgkmcnt(0)
	v_mul_hi_u32 v0, s13, v36
	v_add_u32_e32 v0, v36, v0
	v_lshrrev_b32_e32 v1, s14, v0
	v_mul_lo_u32 v0, v1, s12
	v_sub_u32_e32 v3, v36, v0
	v_mul_lo_u32 v0, v3, s8
	v_mul_lo_u32 v2, v3, s10
	s_andn2_b64 vcc, exec, s[24:25]
	v_mul_lo_u32 v4, v3, s9
	s_cbranch_vccnz .LBB21_96
; %bb.95:
	v_mul_hi_u32 v3, s22, v1
	v_add_u32_e32 v3, v1, v3
	v_lshrrev_b32_e32 v3, s23, v3
	v_mul_lo_u32 v3, v3, s15
	v_sub_u32_e32 v3, v1, v3
	v_mad_u64_u32 v[0:1], s[8:9], v3, s11, v[0:1]
	v_mad_u64_u32 v[4:5], s[8:9], v3, s20, v[4:5]
	;; [unrolled: 1-line block ×3, first 2 shown]
.LBB21_96:
	s_waitcnt lgkmcnt(0)
	global_load_ushort v1, v4, s[2:3]
	global_load_ushort v3, v2, s[18:19]
	s_waitcnt vmcnt(1)
	v_and_b32_e32 v1, 0x7fff, v1
	s_waitcnt vmcnt(0)
	v_and_b32_e32 v2, 0xffff8000, v3
	v_or_b32_e32 v1, v2, v1
	global_store_short v0, v1, s[0:1]
.LBB21_97:
	s_or_b64 exec, exec, s[28:29]
                                        ; implicit-def: $vgpr48
                                        ; implicit-def: $vgpr36
.LBB21_98:
	s_waitcnt lgkmcnt(0)
	s_andn2_saveexec_b64 s[0:1], s[16:17]
	s_cbranch_execz .LBB21_105
; %bb.99:
	v_cndmask_b32_e64 v0, 0, 1, s[6:7]
	v_cmp_ne_u32_e64 s[0:1], 1, v0
	s_andn2_b64 vcc, exec, s[6:7]
	s_cbranch_vccnz .LBB21_106
; %bb.100:
	s_cmp_lg_u32 s33, 0
	v_mov_b32_e32 v2, 0
	v_mov_b32_e32 v4, 0
	;; [unrolled: 1-line block ×3, first 2 shown]
	s_cbranch_scc0 .LBB21_107
; %bb.101:
	s_min_u32 s6, s34, 15
	s_add_i32 s2, s6, 1
	s_and_b32 s7, s2, 30
	s_add_u32 s2, s4, 0xffffffec
	s_addc_u32 s3, s5, -1
	v_mov_b32_e32 v0, 0
	v_mov_b32_e32 v1, v36
	;; [unrolled: 1-line block ×4, first 2 shown]
.LBB21_102:                             ; =>This Inner Loop Header: Depth=1
	s_mov_b64 s[16:17], s[2:3]
	s_load_dwordx4 s[8:11], s[16:17], 0x18
	s_load_dwordx2 s[18:19], s[16:17], 0x28
	s_load_dwordx2 s[20:21], s[16:17], 0xe8
	s_load_dwordx4 s[12:15], s[16:17], 0xd8
	s_add_u32 s2, s16, 24
	s_waitcnt lgkmcnt(0)
	v_mul_hi_u32 v3, s9, v1
	v_add_u32_e32 v3, v1, v3
	v_lshrrev_b32_e32 v3, s10, v3
	v_mul_lo_u32 v5, v3, s8
	v_mul_hi_u32 v6, s18, v3
	v_sub_u32_e32 v1, v1, v5
	v_add_u32_e32 v5, v3, v6
	v_mul_lo_u32 v6, v1, s12
	v_mul_lo_u32 v7, v1, s13
	;; [unrolled: 1-line block ×3, first 2 shown]
	v_lshrrev_b32_e32 v1, s19, v5
	v_mul_lo_u32 v5, v1, s11
	v_sub_u32_e32 v3, v3, v5
	s_addc_u32 s3, s17, 0
	s_add_i32 s7, s7, -2
	v_mul_lo_u32 v5, v3, s15
	v_mul_lo_u32 v9, v3, s20
	;; [unrolled: 1-line block ×3, first 2 shown]
	s_cmp_lg_u32 s7, 0
	v_add3_u32 v0, v6, v0, v5
	v_add3_u32 v2, v8, v2, v3
	;; [unrolled: 1-line block ×3, first 2 shown]
	s_cbranch_scc1 .LBB21_102
; %bb.103:
	s_bitcmp1_b32 s6, 0
	s_cselect_b64 s[6:7], -1, 0
	s_and_b64 vcc, exec, s[6:7]
	s_cbranch_vccnz .LBB21_107
; %bb.104:
	s_load_dwordx2 s[6:7], s[2:3], 0x18
	s_load_dword s10, s[2:3], 0x20
	s_load_dword s11, s[2:3], 0xe0
	s_load_dwordx2 s[8:9], s[2:3], 0xd8
	s_waitcnt lgkmcnt(0)
	v_mul_hi_u32 v3, s7, v1
	v_add_u32_e32 v3, v1, v3
	v_lshrrev_b32_e32 v3, s10, v3
	v_mul_lo_u32 v3, v3, s6
	v_sub_u32_e32 v3, v1, v3
	v_mad_u64_u32 v[0:1], s[2:3], v3, s8, v[0:1]
	v_mad_u64_u32 v[4:5], s[2:3], v3, s9, v[4:5]
	;; [unrolled: 1-line block ×3, first 2 shown]
	s_cbranch_execz .LBB21_108
	s_branch .LBB21_110
.LBB21_105:
	s_endpgm
.LBB21_106:
                                        ; implicit-def: $vgpr2
                                        ; implicit-def: $vgpr4
                                        ; implicit-def: $vgpr0
	s_branch .LBB21_108
.LBB21_107:
	s_cbranch_execnz .LBB21_110
.LBB21_108:
	s_load_dwordx4 s[8:11], s[4:5], 0x4
	s_load_dwordx4 s[12:15], s[4:5], 0xc4
	s_cmp_lt_u32 s33, 2
	s_waitcnt lgkmcnt(0)
	v_mul_hi_u32 v0, s9, v36
	v_add_u32_e32 v0, v36, v0
	v_lshrrev_b32_e32 v1, s10, v0
	v_mul_lo_u32 v0, v1, s8
	v_sub_u32_e32 v3, v36, v0
	v_mul_lo_u32 v0, v3, s12
	v_mul_lo_u32 v2, v3, s14
	;; [unrolled: 1-line block ×3, first 2 shown]
	s_cbranch_scc1 .LBB21_110
; %bb.109:
	s_load_dwordx4 s[8:11], s[4:5], 0x10
	s_load_dwordx4 s[12:15], s[4:5], 0xd0
	s_waitcnt lgkmcnt(0)
	v_mul_hi_u32 v3, s9, v1
	v_add_u32_e32 v3, v1, v3
	v_lshrrev_b32_e32 v3, s10, v3
	v_mul_lo_u32 v3, v3, s8
	v_sub_u32_e32 v3, v1, v3
	v_mad_u64_u32 v[0:1], s[2:3], v3, s12, v[0:1]
	v_mad_u64_u32 v[4:5], s[2:3], v3, s13, v[4:5]
	;; [unrolled: 1-line block ×3, first 2 shown]
.LBB21_110:
	s_and_b64 vcc, exec, s[0:1]
	v_add_u32_e32 v1, 0x80, v36
	s_cbranch_vccnz .LBB21_116
; %bb.111:
	s_cmp_lg_u32 s33, 0
	v_mov_b32_e32 v8, 0
	v_mov_b32_e32 v10, 0
	;; [unrolled: 1-line block ×3, first 2 shown]
	s_cbranch_scc0 .LBB21_117
; %bb.112:
	s_min_u32 s6, s34, 15
	s_add_i32 s2, s6, 1
	s_and_b32 s7, s2, 30
	s_add_u32 s2, s4, 0xffffffec
	s_addc_u32 s3, s5, -1
	v_mov_b32_e32 v6, 0
	v_mov_b32_e32 v3, v1
	;; [unrolled: 1-line block ×4, first 2 shown]
.LBB21_113:                             ; =>This Inner Loop Header: Depth=1
	s_mov_b64 s[16:17], s[2:3]
	s_load_dwordx4 s[8:11], s[16:17], 0x18
	s_load_dwordx2 s[18:19], s[16:17], 0x28
	s_load_dwordx2 s[20:21], s[16:17], 0xe8
	s_load_dwordx4 s[12:15], s[16:17], 0xd8
	s_add_u32 s2, s16, 24
	s_waitcnt lgkmcnt(0)
	v_mul_hi_u32 v5, s9, v3
	v_add_u32_e32 v5, v3, v5
	v_lshrrev_b32_e32 v5, s10, v5
	v_mul_lo_u32 v7, v5, s8
	v_mul_hi_u32 v9, s18, v5
	v_sub_u32_e32 v3, v3, v7
	v_add_u32_e32 v7, v5, v9
	v_mul_lo_u32 v9, v3, s12
	v_mul_lo_u32 v11, v3, s13
	;; [unrolled: 1-line block ×3, first 2 shown]
	v_lshrrev_b32_e32 v3, s19, v7
	v_mul_lo_u32 v7, v3, s11
	v_sub_u32_e32 v5, v5, v7
	s_addc_u32 s3, s17, 0
	s_add_i32 s7, s7, -2
	v_mul_lo_u32 v7, v5, s15
	v_mul_lo_u32 v13, v5, s20
	;; [unrolled: 1-line block ×3, first 2 shown]
	s_cmp_lg_u32 s7, 0
	v_add3_u32 v6, v9, v6, v7
	v_add3_u32 v8, v12, v8, v5
	;; [unrolled: 1-line block ×3, first 2 shown]
	s_cbranch_scc1 .LBB21_113
; %bb.114:
	s_bitcmp1_b32 s6, 0
	s_cselect_b64 s[6:7], -1, 0
	s_and_b64 vcc, exec, s[6:7]
	s_cbranch_vccnz .LBB21_117
; %bb.115:
	s_load_dwordx2 s[6:7], s[2:3], 0x18
	s_load_dword s10, s[2:3], 0x20
	s_load_dword s11, s[2:3], 0xe0
	s_load_dwordx2 s[8:9], s[2:3], 0xd8
	s_waitcnt lgkmcnt(0)
	v_mul_hi_u32 v5, s7, v3
	v_add_u32_e32 v5, v3, v5
	v_lshrrev_b32_e32 v5, s10, v5
	v_mul_lo_u32 v5, v5, s6
	v_sub_u32_e32 v3, v3, v5
	v_mad_u64_u32 v[6:7], s[2:3], v3, s8, v[6:7]
	v_mad_u64_u32 v[10:11], s[2:3], v3, s9, v[10:11]
	;; [unrolled: 1-line block ×3, first 2 shown]
	s_cbranch_execz .LBB21_118
	s_branch .LBB21_120
.LBB21_116:
                                        ; implicit-def: $vgpr8
                                        ; implicit-def: $vgpr10
                                        ; implicit-def: $vgpr6
	s_branch .LBB21_118
.LBB21_117:
	s_cbranch_execnz .LBB21_120
.LBB21_118:
	s_load_dwordx4 s[8:11], s[4:5], 0x4
	s_load_dwordx4 s[12:15], s[4:5], 0xc4
	s_cmp_lt_u32 s33, 2
	s_waitcnt lgkmcnt(0)
	v_mul_hi_u32 v3, s9, v1
	v_add_u32_e32 v3, v1, v3
	v_lshrrev_b32_e32 v3, s10, v3
	v_mul_lo_u32 v5, v3, s8
	v_sub_u32_e32 v1, v1, v5
	v_mul_lo_u32 v6, v1, s12
	v_mul_lo_u32 v8, v1, s14
	;; [unrolled: 1-line block ×3, first 2 shown]
	s_cbranch_scc1 .LBB21_120
; %bb.119:
	s_load_dwordx4 s[8:11], s[4:5], 0x10
	s_load_dwordx4 s[12:15], s[4:5], 0xd0
	s_waitcnt lgkmcnt(0)
	v_mul_hi_u32 v1, s9, v3
	v_add_u32_e32 v1, v3, v1
	v_lshrrev_b32_e32 v1, s10, v1
	v_mul_lo_u32 v1, v1, s8
	v_sub_u32_e32 v1, v3, v1
	v_mad_u64_u32 v[6:7], s[2:3], v1, s12, v[6:7]
	v_mad_u64_u32 v[10:11], s[2:3], v1, s13, v[10:11]
	;; [unrolled: 1-line block ×3, first 2 shown]
.LBB21_120:
	s_and_b64 vcc, exec, s[0:1]
	v_add_u32_e32 v1, 0x100, v36
	s_cbranch_vccnz .LBB21_126
; %bb.121:
	s_cmp_lg_u32 s33, 0
	v_mov_b32_e32 v14, 0
	v_mov_b32_e32 v16, 0
	;; [unrolled: 1-line block ×3, first 2 shown]
	s_cbranch_scc0 .LBB21_127
; %bb.122:
	s_min_u32 s6, s34, 15
	s_add_i32 s2, s6, 1
	s_and_b32 s7, s2, 30
	s_add_u32 s2, s4, 0xffffffec
	s_addc_u32 s3, s5, -1
	v_mov_b32_e32 v12, 0
	v_mov_b32_e32 v3, v1
	;; [unrolled: 1-line block ×4, first 2 shown]
.LBB21_123:                             ; =>This Inner Loop Header: Depth=1
	s_mov_b64 s[16:17], s[2:3]
	s_load_dwordx4 s[8:11], s[16:17], 0x18
	s_load_dwordx2 s[18:19], s[16:17], 0x28
	s_load_dwordx2 s[20:21], s[16:17], 0xe8
	s_load_dwordx4 s[12:15], s[16:17], 0xd8
	s_add_u32 s2, s16, 24
	s_waitcnt lgkmcnt(0)
	v_mul_hi_u32 v5, s9, v3
	v_add_u32_e32 v5, v3, v5
	v_lshrrev_b32_e32 v5, s10, v5
	v_mul_lo_u32 v7, v5, s8
	v_mul_hi_u32 v9, s18, v5
	v_sub_u32_e32 v3, v3, v7
	v_add_u32_e32 v7, v5, v9
	v_mul_lo_u32 v9, v3, s12
	v_mul_lo_u32 v11, v3, s13
	;; [unrolled: 1-line block ×3, first 2 shown]
	v_lshrrev_b32_e32 v3, s19, v7
	v_mul_lo_u32 v7, v3, s11
	v_sub_u32_e32 v5, v5, v7
	s_addc_u32 s3, s17, 0
	s_add_i32 s7, s7, -2
	v_mul_lo_u32 v7, v5, s15
	v_mul_lo_u32 v15, v5, s20
	;; [unrolled: 1-line block ×3, first 2 shown]
	s_cmp_lg_u32 s7, 0
	v_add3_u32 v12, v9, v12, v7
	v_add3_u32 v14, v13, v14, v5
	;; [unrolled: 1-line block ×3, first 2 shown]
	s_cbranch_scc1 .LBB21_123
; %bb.124:
	s_bitcmp1_b32 s6, 0
	s_cselect_b64 s[6:7], -1, 0
	s_and_b64 vcc, exec, s[6:7]
	s_cbranch_vccnz .LBB21_127
; %bb.125:
	s_load_dwordx2 s[6:7], s[2:3], 0x18
	s_load_dword s10, s[2:3], 0x20
	s_load_dword s11, s[2:3], 0xe0
	s_load_dwordx2 s[8:9], s[2:3], 0xd8
	s_waitcnt lgkmcnt(0)
	v_mul_hi_u32 v5, s7, v3
	v_add_u32_e32 v5, v3, v5
	v_lshrrev_b32_e32 v5, s10, v5
	v_mul_lo_u32 v5, v5, s6
	v_sub_u32_e32 v3, v3, v5
	v_mad_u64_u32 v[12:13], s[2:3], v3, s8, v[12:13]
	v_mad_u64_u32 v[16:17], s[2:3], v3, s9, v[16:17]
	;; [unrolled: 1-line block ×3, first 2 shown]
	s_cbranch_execz .LBB21_128
	s_branch .LBB21_130
.LBB21_126:
                                        ; implicit-def: $vgpr14
                                        ; implicit-def: $vgpr16
                                        ; implicit-def: $vgpr12
	s_branch .LBB21_128
.LBB21_127:
	s_cbranch_execnz .LBB21_130
.LBB21_128:
	s_load_dwordx4 s[8:11], s[4:5], 0x4
	s_load_dwordx4 s[12:15], s[4:5], 0xc4
	s_cmp_lt_u32 s33, 2
	s_waitcnt lgkmcnt(0)
	v_mul_hi_u32 v3, s9, v1
	v_add_u32_e32 v3, v1, v3
	v_lshrrev_b32_e32 v3, s10, v3
	v_mul_lo_u32 v5, v3, s8
	v_sub_u32_e32 v1, v1, v5
	v_mul_lo_u32 v12, v1, s12
	v_mul_lo_u32 v14, v1, s14
	;; [unrolled: 1-line block ×3, first 2 shown]
	s_cbranch_scc1 .LBB21_130
; %bb.129:
	s_load_dwordx4 s[8:11], s[4:5], 0x10
	s_load_dwordx4 s[12:15], s[4:5], 0xd0
	s_waitcnt lgkmcnt(0)
	v_mul_hi_u32 v1, s9, v3
	v_add_u32_e32 v1, v3, v1
	v_lshrrev_b32_e32 v1, s10, v1
	v_mul_lo_u32 v1, v1, s8
	v_sub_u32_e32 v1, v3, v1
	v_mad_u64_u32 v[12:13], s[2:3], v1, s12, v[12:13]
	v_mad_u64_u32 v[16:17], s[2:3], v1, s13, v[16:17]
	;; [unrolled: 1-line block ×3, first 2 shown]
.LBB21_130:
	s_and_b64 vcc, exec, s[0:1]
	v_add_u32_e32 v1, 0x180, v36
	s_cbranch_vccnz .LBB21_136
; %bb.131:
	s_cmp_lg_u32 s33, 0
	v_mov_b32_e32 v20, 0
	v_mov_b32_e32 v22, 0
	;; [unrolled: 1-line block ×3, first 2 shown]
	s_cbranch_scc0 .LBB21_137
; %bb.132:
	s_min_u32 s6, s34, 15
	s_add_i32 s2, s6, 1
	s_and_b32 s7, s2, 30
	s_add_u32 s2, s4, 0xffffffec
	s_addc_u32 s3, s5, -1
	v_mov_b32_e32 v18, 0
	v_mov_b32_e32 v3, v1
	;; [unrolled: 1-line block ×4, first 2 shown]
.LBB21_133:                             ; =>This Inner Loop Header: Depth=1
	s_mov_b64 s[16:17], s[2:3]
	s_load_dwordx4 s[8:11], s[16:17], 0x18
	s_load_dwordx2 s[18:19], s[16:17], 0x28
	s_load_dwordx2 s[20:21], s[16:17], 0xe8
	s_load_dwordx4 s[12:15], s[16:17], 0xd8
	s_add_u32 s2, s16, 24
	s_waitcnt lgkmcnt(0)
	v_mul_hi_u32 v5, s9, v3
	v_add_u32_e32 v5, v3, v5
	v_lshrrev_b32_e32 v5, s10, v5
	v_mul_lo_u32 v7, v5, s8
	v_mul_hi_u32 v9, s18, v5
	v_sub_u32_e32 v3, v3, v7
	v_add_u32_e32 v7, v5, v9
	v_mul_lo_u32 v9, v3, s12
	v_mul_lo_u32 v11, v3, s13
	;; [unrolled: 1-line block ×3, first 2 shown]
	v_lshrrev_b32_e32 v3, s19, v7
	v_mul_lo_u32 v7, v3, s11
	v_sub_u32_e32 v5, v5, v7
	s_addc_u32 s3, s17, 0
	s_add_i32 s7, s7, -2
	v_mul_lo_u32 v7, v5, s15
	v_mul_lo_u32 v15, v5, s20
	;; [unrolled: 1-line block ×3, first 2 shown]
	s_cmp_lg_u32 s7, 0
	v_add3_u32 v18, v9, v18, v7
	v_add3_u32 v20, v13, v20, v5
	;; [unrolled: 1-line block ×3, first 2 shown]
	s_cbranch_scc1 .LBB21_133
; %bb.134:
	s_bitcmp1_b32 s6, 0
	s_cselect_b64 s[6:7], -1, 0
	s_and_b64 vcc, exec, s[6:7]
	s_cbranch_vccnz .LBB21_137
; %bb.135:
	s_load_dwordx2 s[6:7], s[2:3], 0x18
	s_load_dword s10, s[2:3], 0x20
	s_load_dword s11, s[2:3], 0xe0
	s_load_dwordx2 s[8:9], s[2:3], 0xd8
	s_waitcnt lgkmcnt(0)
	v_mul_hi_u32 v5, s7, v3
	v_add_u32_e32 v5, v3, v5
	v_lshrrev_b32_e32 v5, s10, v5
	v_mul_lo_u32 v5, v5, s6
	v_sub_u32_e32 v3, v3, v5
	v_mad_u64_u32 v[18:19], s[2:3], v3, s8, v[18:19]
	v_mad_u64_u32 v[22:23], s[2:3], v3, s9, v[22:23]
	;; [unrolled: 1-line block ×3, first 2 shown]
	s_cbranch_execz .LBB21_138
	s_branch .LBB21_140
.LBB21_136:
                                        ; implicit-def: $vgpr20
                                        ; implicit-def: $vgpr22
                                        ; implicit-def: $vgpr18
	s_branch .LBB21_138
.LBB21_137:
	s_cbranch_execnz .LBB21_140
.LBB21_138:
	s_load_dwordx4 s[8:11], s[4:5], 0x4
	s_load_dwordx4 s[12:15], s[4:5], 0xc4
	s_cmp_lt_u32 s33, 2
	s_waitcnt lgkmcnt(0)
	v_mul_hi_u32 v3, s9, v1
	v_add_u32_e32 v3, v1, v3
	v_lshrrev_b32_e32 v3, s10, v3
	v_mul_lo_u32 v5, v3, s8
	v_sub_u32_e32 v1, v1, v5
	v_mul_lo_u32 v18, v1, s12
	v_mul_lo_u32 v20, v1, s14
	v_mul_lo_u32 v22, v1, s13
	s_cbranch_scc1 .LBB21_140
; %bb.139:
	s_load_dwordx4 s[8:11], s[4:5], 0x10
	s_load_dwordx4 s[12:15], s[4:5], 0xd0
	s_waitcnt lgkmcnt(0)
	v_mul_hi_u32 v1, s9, v3
	v_add_u32_e32 v1, v3, v1
	v_lshrrev_b32_e32 v1, s10, v1
	v_mul_lo_u32 v1, v1, s8
	v_sub_u32_e32 v1, v3, v1
	v_mad_u64_u32 v[18:19], s[2:3], v1, s12, v[18:19]
	v_mad_u64_u32 v[22:23], s[2:3], v1, s13, v[22:23]
	v_mad_u64_u32 v[20:21], s[2:3], v1, s14, v[20:21]
.LBB21_140:
	s_and_b64 vcc, exec, s[0:1]
	v_add_u32_e32 v1, 0x200, v36
	s_cbranch_vccnz .LBB21_146
; %bb.141:
	s_cmp_lg_u32 s33, 0
	v_mov_b32_e32 v26, 0
	v_mov_b32_e32 v28, 0
	;; [unrolled: 1-line block ×3, first 2 shown]
	s_cbranch_scc0 .LBB21_147
; %bb.142:
	s_min_u32 s6, s34, 15
	s_add_i32 s2, s6, 1
	s_and_b32 s7, s2, 30
	s_add_u32 s2, s4, 0xffffffec
	s_addc_u32 s3, s5, -1
	v_mov_b32_e32 v24, 0
	v_mov_b32_e32 v3, v1
	;; [unrolled: 1-line block ×4, first 2 shown]
.LBB21_143:                             ; =>This Inner Loop Header: Depth=1
	s_mov_b64 s[16:17], s[2:3]
	s_load_dwordx4 s[8:11], s[16:17], 0x18
	s_load_dwordx2 s[18:19], s[16:17], 0x28
	s_load_dwordx2 s[20:21], s[16:17], 0xe8
	s_load_dwordx4 s[12:15], s[16:17], 0xd8
	s_add_u32 s2, s16, 24
	s_waitcnt lgkmcnt(0)
	v_mul_hi_u32 v5, s9, v3
	v_add_u32_e32 v5, v3, v5
	v_lshrrev_b32_e32 v5, s10, v5
	v_mul_lo_u32 v7, v5, s8
	v_mul_hi_u32 v9, s18, v5
	v_sub_u32_e32 v3, v3, v7
	v_add_u32_e32 v7, v5, v9
	v_mul_lo_u32 v9, v3, s12
	v_mul_lo_u32 v11, v3, s13
	;; [unrolled: 1-line block ×3, first 2 shown]
	v_lshrrev_b32_e32 v3, s19, v7
	v_mul_lo_u32 v7, v3, s11
	v_sub_u32_e32 v5, v5, v7
	s_addc_u32 s3, s17, 0
	s_add_i32 s7, s7, -2
	v_mul_lo_u32 v7, v5, s15
	v_mul_lo_u32 v15, v5, s20
	;; [unrolled: 1-line block ×3, first 2 shown]
	s_cmp_lg_u32 s7, 0
	v_add3_u32 v24, v9, v24, v7
	v_add3_u32 v26, v13, v26, v5
	;; [unrolled: 1-line block ×3, first 2 shown]
	s_cbranch_scc1 .LBB21_143
; %bb.144:
	s_bitcmp1_b32 s6, 0
	s_cselect_b64 s[6:7], -1, 0
	s_and_b64 vcc, exec, s[6:7]
	s_cbranch_vccnz .LBB21_147
; %bb.145:
	s_load_dwordx2 s[6:7], s[2:3], 0x18
	s_load_dword s10, s[2:3], 0x20
	s_load_dword s11, s[2:3], 0xe0
	s_load_dwordx2 s[8:9], s[2:3], 0xd8
	s_waitcnt lgkmcnt(0)
	v_mul_hi_u32 v5, s7, v3
	v_add_u32_e32 v5, v3, v5
	v_lshrrev_b32_e32 v5, s10, v5
	v_mul_lo_u32 v5, v5, s6
	v_sub_u32_e32 v3, v3, v5
	v_mad_u64_u32 v[24:25], s[2:3], v3, s8, v[24:25]
	v_mad_u64_u32 v[28:29], s[2:3], v3, s9, v[28:29]
	;; [unrolled: 1-line block ×3, first 2 shown]
	s_cbranch_execz .LBB21_148
	s_branch .LBB21_150
.LBB21_146:
                                        ; implicit-def: $vgpr26
                                        ; implicit-def: $vgpr28
                                        ; implicit-def: $vgpr24
	s_branch .LBB21_148
.LBB21_147:
	s_cbranch_execnz .LBB21_150
.LBB21_148:
	s_load_dwordx4 s[8:11], s[4:5], 0x4
	s_load_dwordx4 s[12:15], s[4:5], 0xc4
	s_cmp_lt_u32 s33, 2
	s_waitcnt lgkmcnt(0)
	v_mul_hi_u32 v3, s9, v1
	v_add_u32_e32 v3, v1, v3
	v_lshrrev_b32_e32 v3, s10, v3
	v_mul_lo_u32 v5, v3, s8
	v_sub_u32_e32 v1, v1, v5
	v_mul_lo_u32 v24, v1, s12
	v_mul_lo_u32 v26, v1, s14
	v_mul_lo_u32 v28, v1, s13
	s_cbranch_scc1 .LBB21_150
; %bb.149:
	s_load_dwordx4 s[8:11], s[4:5], 0x10
	s_load_dwordx4 s[12:15], s[4:5], 0xd0
	s_waitcnt lgkmcnt(0)
	v_mul_hi_u32 v1, s9, v3
	v_add_u32_e32 v1, v3, v1
	v_lshrrev_b32_e32 v1, s10, v1
	v_mul_lo_u32 v1, v1, s8
	v_sub_u32_e32 v1, v3, v1
	v_mad_u64_u32 v[24:25], s[2:3], v1, s12, v[24:25]
	v_mad_u64_u32 v[28:29], s[2:3], v1, s13, v[28:29]
	;; [unrolled: 1-line block ×3, first 2 shown]
.LBB21_150:
	s_and_b64 vcc, exec, s[0:1]
	v_add_u32_e32 v1, 0x280, v36
	s_cbranch_vccnz .LBB21_156
; %bb.151:
	s_cmp_lg_u32 s33, 0
	v_mov_b32_e32 v32, 0
	v_mov_b32_e32 v34, 0
	;; [unrolled: 1-line block ×3, first 2 shown]
	s_cbranch_scc0 .LBB21_157
; %bb.152:
	s_min_u32 s6, s34, 15
	s_add_i32 s2, s6, 1
	s_and_b32 s7, s2, 30
	s_add_u32 s2, s4, 0xffffffec
	s_addc_u32 s3, s5, -1
	v_mov_b32_e32 v30, 0
	v_mov_b32_e32 v3, v1
	;; [unrolled: 1-line block ×4, first 2 shown]
.LBB21_153:                             ; =>This Inner Loop Header: Depth=1
	s_mov_b64 s[16:17], s[2:3]
	s_load_dwordx4 s[8:11], s[16:17], 0x18
	s_load_dwordx2 s[18:19], s[16:17], 0x28
	s_load_dwordx2 s[20:21], s[16:17], 0xe8
	s_load_dwordx4 s[12:15], s[16:17], 0xd8
	s_add_u32 s2, s16, 24
	s_waitcnt lgkmcnt(0)
	v_mul_hi_u32 v5, s9, v3
	v_add_u32_e32 v5, v3, v5
	v_lshrrev_b32_e32 v5, s10, v5
	v_mul_lo_u32 v7, v5, s8
	v_mul_hi_u32 v9, s18, v5
	v_sub_u32_e32 v3, v3, v7
	v_add_u32_e32 v7, v5, v9
	v_mul_lo_u32 v9, v3, s12
	v_mul_lo_u32 v11, v3, s13
	;; [unrolled: 1-line block ×3, first 2 shown]
	v_lshrrev_b32_e32 v3, s19, v7
	v_mul_lo_u32 v7, v3, s11
	v_sub_u32_e32 v5, v5, v7
	s_addc_u32 s3, s17, 0
	s_add_i32 s7, s7, -2
	v_mul_lo_u32 v7, v5, s15
	v_mul_lo_u32 v15, v5, s20
	v_mul_lo_u32 v5, v5, s21
	s_cmp_lg_u32 s7, 0
	v_add3_u32 v30, v9, v30, v7
	v_add3_u32 v32, v13, v32, v5
	;; [unrolled: 1-line block ×3, first 2 shown]
	s_cbranch_scc1 .LBB21_153
; %bb.154:
	s_bitcmp1_b32 s6, 0
	s_cselect_b64 s[6:7], -1, 0
	s_and_b64 vcc, exec, s[6:7]
	s_cbranch_vccnz .LBB21_157
; %bb.155:
	s_load_dwordx2 s[6:7], s[2:3], 0x18
	s_load_dword s10, s[2:3], 0x20
	s_load_dword s11, s[2:3], 0xe0
	s_load_dwordx2 s[8:9], s[2:3], 0xd8
	s_waitcnt lgkmcnt(0)
	v_mul_hi_u32 v5, s7, v3
	v_add_u32_e32 v5, v3, v5
	v_lshrrev_b32_e32 v5, s10, v5
	v_mul_lo_u32 v5, v5, s6
	v_sub_u32_e32 v3, v3, v5
	v_mad_u64_u32 v[30:31], s[2:3], v3, s8, v[30:31]
	v_mad_u64_u32 v[34:35], s[2:3], v3, s9, v[34:35]
	;; [unrolled: 1-line block ×3, first 2 shown]
	s_cbranch_execz .LBB21_158
	s_branch .LBB21_160
.LBB21_156:
                                        ; implicit-def: $vgpr32
                                        ; implicit-def: $vgpr34
                                        ; implicit-def: $vgpr30
	s_branch .LBB21_158
.LBB21_157:
	s_cbranch_execnz .LBB21_160
.LBB21_158:
	s_load_dwordx4 s[8:11], s[4:5], 0x4
	s_load_dwordx4 s[12:15], s[4:5], 0xc4
	s_cmp_lt_u32 s33, 2
	s_waitcnt lgkmcnt(0)
	v_mul_hi_u32 v3, s9, v1
	v_add_u32_e32 v3, v1, v3
	v_lshrrev_b32_e32 v3, s10, v3
	v_mul_lo_u32 v5, v3, s8
	v_sub_u32_e32 v1, v1, v5
	v_mul_lo_u32 v30, v1, s12
	v_mul_lo_u32 v32, v1, s14
	v_mul_lo_u32 v34, v1, s13
	s_cbranch_scc1 .LBB21_160
; %bb.159:
	s_load_dwordx4 s[8:11], s[4:5], 0x10
	s_load_dwordx4 s[12:15], s[4:5], 0xd0
	s_waitcnt lgkmcnt(0)
	v_mul_hi_u32 v1, s9, v3
	v_add_u32_e32 v1, v3, v1
	v_lshrrev_b32_e32 v1, s10, v1
	v_mul_lo_u32 v1, v1, s8
	v_sub_u32_e32 v1, v3, v1
	v_mad_u64_u32 v[30:31], s[2:3], v1, s12, v[30:31]
	v_mad_u64_u32 v[34:35], s[2:3], v1, s13, v[34:35]
	;; [unrolled: 1-line block ×3, first 2 shown]
.LBB21_160:
	s_and_b64 vcc, exec, s[0:1]
	v_add_u32_e32 v1, 0x300, v36
	s_cbranch_vccnz .LBB21_166
; %bb.161:
	s_cmp_lg_u32 s33, 0
	v_mov_b32_e32 v38, 0
	v_mov_b32_e32 v40, 0
	v_mov_b32_e32 v36, 0
	s_cbranch_scc0 .LBB21_167
; %bb.162:
	s_min_u32 s6, s34, 15
	s_add_i32 s2, s6, 1
	s_and_b32 s7, s2, 30
	s_add_u32 s2, s4, 0xffffffec
	s_addc_u32 s3, s5, -1
	v_mov_b32_e32 v36, 0
	v_mov_b32_e32 v3, v1
	;; [unrolled: 1-line block ×4, first 2 shown]
.LBB21_163:                             ; =>This Inner Loop Header: Depth=1
	s_mov_b64 s[16:17], s[2:3]
	s_load_dwordx4 s[8:11], s[16:17], 0x18
	s_load_dwordx2 s[18:19], s[16:17], 0x28
	s_load_dwordx2 s[20:21], s[16:17], 0xe8
	s_load_dwordx4 s[12:15], s[16:17], 0xd8
	s_add_u32 s2, s16, 24
	s_waitcnt lgkmcnt(0)
	v_mul_hi_u32 v5, s9, v3
	v_add_u32_e32 v5, v3, v5
	v_lshrrev_b32_e32 v5, s10, v5
	v_mul_lo_u32 v7, v5, s8
	v_mul_hi_u32 v9, s18, v5
	v_sub_u32_e32 v3, v3, v7
	v_add_u32_e32 v7, v5, v9
	v_mul_lo_u32 v9, v3, s12
	v_mul_lo_u32 v11, v3, s13
	v_mul_lo_u32 v13, v3, s14
	v_lshrrev_b32_e32 v3, s19, v7
	v_mul_lo_u32 v7, v3, s11
	v_sub_u32_e32 v5, v5, v7
	s_addc_u32 s3, s17, 0
	s_add_i32 s7, s7, -2
	v_mul_lo_u32 v7, v5, s15
	v_mul_lo_u32 v15, v5, s20
	;; [unrolled: 1-line block ×3, first 2 shown]
	s_cmp_lg_u32 s7, 0
	v_add3_u32 v36, v9, v36, v7
	v_add3_u32 v38, v13, v38, v5
	;; [unrolled: 1-line block ×3, first 2 shown]
	s_cbranch_scc1 .LBB21_163
; %bb.164:
	s_bitcmp1_b32 s6, 0
	s_cselect_b64 s[6:7], -1, 0
	s_and_b64 vcc, exec, s[6:7]
	s_cbranch_vccnz .LBB21_167
; %bb.165:
	s_load_dwordx2 s[6:7], s[2:3], 0x18
	s_load_dword s10, s[2:3], 0x20
	s_load_dword s11, s[2:3], 0xe0
	s_load_dwordx2 s[8:9], s[2:3], 0xd8
	s_waitcnt lgkmcnt(0)
	v_mul_hi_u32 v5, s7, v3
	v_add_u32_e32 v5, v3, v5
	v_lshrrev_b32_e32 v5, s10, v5
	v_mul_lo_u32 v5, v5, s6
	v_sub_u32_e32 v3, v3, v5
	v_mad_u64_u32 v[36:37], s[2:3], v3, s8, v[36:37]
	v_mad_u64_u32 v[40:41], s[2:3], v3, s9, v[40:41]
	;; [unrolled: 1-line block ×3, first 2 shown]
	s_cbranch_execz .LBB21_168
	s_branch .LBB21_170
.LBB21_166:
                                        ; implicit-def: $vgpr38
                                        ; implicit-def: $vgpr40
                                        ; implicit-def: $vgpr36
	s_branch .LBB21_168
.LBB21_167:
	s_cbranch_execnz .LBB21_170
.LBB21_168:
	s_load_dwordx4 s[8:11], s[4:5], 0x4
	s_load_dwordx4 s[12:15], s[4:5], 0xc4
	s_cmp_lt_u32 s33, 2
	s_waitcnt lgkmcnt(0)
	v_mul_hi_u32 v3, s9, v1
	v_add_u32_e32 v3, v1, v3
	v_lshrrev_b32_e32 v3, s10, v3
	v_mul_lo_u32 v5, v3, s8
	v_sub_u32_e32 v1, v1, v5
	v_mul_lo_u32 v36, v1, s12
	v_mul_lo_u32 v38, v1, s14
	;; [unrolled: 1-line block ×3, first 2 shown]
	s_cbranch_scc1 .LBB21_170
; %bb.169:
	s_load_dwordx4 s[8:11], s[4:5], 0x10
	s_load_dwordx4 s[12:15], s[4:5], 0xd0
	s_waitcnt lgkmcnt(0)
	v_mul_hi_u32 v1, s9, v3
	v_add_u32_e32 v1, v3, v1
	v_lshrrev_b32_e32 v1, s10, v1
	v_mul_lo_u32 v1, v1, s8
	v_sub_u32_e32 v1, v3, v1
	v_mad_u64_u32 v[36:37], s[2:3], v1, s12, v[36:37]
	v_mad_u64_u32 v[40:41], s[2:3], v1, s13, v[40:41]
	;; [unrolled: 1-line block ×3, first 2 shown]
.LBB21_170:
	s_and_b64 vcc, exec, s[0:1]
	s_cbranch_vccnz .LBB21_176
; %bb.171:
	s_cmp_lg_u32 s33, 0
	v_mov_b32_e32 v44, 0
	v_mov_b32_e32 v46, 0
	v_mov_b32_e32 v42, 0
	s_cbranch_scc0 .LBB21_177
; %bb.172:
	s_min_u32 s2, s34, 15
	s_add_i32 s0, s2, 1
	s_and_b32 s3, s0, 30
	s_add_u32 s0, s4, 0xffffffec
	s_addc_u32 s1, s5, -1
	v_mov_b32_e32 v42, 0
	v_mov_b32_e32 v1, v48
	;; [unrolled: 1-line block ×4, first 2 shown]
.LBB21_173:                             ; =>This Inner Loop Header: Depth=1
	s_mov_b64 s[6:7], s[0:1]
	s_load_dwordx4 s[8:11], s[6:7], 0x18
	s_load_dwordx2 s[16:17], s[6:7], 0x28
	s_load_dwordx2 s[18:19], s[6:7], 0xe8
	s_load_dwordx4 s[12:15], s[6:7], 0xd8
	s_add_u32 s0, s6, 24
	s_waitcnt lgkmcnt(0)
	v_mul_hi_u32 v3, s9, v1
	v_add_u32_e32 v3, v1, v3
	v_lshrrev_b32_e32 v3, s10, v3
	v_mul_lo_u32 v5, v3, s8
	v_mul_hi_u32 v7, s16, v3
	v_sub_u32_e32 v1, v1, v5
	v_add_u32_e32 v5, v3, v7
	v_mul_lo_u32 v7, v1, s12
	v_mul_lo_u32 v9, v1, s13
	;; [unrolled: 1-line block ×3, first 2 shown]
	v_lshrrev_b32_e32 v1, s17, v5
	v_mul_lo_u32 v5, v1, s11
	v_sub_u32_e32 v3, v3, v5
	s_addc_u32 s1, s7, 0
	s_add_i32 s3, s3, -2
	v_mul_lo_u32 v5, v3, s15
	v_mul_lo_u32 v13, v3, s18
	;; [unrolled: 1-line block ×3, first 2 shown]
	s_cmp_lg_u32 s3, 0
	v_add3_u32 v42, v7, v42, v5
	v_add3_u32 v44, v11, v44, v3
	;; [unrolled: 1-line block ×3, first 2 shown]
	s_cbranch_scc1 .LBB21_173
; %bb.174:
	s_bitcmp1_b32 s2, 0
	s_cselect_b64 s[2:3], -1, 0
	s_and_b64 vcc, exec, s[2:3]
	s_cbranch_vccnz .LBB21_177
; %bb.175:
	s_load_dwordx2 s[2:3], s[0:1], 0x18
	s_load_dword s8, s[0:1], 0x20
	s_load_dword s9, s[0:1], 0xe0
	s_load_dwordx2 s[6:7], s[0:1], 0xd8
	s_waitcnt lgkmcnt(0)
	v_mul_hi_u32 v3, s3, v1
	v_add_u32_e32 v3, v1, v3
	v_lshrrev_b32_e32 v3, s8, v3
	v_mul_lo_u32 v3, v3, s2
	v_sub_u32_e32 v1, v1, v3
	v_mad_u64_u32 v[42:43], s[0:1], v1, s6, v[42:43]
	v_mad_u64_u32 v[46:47], s[0:1], v1, s7, v[46:47]
	;; [unrolled: 1-line block ×3, first 2 shown]
	s_cbranch_execz .LBB21_178
	s_branch .LBB21_180
.LBB21_176:
                                        ; implicit-def: $vgpr44
                                        ; implicit-def: $vgpr46
                                        ; implicit-def: $vgpr42
	s_branch .LBB21_178
.LBB21_177:
	s_cbranch_execnz .LBB21_180
.LBB21_178:
	s_load_dwordx4 s[0:3], s[4:5], 0x4
	s_load_dwordx4 s[8:11], s[4:5], 0xc4
	s_cmp_lt_u32 s33, 2
	s_waitcnt lgkmcnt(0)
	v_mul_hi_u32 v1, s1, v48
	v_add_u32_e32 v1, v48, v1
	v_lshrrev_b32_e32 v1, s2, v1
	v_mul_lo_u32 v3, v1, s0
	v_sub_u32_e32 v3, v48, v3
	v_mul_lo_u32 v42, v3, s8
	v_mul_lo_u32 v44, v3, s10
	;; [unrolled: 1-line block ×3, first 2 shown]
	s_cbranch_scc1 .LBB21_180
; %bb.179:
	s_load_dwordx4 s[0:3], s[4:5], 0x10
	s_load_dwordx4 s[8:11], s[4:5], 0xd0
	s_waitcnt lgkmcnt(0)
	v_mul_hi_u32 v3, s1, v1
	v_add_u32_e32 v3, v1, v3
	v_lshrrev_b32_e32 v3, s2, v3
	v_mul_lo_u32 v3, v3, s0
	v_sub_u32_e32 v1, v1, v3
	v_mad_u64_u32 v[42:43], s[0:1], v1, s8, v[42:43]
	v_mad_u64_u32 v[46:47], s[0:1], v1, s9, v[46:47]
	;; [unrolled: 1-line block ×3, first 2 shown]
.LBB21_180:
	s_load_dwordx4 s[0:3], s[4:5], 0x188
	s_load_dwordx2 s[6:7], s[4:5], 0x198
	s_waitcnt lgkmcnt(0)
	global_load_ushort v1, v4, s[2:3]
	global_load_ushort v3, v2, s[6:7]
	;; [unrolled: 1-line block ×15, first 2 shown]
                                        ; kill: killed $vgpr22
                                        ; kill: killed $vgpr20
                                        ; kill: killed $vgpr28
                                        ; kill: killed $vgpr4
                                        ; kill: killed $vgpr26
                                        ; kill: killed $vgpr2
                                        ; kill: killed $vgpr34
                                        ; kill: killed $vgpr10
                                        ; kill: killed $sgpr2_sgpr3
                                        ; kill: killed $vgpr32
                                        ; kill: killed $vgpr8
                                        ; kill: killed $vgpr40
                                        ; kill: killed $vgpr16
                                        ; kill: killed $vgpr38
                                        ; kill: killed $vgpr14
                                        ; kill: killed $vgpr46
	global_load_ushort v2, v44, s[6:7]
	s_waitcnt vmcnt(15)
	v_and_b32_e32 v1, 0x7fff, v1
	s_waitcnt vmcnt(14)
	v_and_b32_e32 v3, 0xffff8000, v3
	;; [unrolled: 2-line block ×15, first 2 shown]
	v_or_b32_e32 v1, v3, v1
	v_or_b32_e32 v3, v5, v4
	;; [unrolled: 1-line block ×7, first 2 shown]
	s_waitcnt vmcnt(0)
	v_and_b32_e32 v2, 0xffff8000, v2
	v_or_b32_e32 v2, v2, v19
	global_store_short v0, v1, s[0:1]
	global_store_short v6, v3, s[0:1]
	;; [unrolled: 1-line block ×8, first 2 shown]
	s_endpgm
	.section	.rodata,"a",@progbits
	.p2align	6, 0x0
	.amdhsa_kernel _ZN2at6native32elementwise_kernel_manual_unrollILi128ELi8EZNS0_22gpu_kernel_impl_nocastINS0_13BinaryFunctorIN3c104HalfES5_S5_ZNS0_20copysign_kernel_cudaERNS_18TensorIteratorBaseEEUlS5_S5_E_EEEEvS7_RKT_EUlibE_EEviT1_
		.amdhsa_group_segment_fixed_size 0
		.amdhsa_private_segment_fixed_size 0
		.amdhsa_kernarg_size 432
		.amdhsa_user_sgpr_count 6
		.amdhsa_user_sgpr_private_segment_buffer 1
		.amdhsa_user_sgpr_dispatch_ptr 0
		.amdhsa_user_sgpr_queue_ptr 0
		.amdhsa_user_sgpr_kernarg_segment_ptr 1
		.amdhsa_user_sgpr_dispatch_id 0
		.amdhsa_user_sgpr_flat_scratch_init 0
		.amdhsa_user_sgpr_kernarg_preload_length 0
		.amdhsa_user_sgpr_kernarg_preload_offset 0
		.amdhsa_user_sgpr_private_segment_size 0
		.amdhsa_uses_dynamic_stack 0
		.amdhsa_system_sgpr_private_segment_wavefront_offset 0
		.amdhsa_system_sgpr_workgroup_id_x 1
		.amdhsa_system_sgpr_workgroup_id_y 0
		.amdhsa_system_sgpr_workgroup_id_z 0
		.amdhsa_system_sgpr_workgroup_info 0
		.amdhsa_system_vgpr_workitem_id 0
		.amdhsa_next_free_vgpr 49
		.amdhsa_next_free_sgpr 52
		.amdhsa_accum_offset 52
		.amdhsa_reserve_vcc 1
		.amdhsa_reserve_flat_scratch 0
		.amdhsa_float_round_mode_32 0
		.amdhsa_float_round_mode_16_64 0
		.amdhsa_float_denorm_mode_32 3
		.amdhsa_float_denorm_mode_16_64 3
		.amdhsa_dx10_clamp 1
		.amdhsa_ieee_mode 1
		.amdhsa_fp16_overflow 0
		.amdhsa_tg_split 0
		.amdhsa_exception_fp_ieee_invalid_op 0
		.amdhsa_exception_fp_denorm_src 0
		.amdhsa_exception_fp_ieee_div_zero 0
		.amdhsa_exception_fp_ieee_overflow 0
		.amdhsa_exception_fp_ieee_underflow 0
		.amdhsa_exception_fp_ieee_inexact 0
		.amdhsa_exception_int_div_zero 0
	.end_amdhsa_kernel
	.section	.text._ZN2at6native32elementwise_kernel_manual_unrollILi128ELi8EZNS0_22gpu_kernel_impl_nocastINS0_13BinaryFunctorIN3c104HalfES5_S5_ZNS0_20copysign_kernel_cudaERNS_18TensorIteratorBaseEEUlS5_S5_E_EEEEvS7_RKT_EUlibE_EEviT1_,"axG",@progbits,_ZN2at6native32elementwise_kernel_manual_unrollILi128ELi8EZNS0_22gpu_kernel_impl_nocastINS0_13BinaryFunctorIN3c104HalfES5_S5_ZNS0_20copysign_kernel_cudaERNS_18TensorIteratorBaseEEUlS5_S5_E_EEEEvS7_RKT_EUlibE_EEviT1_,comdat
.Lfunc_end21:
	.size	_ZN2at6native32elementwise_kernel_manual_unrollILi128ELi8EZNS0_22gpu_kernel_impl_nocastINS0_13BinaryFunctorIN3c104HalfES5_S5_ZNS0_20copysign_kernel_cudaERNS_18TensorIteratorBaseEEUlS5_S5_E_EEEEvS7_RKT_EUlibE_EEviT1_, .Lfunc_end21-_ZN2at6native32elementwise_kernel_manual_unrollILi128ELi8EZNS0_22gpu_kernel_impl_nocastINS0_13BinaryFunctorIN3c104HalfES5_S5_ZNS0_20copysign_kernel_cudaERNS_18TensorIteratorBaseEEUlS5_S5_E_EEEEvS7_RKT_EUlibE_EEviT1_
                                        ; -- End function
	.section	.AMDGPU.csdata,"",@progbits
; Kernel info:
; codeLenInByte = 9468
; NumSgprs: 56
; NumVgprs: 49
; NumAgprs: 0
; TotalNumVgprs: 49
; ScratchSize: 0
; MemoryBound: 0
; FloatMode: 240
; IeeeMode: 1
; LDSByteSize: 0 bytes/workgroup (compile time only)
; SGPRBlocks: 6
; VGPRBlocks: 6
; NumSGPRsForWavesPerEU: 56
; NumVGPRsForWavesPerEU: 49
; AccumOffset: 52
; Occupancy: 8
; WaveLimiterHint : 1
; COMPUTE_PGM_RSRC2:SCRATCH_EN: 0
; COMPUTE_PGM_RSRC2:USER_SGPR: 6
; COMPUTE_PGM_RSRC2:TRAP_HANDLER: 0
; COMPUTE_PGM_RSRC2:TGID_X_EN: 1
; COMPUTE_PGM_RSRC2:TGID_Y_EN: 0
; COMPUTE_PGM_RSRC2:TGID_Z_EN: 0
; COMPUTE_PGM_RSRC2:TIDIG_COMP_CNT: 0
; COMPUTE_PGM_RSRC3_GFX90A:ACCUM_OFFSET: 12
; COMPUTE_PGM_RSRC3_GFX90A:TG_SPLIT: 0
	.section	.text._ZN2at6native32elementwise_kernel_manual_unrollILi128ELi4EZNS0_15gpu_kernel_implINS0_13BinaryFunctorIN3c104HalfES5_S5_ZNS0_20copysign_kernel_cudaERNS_18TensorIteratorBaseEEUlS5_S5_E_EEEEvS7_RKT_EUlibE_EEviT1_,"axG",@progbits,_ZN2at6native32elementwise_kernel_manual_unrollILi128ELi4EZNS0_15gpu_kernel_implINS0_13BinaryFunctorIN3c104HalfES5_S5_ZNS0_20copysign_kernel_cudaERNS_18TensorIteratorBaseEEUlS5_S5_E_EEEEvS7_RKT_EUlibE_EEviT1_,comdat
	.globl	_ZN2at6native32elementwise_kernel_manual_unrollILi128ELi4EZNS0_15gpu_kernel_implINS0_13BinaryFunctorIN3c104HalfES5_S5_ZNS0_20copysign_kernel_cudaERNS_18TensorIteratorBaseEEUlS5_S5_E_EEEEvS7_RKT_EUlibE_EEviT1_ ; -- Begin function _ZN2at6native32elementwise_kernel_manual_unrollILi128ELi4EZNS0_15gpu_kernel_implINS0_13BinaryFunctorIN3c104HalfES5_S5_ZNS0_20copysign_kernel_cudaERNS_18TensorIteratorBaseEEUlS5_S5_E_EEEEvS7_RKT_EUlibE_EEviT1_
	.p2align	8
	.type	_ZN2at6native32elementwise_kernel_manual_unrollILi128ELi4EZNS0_15gpu_kernel_implINS0_13BinaryFunctorIN3c104HalfES5_S5_ZNS0_20copysign_kernel_cudaERNS_18TensorIteratorBaseEEUlS5_S5_E_EEEEvS7_RKT_EUlibE_EEviT1_,@function
_ZN2at6native32elementwise_kernel_manual_unrollILi128ELi4EZNS0_15gpu_kernel_implINS0_13BinaryFunctorIN3c104HalfES5_S5_ZNS0_20copysign_kernel_cudaERNS_18TensorIteratorBaseEEUlS5_S5_E_EEEEvS7_RKT_EUlibE_EEviT1_: ; @_ZN2at6native32elementwise_kernel_manual_unrollILi128ELi4EZNS0_15gpu_kernel_implINS0_13BinaryFunctorIN3c104HalfES5_S5_ZNS0_20copysign_kernel_cudaERNS_18TensorIteratorBaseEEUlS5_S5_E_EEEEvS7_RKT_EUlibE_EEviT1_
; %bb.0:
	v_mov_b32_e32 v1, 0
	global_load_ushort v2, v1, s[4:5] offset:45
	global_load_sbyte v4, v1, s[4:5] offset:47
	s_load_dword s33, s[4:5], 0x0
	s_load_dwordx4 s[8:11], s[4:5], 0x8
	s_load_dwordx2 s[2:3], s[4:5], 0x18
	s_load_dwordx4 s[12:15], s[4:5], 0x20
	v_lshl_or_b32 v3, s6, 9, v0
	v_or_b32_e32 v0, 0x180, v3
	s_mov_b64 s[16:17], 0
	s_waitcnt lgkmcnt(0)
	v_cmp_le_i32_e32 vcc, s33, v0
	s_mov_b64 s[6:7], 0
	s_waitcnt vmcnt(1)
	v_lshrrev_b32_e32 v5, 8, v2
	s_and_saveexec_b64 s[0:1], vcc
	s_xor_b64 s[4:5], exec, s[0:1]
	s_cbranch_execz .LBB22_1544
; %bb.1:
	v_cmp_gt_i32_e32 vcc, s33, v3
	s_mov_b64 s[0:1], -1
	s_mov_b64 s[26:27], 0
	s_mov_b64 s[20:21], 0
	;; [unrolled: 1-line block ×3, first 2 shown]
	s_and_saveexec_b64 s[22:23], vcc
	s_cbranch_execz .LBB22_383
; %bb.2:
	v_mul_lo_u32 v0, v3, s13
	v_ashrrev_i32_e32 v1, 31, v0
	v_mov_b32_e32 v6, s11
	v_add_co_u32_e32 v0, vcc, s10, v0
	v_addc_co_u32_e32 v1, vcc, v6, v1, vcc
	v_mov_b32_e32 v6, 11
	v_cmp_lt_i16_sdwa s[0:1], v5, v6 src0_sel:BYTE_0 src1_sel:DWORD
	s_and_b64 vcc, exec, s[0:1]
	s_cbranch_vccnz .LBB22_9
; %bb.3:
	v_mov_b32_e32 v6, 25
	v_cmp_gt_i16_sdwa s[0:1], v5, v6 src0_sel:BYTE_0 src1_sel:DWORD
	s_and_b64 vcc, exec, s[0:1]
	s_cbranch_vccz .LBB22_18
; %bb.4:
	v_mov_b32_e32 v6, 28
	v_cmp_gt_i16_sdwa s[0:1], v5, v6 src0_sel:BYTE_0 src1_sel:DWORD
	s_and_b64 vcc, exec, s[0:1]
	s_cbranch_vccz .LBB22_28
	;; [unrolled: 5-line block ×4, first 2 shown]
; %bb.7:
	v_mov_b32_e32 v6, 46
	v_cmp_eq_u16_sdwa s[0:1], v5, v6 src0_sel:BYTE_0 src1_sel:DWORD
	s_and_b64 vcc, exec, s[0:1]
	s_cbranch_vccz .LBB22_37
; %bb.8:
	global_load_dword v6, v[0:1], off
	s_mov_b64 s[0:1], -1
	s_waitcnt vmcnt(0)
	v_lshlrev_b32_e32 v6, 16, v6
	v_cvt_f16_f32_e32 v6, v6
	s_branch .LBB22_39
.LBB22_9:
                                        ; implicit-def: $vgpr6
	s_mov_b64 s[0:1], 0
	s_cbranch_execnz .LBB22_105
.LBB22_10:
	s_andn2_b64 vcc, exec, s[0:1]
	s_cbranch_vccnz .LBB22_152
.LBB22_11:
	v_mul_lo_u32 v0, v3, s14
	v_ashrrev_i32_e32 v1, 31, v0
	v_mov_b32_e32 v7, s3
	v_add_co_u32_e32 v0, vcc, s2, v0
	v_addc_co_u32_e32 v1, vcc, v7, v1, vcc
	v_mov_b32_e32 v7, 11
	s_waitcnt vmcnt(0)
	v_cmp_lt_i16_sdwa s[0:1], v4, v7 src0_sel:BYTE_0 src1_sel:DWORD
	s_and_b64 vcc, exec, s[0:1]
	s_cbranch_vccnz .LBB22_19
; %bb.12:
	v_mov_b32_e32 v7, 25
	v_cmp_gt_i16_sdwa s[0:1], v4, v7 src0_sel:BYTE_0 src1_sel:DWORD
	s_and_b64 vcc, exec, s[0:1]
	s_cbranch_vccz .LBB22_29
; %bb.13:
	v_mov_b32_e32 v7, 28
	v_cmp_gt_i16_sdwa s[0:1], v4, v7 src0_sel:BYTE_0 src1_sel:DWORD
	s_and_b64 vcc, exec, s[0:1]
	s_cbranch_vccz .LBB22_32
	;; [unrolled: 5-line block ×4, first 2 shown]
; %bb.16:
	v_mov_b32_e32 v7, 46
	v_cmp_eq_u16_sdwa s[0:1], v4, v7 src0_sel:BYTE_0 src1_sel:DWORD
	s_mov_b64 s[6:7], 0
	s_and_b64 vcc, exec, s[0:1]
	s_cbranch_vccz .LBB22_153
; %bb.17:
	global_load_dword v7, v[0:1], off
	s_mov_b64 s[0:1], -1
	s_mov_b64 s[18:19], 0
	s_waitcnt vmcnt(0)
	v_lshlrev_b32_e32 v7, 16, v7
	v_cvt_f16_f32_e32 v8, v7
	s_branch .LBB22_155
.LBB22_18:
	s_mov_b64 s[0:1], 0
                                        ; implicit-def: $vgpr6
	s_cbranch_execnz .LBB22_70
	s_branch .LBB22_104
.LBB22_19:
	s_mov_b64 s[18:19], 0
                                        ; implicit-def: $vgpr8
	s_mov_b64 s[0:1], 0
	s_cbranch_execnz .LBB22_332
.LBB22_20:
	s_andn2_b64 vcc, exec, s[0:1]
	s_cbranch_vccnz .LBB22_380
.LBB22_21:
	v_and_b32_e32 v7, 0x7fff, v6
	s_waitcnt vmcnt(0)
	v_and_b32_e32 v0, 0xffff8000, v8
	v_or_b32_e32 v6, v0, v7
	v_mul_lo_u32 v0, v3, s12
	v_ashrrev_i32_e32 v1, 31, v0
	v_mov_b32_e32 v8, s9
	v_add_co_u32_e32 v0, vcc, s8, v0
	v_addc_co_u32_e32 v1, vcc, v8, v1, vcc
	v_mov_b32_e32 v8, 11
	v_cmp_lt_i16_sdwa s[0:1], v2, v8 src0_sel:BYTE_0 src1_sel:DWORD
	s_and_b64 vcc, exec, s[0:1]
	s_cbranch_vccnz .LBB22_30
; %bb.22:
	v_mov_b32_e32 v8, 25
	v_cmp_gt_i16_sdwa s[0:1], v2, v8 src0_sel:BYTE_0 src1_sel:DWORD
	s_and_b64 vcc, exec, s[0:1]
	s_cbranch_vccz .LBB22_33
; %bb.23:
	v_mov_b32_e32 v8, 28
	v_cmp_gt_i16_sdwa s[0:1], v2, v8 src0_sel:BYTE_0 src1_sel:DWORD
	s_and_b64 vcc, exec, s[0:1]
	s_cbranch_vccz .LBB22_36
	;; [unrolled: 5-line block ×4, first 2 shown]
; %bb.26:
	v_mov_b32_e32 v8, 46
	v_cmp_eq_u16_sdwa s[6:7], v2, v8 src0_sel:BYTE_0 src1_sel:DWORD
	s_mov_b64 s[24:25], 0
	s_mov_b64 s[0:1], -1
	s_and_b64 vcc, exec, s[6:7]
	s_mov_b64 s[6:7], 0
	s_cbranch_vccz .LBB22_159
; %bb.27:
	v_cvt_f32_f16_e32 v8, v6
	s_movk_i32 s0, 0x7fff
	v_mov_b32_e32 v9, 0x7fc0
	v_cmp_o_f16_e32 vcc, v6, v6
	v_bfe_u32 v10, v8, 16, 1
	v_add3_u32 v8, v8, v10, s0
	v_lshrrev_b32_e32 v8, 16, v8
	v_cndmask_b32_e32 v8, v9, v8, vcc
	global_store_dword v[0:1], v8, off
	s_mov_b64 s[6:7], -1
	s_mov_b64 s[0:1], 0
	s_branch .LBB22_159
.LBB22_28:
	s_mov_b64 s[6:7], -1
	s_mov_b64 s[0:1], 0
                                        ; implicit-def: $vgpr6
	s_branch .LBB22_51
.LBB22_29:
	s_mov_b64 s[6:7], -1
	s_mov_b64 s[18:19], 0
	s_mov_b64 s[0:1], 0
                                        ; implicit-def: $vgpr8
	s_branch .LBB22_296
.LBB22_30:
	s_mov_b64 s[24:25], -1
	s_mov_b64 s[0:1], 0
	s_mov_b64 s[6:7], 0
	s_branch .LBB22_228
.LBB22_31:
	s_mov_b64 s[6:7], -1
	s_mov_b64 s[0:1], 0
                                        ; implicit-def: $vgpr6
	s_branch .LBB22_46
.LBB22_32:
	s_mov_b64 s[6:7], -1
	s_mov_b64 s[18:19], 0
	s_mov_b64 s[0:1], 0
                                        ; implicit-def: $vgpr8
	s_branch .LBB22_277
.LBB22_33:
	s_mov_b64 s[24:25], -1
	s_mov_b64 s[0:1], 0
	s_mov_b64 s[6:7], 0
	s_branch .LBB22_186
.LBB22_34:
	s_mov_b64 s[6:7], -1
	s_branch .LBB22_38
.LBB22_35:
	s_mov_b64 s[6:7], -1
	s_mov_b64 s[18:19], 0
	s_mov_b64 s[0:1], 0
                                        ; implicit-def: $vgpr8
	s_branch .LBB22_272
.LBB22_36:
	s_mov_b64 s[24:25], -1
	s_mov_b64 s[0:1], 0
	s_mov_b64 s[6:7], 0
	s_branch .LBB22_169
.LBB22_37:
	s_mov_b64 s[20:21], -1
.LBB22_38:
	s_mov_b64 s[0:1], 0
                                        ; implicit-def: $vgpr6
.LBB22_39:
	s_and_b64 vcc, exec, s[6:7]
	s_cbranch_vccz .LBB22_45
; %bb.40:
	v_mov_b32_e32 v6, 44
	v_cmp_eq_u16_sdwa s[6:7], v5, v6 src0_sel:BYTE_0 src1_sel:DWORD
	s_and_b64 vcc, exec, s[6:7]
	s_cbranch_vccz .LBB22_44
; %bb.41:
	global_load_ubyte v6, v[0:1], off
	s_movk_i32 s6, 0xff
	v_mov_b32_e32 v8, 0x7e00
	s_mov_b64 s[0:1], -1
	s_mov_b64 s[20:21], 0
	s_waitcnt vmcnt(0)
	v_lshlrev_b32_e32 v7, 23, v6
	v_cvt_f16_f32_e32 v7, v7
	v_cmp_ne_u32_e32 vcc, s6, v6
	v_cndmask_b32_e32 v7, v8, v7, vcc
	v_cmp_ne_u32_e32 vcc, 0, v6
	v_cndmask_b32_e32 v6, 0, v7, vcc
	s_branch .LBB22_45
.LBB22_42:
	s_mov_b64 s[6:7], -1
	s_mov_b64 s[18:19], 0
	s_branch .LBB22_154
.LBB22_43:
	s_mov_b64 s[24:25], -1
	s_mov_b64 s[0:1], 0
	s_mov_b64 s[6:7], 0
	s_branch .LBB22_165
.LBB22_44:
	s_mov_b64 s[20:21], -1
                                        ; implicit-def: $vgpr6
.LBB22_45:
	s_mov_b64 s[6:7], 0
.LBB22_46:
	s_and_b64 vcc, exec, s[6:7]
	s_cbranch_vccz .LBB22_50
; %bb.47:
	v_mov_b32_e32 v6, 29
	v_cmp_eq_u16_sdwa s[6:7], v5, v6 src0_sel:BYTE_0 src1_sel:DWORD
	s_and_b64 vcc, exec, s[6:7]
	s_cbranch_vccz .LBB22_49
; %bb.48:
	global_load_dwordx2 v[6:7], v[0:1], off
	s_mov_b64 s[0:1], -1
	s_mov_b64 s[20:21], 0
	s_mov_b64 s[6:7], 0
	s_waitcnt vmcnt(0)
	v_ffbh_u32_e32 v8, v7
	v_min_u32_e32 v8, 32, v8
	v_lshlrev_b64 v[6:7], v8, v[6:7]
	v_min_u32_e32 v6, 1, v6
	v_or_b32_e32 v6, v7, v6
	v_cvt_f32_u32_e32 v6, v6
	v_sub_u32_e32 v7, 32, v8
	v_ldexp_f32 v6, v6, v7
	v_cvt_f16_f32_e32 v6, v6
	s_branch .LBB22_51
.LBB22_49:
	s_mov_b64 s[20:21], -1
                                        ; implicit-def: $vgpr6
.LBB22_50:
	s_mov_b64 s[6:7], 0
.LBB22_51:
	s_and_b64 vcc, exec, s[6:7]
	s_cbranch_vccz .LBB22_69
; %bb.52:
	v_mov_b32_e32 v6, 27
	v_cmp_lt_i16_sdwa s[0:1], v5, v6 src0_sel:BYTE_0 src1_sel:DWORD
	s_and_b64 vcc, exec, s[0:1]
	s_cbranch_vccnz .LBB22_55
; %bb.53:
	v_cmp_gt_i16_sdwa s[0:1], v5, v6 src0_sel:BYTE_0 src1_sel:DWORD
	s_and_b64 vcc, exec, s[0:1]
	s_cbranch_vccz .LBB22_56
; %bb.54:
	global_load_dword v6, v[0:1], off
	s_mov_b64 s[0:1], 0
	s_waitcnt vmcnt(0)
	v_cvt_f32_u32_e32 v6, v6
	v_cvt_f16_f32_e32 v6, v6
	s_branch .LBB22_57
.LBB22_55:
	s_mov_b64 s[0:1], -1
                                        ; implicit-def: $vgpr6
	s_branch .LBB22_60
.LBB22_56:
	s_mov_b64 s[0:1], -1
                                        ; implicit-def: $vgpr6
.LBB22_57:
	s_andn2_b64 vcc, exec, s[0:1]
	s_cbranch_vccnz .LBB22_59
; %bb.58:
	global_load_ushort v6, v[0:1], off
	s_waitcnt vmcnt(0)
	v_cvt_f16_u16_e32 v6, v6
.LBB22_59:
	s_mov_b64 s[0:1], 0
.LBB22_60:
	s_andn2_b64 vcc, exec, s[0:1]
	s_cbranch_vccnz .LBB22_68
; %bb.61:
	global_load_ubyte v7, v[0:1], off
	s_movk_i32 s0, 0x7f
                                        ; implicit-def: $sgpr15
	s_waitcnt vmcnt(0)
	v_cmp_lt_i16_e32 vcc, s0, v7
	s_mov_b64 s[0:1], 0
	s_and_saveexec_b64 s[6:7], vcc
	s_xor_b64 s[6:7], exec, s[6:7]
	s_cbranch_execz .LBB22_81
; %bb.62:
	s_movk_i32 s0, 0x80
	v_cmp_eq_u16_e32 vcc, s0, v7
	s_mov_b64 s[0:1], -1
                                        ; implicit-def: $sgpr15
	s_and_saveexec_b64 s[18:19], vcc
; %bb.63:
	s_movk_i32 s15, 0x7e00
	s_xor_b64 s[0:1], exec, -1
; %bb.64:
	s_or_b64 exec, exec, s[18:19]
	s_and_b64 s[0:1], s[0:1], exec
	s_or_saveexec_b64 s[6:7], s[6:7]
	v_mov_b32_e32 v6, s15
	s_xor_b64 exec, exec, s[6:7]
	s_cbranch_execnz .LBB22_82
.LBB22_65:
	s_or_b64 exec, exec, s[6:7]
	s_and_saveexec_b64 s[6:7], s[0:1]
	s_cbranch_execz .LBB22_67
.LBB22_66:
	v_lshlrev_b32_e32 v6, 24, v7
	v_and_b32_e32 v7, 0xffff, v7
	v_and_b32_e32 v8, 7, v7
	v_ffbh_u32_e32 v10, v8
	v_min_u32_e32 v10, 32, v10
	v_subrev_u32_e32 v11, 28, v10
	v_bfe_u32 v9, v7, 3, 4
	v_lshlrev_b32_e32 v7, v11, v7
	v_sub_u32_e32 v10, 29, v10
	v_and_b32_e32 v7, 7, v7
	v_cmp_eq_u32_e32 vcc, 0, v9
	v_cndmask_b32_e32 v9, v9, v10, vcc
	v_cndmask_b32_e32 v7, v8, v7, vcc
	v_mov_b32_e32 v8, 0x3b800000
	v_lshlrev_b32_e32 v7, 20, v7
	v_and_b32_e32 v6, 0x80000000, v6
	v_lshl_add_u32 v8, v9, 23, v8
	v_or3_b32 v6, v6, v8, v7
	v_cvt_f16_f32_e32 v6, v6
.LBB22_67:
	s_or_b64 exec, exec, s[6:7]
.LBB22_68:
	s_mov_b64 s[0:1], -1
.LBB22_69:
	s_branch .LBB22_104
.LBB22_70:
	v_mov_b32_e32 v6, 22
	v_cmp_gt_i16_sdwa s[6:7], v5, v6 src0_sel:BYTE_0 src1_sel:DWORD
	s_and_b64 vcc, exec, s[6:7]
	s_cbranch_vccz .LBB22_80
; %bb.71:
	v_mov_b32_e32 v6, 24
	v_cmp_lt_i16_sdwa s[0:1], v5, v6 src0_sel:BYTE_0 src1_sel:DWORD
	s_and_b64 vcc, exec, s[0:1]
	s_cbranch_vccnz .LBB22_83
; %bb.72:
	v_cmp_gt_i16_sdwa s[0:1], v5, v6 src0_sel:BYTE_0 src1_sel:DWORD
	s_and_b64 vcc, exec, s[0:1]
	s_cbranch_vccz .LBB22_84
; %bb.73:
	global_load_ubyte v7, v[0:1], off
	s_movk_i32 s0, 0x7f
                                        ; implicit-def: $sgpr15
	s_waitcnt vmcnt(0)
	v_cmp_lt_i16_e32 vcc, s0, v7
	s_mov_b64 s[0:1], 0
	s_and_saveexec_b64 s[6:7], vcc
	s_xor_b64 s[6:7], exec, s[6:7]
	s_cbranch_execz .LBB22_96
; %bb.74:
	s_movk_i32 s0, 0x80
	v_cmp_eq_u16_e32 vcc, s0, v7
	s_mov_b64 s[0:1], -1
                                        ; implicit-def: $sgpr15
	s_and_saveexec_b64 s[18:19], vcc
; %bb.75:
	s_movk_i32 s15, 0x7e00
	s_xor_b64 s[0:1], exec, -1
; %bb.76:
	s_or_b64 exec, exec, s[18:19]
	s_and_b64 s[0:1], s[0:1], exec
	s_or_saveexec_b64 s[6:7], s[6:7]
	v_mov_b32_e32 v6, s15
	s_xor_b64 exec, exec, s[6:7]
	s_cbranch_execnz .LBB22_97
.LBB22_77:
	s_or_b64 exec, exec, s[6:7]
	s_and_saveexec_b64 s[6:7], s[0:1]
	s_cbranch_execz .LBB22_79
.LBB22_78:
	v_lshlrev_b32_e32 v6, 24, v7
	v_and_b32_e32 v7, 0xffff, v7
	v_and_b32_e32 v8, 3, v7
	v_ffbh_u32_e32 v10, v8
	v_min_u32_e32 v10, 32, v10
	v_subrev_u32_e32 v11, 29, v10
	v_bfe_u32 v9, v7, 2, 5
	v_lshlrev_b32_e32 v7, v11, v7
	v_sub_u32_e32 v10, 30, v10
	v_and_b32_e32 v7, 3, v7
	v_cmp_eq_u32_e32 vcc, 0, v9
	v_cndmask_b32_e32 v9, v9, v10, vcc
	v_cndmask_b32_e32 v7, v8, v7, vcc
	v_mov_b32_e32 v8, 0x37800000
	v_lshlrev_b32_e32 v7, 21, v7
	v_and_b32_e32 v6, 0x80000000, v6
	v_lshl_add_u32 v8, v9, 23, v8
	v_or3_b32 v6, v6, v8, v7
	v_cvt_f16_f32_e32 v6, v6
.LBB22_79:
	s_or_b64 exec, exec, s[6:7]
	s_mov_b64 s[0:1], 0
	s_branch .LBB22_85
.LBB22_80:
	s_mov_b64 s[6:7], -1
                                        ; implicit-def: $vgpr6
	s_branch .LBB22_91
.LBB22_81:
	s_or_saveexec_b64 s[6:7], s[6:7]
	v_mov_b32_e32 v6, s15
	s_xor_b64 exec, exec, s[6:7]
	s_cbranch_execz .LBB22_65
.LBB22_82:
	v_cmp_ne_u16_e32 vcc, 0, v7
	s_andn2_b64 s[0:1], s[0:1], exec
	s_and_b64 s[18:19], vcc, exec
	s_or_b64 s[0:1], s[0:1], s[18:19]
	v_mov_b32_e32 v6, v7
	s_or_b64 exec, exec, s[6:7]
	s_and_saveexec_b64 s[6:7], s[0:1]
	s_cbranch_execnz .LBB22_66
	s_branch .LBB22_67
.LBB22_83:
	s_mov_b64 s[0:1], -1
                                        ; implicit-def: $vgpr6
	s_branch .LBB22_88
.LBB22_84:
	s_mov_b64 s[0:1], -1
                                        ; implicit-def: $vgpr6
.LBB22_85:
	s_and_b64 vcc, exec, s[0:1]
	s_cbranch_vccz .LBB22_87
; %bb.86:
	global_load_ubyte v6, v[0:1], off
	s_mov_b32 s0, 0x7f800000
	s_waitcnt vmcnt(0)
	v_lshlrev_b32_e32 v6, 24, v6
	v_and_b32_e32 v7, 0x7f000000, v6
	v_ffbh_u32_e32 v8, v7
	v_min_u32_e32 v8, 32, v8
	v_sub_u32_e64 v8, v8, 4 clamp
	v_lshlrev_b32_e32 v10, v8, v7
	v_lshlrev_b32_e32 v8, 23, v8
	v_lshrrev_b32_e32 v10, 4, v10
	v_add_u32_e32 v9, 0x1000000, v7
	v_sub_u32_e32 v8, v10, v8
	v_ashrrev_i32_e32 v9, 8, v9
	v_add_u32_e32 v8, 0x3c000000, v8
	v_and_or_b32 v8, v9, s0, v8
	v_cmp_ne_u32_e32 vcc, 0, v7
	v_cndmask_b32_e32 v7, 0, v8, vcc
	s_brev_b32 s0, 1
	v_and_or_b32 v6, v6, s0, v7
	v_cvt_f16_f32_e32 v6, v6
.LBB22_87:
	s_mov_b64 s[0:1], 0
.LBB22_88:
	s_andn2_b64 vcc, exec, s[0:1]
	s_cbranch_vccnz .LBB22_90
; %bb.89:
	global_load_ubyte v6, v[0:1], off
	s_movk_i32 s0, 0x7f00
	s_brev_b32 s1, 16
	s_waitcnt vmcnt(0)
	v_lshlrev_b16_e32 v7, 8, v6
	v_lshlrev_b32_e32 v6, 25, v6
	v_lshrrev_b32_e32 v8, 4, v6
	v_and_or_b32 v9, v7, s0, 0.5
	v_or_b32_e32 v8, 0x70000000, v8
	v_add_f32_e32 v9, -0.5, v9
	v_mul_f32_e32 v8, 0x7800000, v8
	v_cmp_gt_u32_e32 vcc, s1, v6
	v_bfe_i32 v7, v7, 0, 16
	v_cndmask_b32_e32 v6, v8, v9, vcc
	s_brev_b32 s0, 1
	v_and_or_b32 v6, v7, s0, v6
	v_cvt_f16_f32_e32 v6, v6
.LBB22_90:
	s_mov_b64 s[6:7], 0
	s_mov_b64 s[0:1], -1
.LBB22_91:
	s_andn2_b64 vcc, exec, s[6:7]
	s_cbranch_vccnz .LBB22_104
; %bb.92:
	v_mov_b32_e32 v6, 14
	v_cmp_gt_i16_sdwa s[6:7], v5, v6 src0_sel:BYTE_0 src1_sel:DWORD
	s_and_b64 vcc, exec, s[6:7]
	s_cbranch_vccz .LBB22_95
; %bb.93:
	v_mov_b32_e32 v6, 15
	v_cmp_eq_u16_sdwa s[6:7], v5, v6 src0_sel:BYTE_0 src1_sel:DWORD
	s_and_b64 vcc, exec, s[6:7]
	s_cbranch_vccz .LBB22_98
; %bb.94:
	global_load_ushort v6, v[0:1], off
	s_mov_b64 s[0:1], -1
	s_mov_b64 s[20:21], 0
	s_waitcnt vmcnt(0)
	v_lshlrev_b32_e32 v6, 16, v6
	v_cvt_f16_f32_e32 v6, v6
	s_branch .LBB22_99
.LBB22_95:
	s_mov_b64 s[6:7], -1
                                        ; implicit-def: $vgpr6
	s_branch .LBB22_100
.LBB22_96:
	s_or_saveexec_b64 s[6:7], s[6:7]
	v_mov_b32_e32 v6, s15
	s_xor_b64 exec, exec, s[6:7]
	s_cbranch_execz .LBB22_77
.LBB22_97:
	v_cmp_ne_u16_e32 vcc, 0, v7
	s_andn2_b64 s[0:1], s[0:1], exec
	s_and_b64 s[18:19], vcc, exec
	s_or_b64 s[0:1], s[0:1], s[18:19]
	v_mov_b32_e32 v6, v7
	s_or_b64 exec, exec, s[6:7]
	s_and_saveexec_b64 s[6:7], s[0:1]
	s_cbranch_execnz .LBB22_78
	s_branch .LBB22_79
.LBB22_98:
	s_mov_b64 s[20:21], -1
                                        ; implicit-def: $vgpr6
.LBB22_99:
	s_mov_b64 s[6:7], 0
.LBB22_100:
	s_and_b64 vcc, exec, s[6:7]
	s_cbranch_vccz .LBB22_104
; %bb.101:
	v_mov_b32_e32 v6, 11
	v_cmp_eq_u16_sdwa s[6:7], v5, v6 src0_sel:BYTE_0 src1_sel:DWORD
	s_and_b64 vcc, exec, s[6:7]
	s_cbranch_vccz .LBB22_103
; %bb.102:
	global_load_ubyte v6, v[0:1], off
	v_mov_b32_e32 v7, 0x3c00
	s_mov_b64 s[0:1], -1
	s_mov_b64 s[20:21], 0
	s_waitcnt vmcnt(0)
	v_cmp_ne_u16_e32 vcc, 0, v6
	v_cndmask_b32_e32 v6, 0, v7, vcc
	s_branch .LBB22_104
.LBB22_103:
	s_mov_b64 s[20:21], -1
                                        ; implicit-def: $vgpr6
.LBB22_104:
	s_branch .LBB22_10
.LBB22_105:
	v_mov_b32_e32 v6, 5
	v_cmp_lt_i16_sdwa s[0:1], v5, v6 src0_sel:BYTE_0 src1_sel:DWORD
	s_and_b64 vcc, exec, s[0:1]
	s_cbranch_vccnz .LBB22_110
; %bb.106:
	v_mov_b32_e32 v6, 8
	v_cmp_lt_i16_sdwa s[0:1], v5, v6 src0_sel:BYTE_0 src1_sel:DWORD
	s_and_b64 vcc, exec, s[0:1]
	s_cbranch_vccnz .LBB22_111
; %bb.107:
	;; [unrolled: 5-line block ×3, first 2 shown]
	v_cmp_gt_i16_sdwa s[0:1], v5, v6 src0_sel:BYTE_0 src1_sel:DWORD
	s_and_b64 vcc, exec, s[0:1]
	s_cbranch_vccz .LBB22_113
; %bb.109:
	global_load_dwordx2 v[6:7], v[0:1], off
	s_mov_b64 s[0:1], 0
	s_waitcnt vmcnt(0)
	v_cvt_f32_f64_e32 v6, v[6:7]
	v_cvt_f16_f32_e32 v6, v6
	s_branch .LBB22_114
.LBB22_110:
                                        ; implicit-def: $vgpr6
	s_branch .LBB22_132
.LBB22_111:
	s_mov_b64 s[0:1], -1
                                        ; implicit-def: $vgpr6
	s_branch .LBB22_120
.LBB22_112:
	s_mov_b64 s[0:1], -1
                                        ; implicit-def: $vgpr6
	s_branch .LBB22_117
.LBB22_113:
	s_mov_b64 s[0:1], -1
                                        ; implicit-def: $vgpr6
.LBB22_114:
	s_andn2_b64 vcc, exec, s[0:1]
	s_cbranch_vccnz .LBB22_116
; %bb.115:
	global_load_dword v6, v[0:1], off
	s_waitcnt vmcnt(0)
	v_cvt_f16_f32_e32 v6, v6
.LBB22_116:
	s_mov_b64 s[0:1], 0
.LBB22_117:
	s_andn2_b64 vcc, exec, s[0:1]
	s_cbranch_vccnz .LBB22_119
; %bb.118:
	global_load_dword v6, v[0:1], off
.LBB22_119:
	s_mov_b64 s[0:1], 0
.LBB22_120:
	s_andn2_b64 vcc, exec, s[0:1]
	s_cbranch_vccnz .LBB22_131
; %bb.121:
	s_waitcnt vmcnt(0)
	v_mov_b32_e32 v6, 6
	v_cmp_lt_i16_sdwa s[0:1], v5, v6 src0_sel:BYTE_0 src1_sel:DWORD
	s_and_b64 vcc, exec, s[0:1]
	s_cbranch_vccnz .LBB22_124
; %bb.122:
	v_cmp_gt_i16_sdwa s[0:1], v5, v6 src0_sel:BYTE_0 src1_sel:DWORD
	s_and_b64 vcc, exec, s[0:1]
	s_cbranch_vccz .LBB22_125
; %bb.123:
	global_load_dwordx2 v[6:7], v[0:1], off
	s_mov_b64 s[0:1], 0
	s_waitcnt vmcnt(0)
	v_cvt_f32_f64_e32 v6, v[6:7]
	v_cvt_f16_f32_e32 v6, v6
	s_branch .LBB22_126
.LBB22_124:
	s_mov_b64 s[0:1], -1
                                        ; implicit-def: $vgpr6
	s_branch .LBB22_129
.LBB22_125:
	s_mov_b64 s[0:1], -1
                                        ; implicit-def: $vgpr6
.LBB22_126:
	s_andn2_b64 vcc, exec, s[0:1]
	s_cbranch_vccnz .LBB22_128
; %bb.127:
	global_load_dword v6, v[0:1], off
	s_waitcnt vmcnt(0)
	v_cvt_f16_f32_e32 v6, v6
.LBB22_128:
	s_mov_b64 s[0:1], 0
.LBB22_129:
	s_andn2_b64 vcc, exec, s[0:1]
	s_cbranch_vccnz .LBB22_131
; %bb.130:
	global_load_ushort v6, v[0:1], off
.LBB22_131:
	s_cbranch_execnz .LBB22_151
.LBB22_132:
	s_waitcnt vmcnt(0)
	v_mov_b32_e32 v6, 2
	v_cmp_lt_i16_sdwa s[0:1], v5, v6 src0_sel:BYTE_0 src1_sel:DWORD
	s_and_b64 vcc, exec, s[0:1]
	s_cbranch_vccnz .LBB22_136
; %bb.133:
	v_mov_b32_e32 v6, 3
	v_cmp_lt_i16_sdwa s[0:1], v5, v6 src0_sel:BYTE_0 src1_sel:DWORD
	s_and_b64 vcc, exec, s[0:1]
	s_cbranch_vccnz .LBB22_137
; %bb.134:
	v_cmp_gt_i16_sdwa s[0:1], v5, v6 src0_sel:BYTE_0 src1_sel:DWORD
	s_and_b64 vcc, exec, s[0:1]
	s_cbranch_vccz .LBB22_138
; %bb.135:
	global_load_dwordx2 v[6:7], v[0:1], off
	s_mov_b64 s[0:1], 0
	s_waitcnt vmcnt(0)
	v_xor_b32_e32 v9, v6, v7
	v_ffbh_i32_e32 v8, v7
	v_ashrrev_i32_e32 v9, 31, v9
	v_add_u32_e32 v8, -1, v8
	v_add_u32_e32 v9, 32, v9
	v_min_u32_e32 v8, v8, v9
	v_lshlrev_b64 v[6:7], v8, v[6:7]
	v_min_u32_e32 v6, 1, v6
	v_or_b32_e32 v6, v7, v6
	v_cvt_f32_i32_e32 v6, v6
	v_sub_u32_e32 v7, 32, v8
	v_ldexp_f32 v6, v6, v7
	v_cvt_f16_f32_e32 v6, v6
	s_branch .LBB22_139
.LBB22_136:
	s_mov_b64 s[0:1], -1
                                        ; implicit-def: $vgpr6
	s_branch .LBB22_145
.LBB22_137:
	s_mov_b64 s[0:1], -1
                                        ; implicit-def: $vgpr6
	s_branch .LBB22_142
.LBB22_138:
	s_mov_b64 s[0:1], -1
                                        ; implicit-def: $vgpr6
.LBB22_139:
	s_andn2_b64 vcc, exec, s[0:1]
	s_cbranch_vccnz .LBB22_141
; %bb.140:
	global_load_dword v6, v[0:1], off
	s_waitcnt vmcnt(0)
	v_cvt_f32_i32_e32 v6, v6
	v_cvt_f16_f32_e32 v6, v6
.LBB22_141:
	s_mov_b64 s[0:1], 0
.LBB22_142:
	s_andn2_b64 vcc, exec, s[0:1]
	s_cbranch_vccnz .LBB22_144
; %bb.143:
	global_load_ushort v6, v[0:1], off
	s_waitcnt vmcnt(0)
	v_cvt_f16_i16_e32 v6, v6
.LBB22_144:
	s_mov_b64 s[0:1], 0
.LBB22_145:
	s_andn2_b64 vcc, exec, s[0:1]
	s_cbranch_vccnz .LBB22_151
; %bb.146:
	v_mov_b32_e32 v6, 0
	v_cmp_gt_i16_sdwa s[0:1], v5, v6 src0_sel:BYTE_0 src1_sel:DWORD
	s_and_b64 vcc, exec, s[0:1]
	s_cbranch_vccz .LBB22_148
; %bb.147:
	global_load_sbyte v6, v[0:1], off
	s_mov_b64 s[0:1], 0
	s_waitcnt vmcnt(0)
	v_cvt_f16_i16_e32 v6, v6
	s_branch .LBB22_149
.LBB22_148:
	s_mov_b64 s[0:1], -1
                                        ; implicit-def: $vgpr6
.LBB22_149:
	s_andn2_b64 vcc, exec, s[0:1]
	s_cbranch_vccnz .LBB22_151
; %bb.150:
	global_load_ubyte v0, v[0:1], off
	s_waitcnt vmcnt(0)
	v_cvt_f16_u16_e32 v6, v0
.LBB22_151:
	s_branch .LBB22_11
.LBB22_152:
	s_mov_b64 s[0:1], 0
	s_mov_b64 s[18:19], 0
	s_branch .LBB22_381
.LBB22_153:
	s_mov_b64 s[18:19], -1
.LBB22_154:
	s_mov_b64 s[0:1], 0
                                        ; implicit-def: $vgpr8
.LBB22_155:
	s_and_b64 vcc, exec, s[6:7]
	s_cbranch_vccz .LBB22_271
; %bb.156:
	v_mov_b32_e32 v7, 44
	v_cmp_eq_u16_sdwa s[6:7], v4, v7 src0_sel:BYTE_0 src1_sel:DWORD
	s_and_b64 vcc, exec, s[6:7]
	s_cbranch_vccz .LBB22_270
; %bb.157:
	global_load_ubyte v7, v[0:1], off
	s_movk_i32 s6, 0xff
	v_mov_b32_e32 v9, 0x7e00
	s_mov_b64 s[0:1], -1
	s_mov_b64 s[18:19], 0
	s_waitcnt vmcnt(0)
	v_lshlrev_b32_e32 v8, 23, v7
	v_cvt_f16_f32_e32 v8, v8
	v_cmp_ne_u32_e32 vcc, s6, v7
	v_cndmask_b32_e32 v8, v9, v8, vcc
	v_cmp_ne_u32_e32 vcc, 0, v7
	v_cndmask_b32_e32 v8, 0, v8, vcc
	s_branch .LBB22_271
.LBB22_158:
	s_mov_b64 s[24:25], -1
	s_mov_b64 s[0:1], 0
	s_mov_b64 s[6:7], 0
.LBB22_159:
	s_and_b64 vcc, exec, s[24:25]
	s_cbranch_vccz .LBB22_164
; %bb.160:
	v_mov_b32_e32 v8, 44
	v_cmp_eq_u16_sdwa s[24:25], v2, v8 src0_sel:BYTE_0 src1_sel:DWORD
	s_mov_b64 s[0:1], -1
	s_and_b64 vcc, exec, s[24:25]
	s_cbranch_vccz .LBB22_164
; %bb.161:
	v_cvt_f32_f16_e32 v8, v6
	s_movk_i32 s0, 0xff
	v_mov_b32_e32 v10, 0xff
	v_bfe_u32 v9, v8, 23, 8
	v_cmp_ne_u32_e32 vcc, s0, v9
	s_and_saveexec_b64 s[6:7], vcc
; %bb.162:
	s_mov_b32 s0, 0x3fffff
	v_lshrrev_b32_e32 v10, 23, v8
	v_and_b32_e32 v11, 0x400000, v8
	v_and_or_b32 v8, v8, s0, v9
	v_cmp_ne_u32_e32 vcc, 0, v11
	v_cmp_ne_u32_e64 s[0:1], 0, v8
	s_and_b64 s[0:1], vcc, s[0:1]
	v_cndmask_b32_e64 v8, 0, 1, s[0:1]
	v_add_u32_e32 v10, v10, v8
; %bb.163:
	s_or_b64 exec, exec, s[6:7]
	s_mov_b64 s[6:7], -1
	s_mov_b64 s[0:1], 0
	global_store_byte v[0:1], v10, off
.LBB22_164:
	s_mov_b64 s[24:25], 0
.LBB22_165:
	s_and_b64 vcc, exec, s[24:25]
	s_cbranch_vccz .LBB22_168
; %bb.166:
	v_mov_b32_e32 v8, 29
	v_cmp_eq_u16_sdwa s[24:25], v2, v8 src0_sel:BYTE_0 src1_sel:DWORD
	s_mov_b64 s[0:1], -1
	s_and_b64 vcc, exec, s[24:25]
	s_cbranch_vccz .LBB22_168
; %bb.167:
	v_cvt_f32_f16_e32 v8, v6
	v_mov_b32_e32 v9, 0
	s_mov_b64 s[6:7], -1
	s_mov_b64 s[0:1], 0
	v_cvt_u32_f32_e32 v8, v8
	s_mov_b64 s[24:25], 0
	global_store_dwordx2 v[0:1], v[8:9], off
	s_branch .LBB22_169
.LBB22_168:
	s_mov_b64 s[24:25], 0
.LBB22_169:
	s_and_b64 vcc, exec, s[24:25]
	s_cbranch_vccz .LBB22_185
; %bb.170:
	v_mov_b32_e32 v8, 27
	v_cmp_lt_i16_sdwa s[24:25], v2, v8 src0_sel:BYTE_0 src1_sel:DWORD
	s_mov_b64 s[6:7], -1
	s_and_b64 vcc, exec, s[24:25]
	s_cbranch_vccnz .LBB22_176
; %bb.171:
	v_cmp_gt_i16_sdwa s[24:25], v2, v8 src0_sel:BYTE_0 src1_sel:DWORD
	s_and_b64 vcc, exec, s[24:25]
	s_cbranch_vccz .LBB22_173
; %bb.172:
	v_cvt_f32_f16_e32 v8, v6
	s_mov_b64 s[6:7], 0
	v_cvt_u32_f32_e32 v8, v8
	global_store_dword v[0:1], v8, off
.LBB22_173:
	s_andn2_b64 vcc, exec, s[6:7]
	s_cbranch_vccnz .LBB22_175
; %bb.174:
	v_cvt_u16_f16_e32 v8, v6
	global_store_short v[0:1], v8, off
.LBB22_175:
	s_mov_b64 s[6:7], 0
.LBB22_176:
	s_andn2_b64 vcc, exec, s[6:7]
	s_cbranch_vccnz .LBB22_184
; %bb.177:
	v_cvt_f32_f16_e32 v8, v6
	s_mov_b32 s6, 0x43800000
	v_mov_b32_e32 v10, 0x80
	v_and_b32_e32 v9, 0x7fffffff, v8
	v_cmp_gt_u32_e32 vcc, s6, v9
	s_and_saveexec_b64 s[6:7], vcc
	s_cbranch_execz .LBB22_183
; %bb.178:
	s_mov_b32 s15, 0x3bffffff
	v_cmp_lt_u32_e32 vcc, s15, v9
	s_mov_b64 s[24:25], 0
                                        ; implicit-def: $vgpr9
	s_and_saveexec_b64 s[28:29], vcc
	s_xor_b64 s[28:29], exec, s[28:29]
	s_cbranch_execz .LBB22_412
; %bb.179:
	v_bfe_u32 v9, v8, 20, 1
	s_mov_b32 s15, 0x487ffff
	v_add3_u32 v9, v8, v9, s15
	s_mov_b64 s[24:25], exec
	v_lshrrev_b32_e32 v9, 20, v9
	s_or_saveexec_b64 s[28:29], s[28:29]
                                        ; implicit-def: $sgpr15
	s_xor_b64 exec, exec, s[28:29]
	s_cbranch_execnz .LBB22_413
.LBB22_180:
	s_or_b64 exec, exec, s[28:29]
	v_mov_b32_e32 v10, s15
	s_and_saveexec_b64 s[28:29], s[24:25]
.LBB22_181:
	v_lshrrev_b32_e32 v8, 24, v8
	s_movk_i32 s15, 0x80
	v_and_or_b32 v10, v8, s15, v9
.LBB22_182:
	s_or_b64 exec, exec, s[28:29]
.LBB22_183:
	s_or_b64 exec, exec, s[6:7]
	global_store_byte v[0:1], v10, off
.LBB22_184:
	s_mov_b64 s[6:7], -1
.LBB22_185:
	s_mov_b64 s[24:25], 0
.LBB22_186:
	s_and_b64 vcc, exec, s[24:25]
	s_cbranch_vccz .LBB22_227
; %bb.187:
	v_mov_b32_e32 v8, 22
	v_cmp_gt_i16_sdwa s[28:29], v2, v8 src0_sel:BYTE_0 src1_sel:DWORD
	s_mov_b64 s[24:25], -1
	s_and_b64 vcc, exec, s[28:29]
	s_cbranch_vccz .LBB22_219
; %bb.188:
	v_mov_b32_e32 v8, 24
	v_cmp_lt_i16_sdwa s[24:25], v2, v8 src0_sel:BYTE_0 src1_sel:DWORD
	s_mov_b64 s[6:7], -1
	s_and_b64 vcc, exec, s[24:25]
	s_cbranch_vccnz .LBB22_208
; %bb.189:
	v_cmp_gt_i16_sdwa s[24:25], v2, v8 src0_sel:BYTE_0 src1_sel:DWORD
	s_and_b64 vcc, exec, s[24:25]
	s_cbranch_vccz .LBB22_197
; %bb.190:
	v_cvt_f32_f16_e32 v8, v6
	s_mov_b32 s6, 0x47800000
	v_mov_b32_e32 v10, 0x80
	v_and_b32_e32 v9, 0x7fffffff, v8
	v_cmp_gt_u32_e32 vcc, s6, v9
	s_and_saveexec_b64 s[6:7], vcc
	s_cbranch_execz .LBB22_196
; %bb.191:
	s_mov_b32 s15, 0x37ffffff
	v_cmp_lt_u32_e32 vcc, s15, v9
	s_mov_b64 s[24:25], 0
                                        ; implicit-def: $vgpr9
	s_and_saveexec_b64 s[28:29], vcc
	s_xor_b64 s[28:29], exec, s[28:29]
	s_cbranch_execz .LBB22_531
; %bb.192:
	v_bfe_u32 v9, v8, 21, 1
	s_mov_b32 s15, 0x88fffff
	v_add3_u32 v9, v8, v9, s15
	s_mov_b64 s[24:25], exec
	v_lshrrev_b32_e32 v9, 21, v9
	s_or_saveexec_b64 s[28:29], s[28:29]
                                        ; implicit-def: $sgpr15
	s_xor_b64 exec, exec, s[28:29]
	s_cbranch_execnz .LBB22_532
.LBB22_193:
	s_or_b64 exec, exec, s[28:29]
	v_mov_b32_e32 v10, s15
	s_and_saveexec_b64 s[28:29], s[24:25]
.LBB22_194:
	v_lshrrev_b32_e32 v8, 24, v8
	s_movk_i32 s15, 0x80
	v_and_or_b32 v10, v8, s15, v9
.LBB22_195:
	s_or_b64 exec, exec, s[28:29]
.LBB22_196:
	s_or_b64 exec, exec, s[6:7]
	s_mov_b64 s[6:7], 0
	global_store_byte v[0:1], v10, off
.LBB22_197:
	s_and_b64 vcc, exec, s[6:7]
	s_cbranch_vccz .LBB22_207
; %bb.198:
	v_cvt_f32_f16_e32 v8, v6
	s_mov_b32 s6, 0x43f00000
                                        ; implicit-def: $vgpr9
	v_and_b32_e32 v10, 0x7fffffff, v8
	v_cmp_gt_u32_e32 vcc, s6, v10
	s_and_saveexec_b64 s[6:7], vcc
	s_xor_b64 s[6:7], exec, s[6:7]
	s_cbranch_execz .LBB22_204
; %bb.199:
	s_mov_b32 s15, 0x3c7fffff
	v_cmp_lt_u32_e32 vcc, s15, v10
                                        ; implicit-def: $vgpr9
	s_and_saveexec_b64 s[24:25], vcc
	s_xor_b64 s[24:25], exec, s[24:25]
; %bb.200:
	v_bfe_u32 v9, v8, 20, 1
	s_mov_b32 s15, 0x407ffff
	v_add3_u32 v9, v8, v9, s15
	v_lshrrev_b32_e32 v10, 20, v9
	v_and_b32_e32 v9, 0xff00000, v9
	s_mov_b32 s15, 0x7f00000
	v_mov_b32_e32 v11, 0x7e
	v_cmp_ne_u32_e32 vcc, s15, v9
	v_cndmask_b32_e32 v9, v11, v10, vcc
; %bb.201:
	s_andn2_saveexec_b64 s[24:25], s[24:25]
; %bb.202:
	s_mov_b32 s15, 0x46800000
	v_add_f32_e64 v9, |v8|, s15
; %bb.203:
	s_or_b64 exec, exec, s[24:25]
                                        ; implicit-def: $vgpr10
.LBB22_204:
	s_andn2_saveexec_b64 s[6:7], s[6:7]
; %bb.205:
	s_mov_b32 s15, 0x7f800000
	v_mov_b32_e32 v9, 0x7e
	v_mov_b32_e32 v11, 0x7f
	v_cmp_lt_u32_e32 vcc, s15, v10
	v_cndmask_b32_e32 v9, v9, v11, vcc
; %bb.206:
	s_or_b64 exec, exec, s[6:7]
	v_lshrrev_b32_e32 v8, 24, v8
	s_movk_i32 s6, 0x80
	v_and_or_b32 v8, v8, s6, v9
	global_store_byte v[0:1], v8, off
.LBB22_207:
	s_mov_b64 s[6:7], 0
.LBB22_208:
	s_andn2_b64 vcc, exec, s[6:7]
	s_cbranch_vccnz .LBB22_218
; %bb.209:
	v_cvt_f32_f16_e32 v8, v6
	s_mov_b32 s6, 0x47800000
                                        ; implicit-def: $vgpr9
	v_and_b32_e32 v10, 0x7fffffff, v8
	v_cmp_gt_u32_e32 vcc, s6, v10
	s_and_saveexec_b64 s[6:7], vcc
	s_xor_b64 s[6:7], exec, s[6:7]
	s_cbranch_execz .LBB22_215
; %bb.210:
	s_mov_b32 s15, 0x387fffff
	v_cmp_lt_u32_e32 vcc, s15, v10
                                        ; implicit-def: $vgpr9
	s_and_saveexec_b64 s[24:25], vcc
	s_xor_b64 s[24:25], exec, s[24:25]
; %bb.211:
	v_bfe_u32 v9, v8, 21, 1
	s_mov_b32 s15, 0x80fffff
	v_add3_u32 v9, v8, v9, s15
	v_lshrrev_b32_e32 v9, 21, v9
; %bb.212:
	s_andn2_saveexec_b64 s[24:25], s[24:25]
; %bb.213:
	s_mov_b32 s15, 0x43000000
	v_add_f32_e64 v9, |v8|, s15
; %bb.214:
	s_or_b64 exec, exec, s[24:25]
                                        ; implicit-def: $vgpr10
.LBB22_215:
	s_andn2_saveexec_b64 s[6:7], s[6:7]
; %bb.216:
	s_mov_b32 s15, 0x7f800000
	v_mov_b32_e32 v9, 0x7c
	v_mov_b32_e32 v11, 0x7f
	v_cmp_lt_u32_e32 vcc, s15, v10
	v_cndmask_b32_e32 v9, v9, v11, vcc
; %bb.217:
	s_or_b64 exec, exec, s[6:7]
	v_lshrrev_b32_e32 v8, 24, v8
	s_movk_i32 s6, 0x80
	v_and_or_b32 v8, v8, s6, v9
	global_store_byte v[0:1], v8, off
.LBB22_218:
	s_mov_b64 s[24:25], 0
	s_mov_b64 s[6:7], -1
.LBB22_219:
	s_andn2_b64 vcc, exec, s[24:25]
	s_cbranch_vccnz .LBB22_227
; %bb.220:
	v_mov_b32_e32 v8, 14
	v_cmp_gt_i16_sdwa s[28:29], v2, v8 src0_sel:BYTE_0 src1_sel:DWORD
	s_mov_b64 s[24:25], -1
	s_and_b64 vcc, exec, s[28:29]
	s_cbranch_vccz .LBB22_224
; %bb.221:
	v_mov_b32_e32 v8, 15
	v_cmp_eq_u16_sdwa s[24:25], v2, v8 src0_sel:BYTE_0 src1_sel:DWORD
	s_mov_b64 s[0:1], -1
	s_and_b64 vcc, exec, s[24:25]
	s_cbranch_vccz .LBB22_223
; %bb.222:
	v_cvt_f32_f16_e32 v8, v6
	s_movk_i32 s0, 0x7fff
	v_mov_b32_e32 v9, 0x7fc0
	v_cmp_o_f16_e32 vcc, v6, v6
	v_bfe_u32 v10, v8, 16, 1
	v_add3_u32 v8, v8, v10, s0
	v_lshrrev_b32_e32 v8, 16, v8
	v_cndmask_b32_e32 v8, v9, v8, vcc
	global_store_short v[0:1], v8, off
	s_mov_b64 s[6:7], -1
	s_mov_b64 s[0:1], 0
.LBB22_223:
	s_mov_b64 s[24:25], 0
.LBB22_224:
	s_and_b64 vcc, exec, s[24:25]
	s_cbranch_vccz .LBB22_227
; %bb.225:
	v_mov_b32_e32 v8, 11
	v_cmp_eq_u16_sdwa s[24:25], v2, v8 src0_sel:BYTE_0 src1_sel:DWORD
	s_mov_b64 s[0:1], -1
	s_and_b64 vcc, exec, s[24:25]
	s_cbranch_vccz .LBB22_227
; %bb.226:
	v_cmp_ne_u16_e32 vcc, 0, v7
	v_cndmask_b32_e64 v7, 0, 1, vcc
	s_mov_b64 s[6:7], -1
	s_mov_b64 s[0:1], 0
	global_store_byte v[0:1], v7, off
.LBB22_227:
	s_mov_b64 s[24:25], 0
.LBB22_228:
	s_and_b64 vcc, exec, s[24:25]
	s_cbranch_vccz .LBB22_267
; %bb.229:
	v_mov_b32_e32 v7, 5
	v_cmp_lt_i16_sdwa s[24:25], v2, v7 src0_sel:BYTE_0 src1_sel:DWORD
	s_mov_b64 s[6:7], -1
	s_and_b64 vcc, exec, s[24:25]
	s_cbranch_vccnz .LBB22_250
; %bb.230:
	v_mov_b32_e32 v7, 8
	v_cmp_lt_i16_sdwa s[24:25], v2, v7 src0_sel:BYTE_0 src1_sel:DWORD
	s_and_b64 vcc, exec, s[24:25]
	s_cbranch_vccnz .LBB22_240
; %bb.231:
	v_mov_b32_e32 v7, 9
	v_cmp_lt_i16_sdwa s[24:25], v2, v7 src0_sel:BYTE_0 src1_sel:DWORD
	s_and_b64 vcc, exec, s[24:25]
	s_cbranch_vccnz .LBB22_237
; %bb.232:
	v_cmp_gt_i16_sdwa s[24:25], v2, v7 src0_sel:BYTE_0 src1_sel:DWORD
	s_and_b64 vcc, exec, s[24:25]
	s_cbranch_vccz .LBB22_234
; %bb.233:
	v_cvt_f32_f16_e32 v7, v6
	v_mov_b32_e32 v10, 0
	v_mov_b32_e32 v11, v10
	s_mov_b64 s[6:7], 0
	v_cvt_f64_f32_e32 v[8:9], v7
	global_store_dwordx4 v[0:1], v[8:11], off
.LBB22_234:
	s_andn2_b64 vcc, exec, s[6:7]
	s_cbranch_vccnz .LBB22_236
; %bb.235:
	v_cvt_f32_f16_e32 v8, v6
	v_mov_b32_e32 v9, 0
	global_store_dwordx2 v[0:1], v[8:9], off
.LBB22_236:
	s_mov_b64 s[6:7], 0
.LBB22_237:
	s_andn2_b64 vcc, exec, s[6:7]
	s_cbranch_vccnz .LBB22_239
; %bb.238:
	v_and_b32_e32 v7, 0xffff, v6
	global_store_dword v[0:1], v7, off
.LBB22_239:
	s_mov_b64 s[6:7], 0
.LBB22_240:
	s_andn2_b64 vcc, exec, s[6:7]
	s_cbranch_vccnz .LBB22_249
; %bb.241:
	v_mov_b32_e32 v7, 6
	v_cmp_lt_i16_sdwa s[24:25], v2, v7 src0_sel:BYTE_0 src1_sel:DWORD
	s_mov_b64 s[6:7], -1
	s_and_b64 vcc, exec, s[24:25]
	s_cbranch_vccnz .LBB22_247
; %bb.242:
	v_cmp_gt_i16_sdwa s[24:25], v2, v7 src0_sel:BYTE_0 src1_sel:DWORD
	s_and_b64 vcc, exec, s[24:25]
	s_cbranch_vccz .LBB22_244
; %bb.243:
	v_cvt_f32_f16_e32 v7, v6
	s_mov_b64 s[6:7], 0
	v_cvt_f64_f32_e32 v[8:9], v7
	global_store_dwordx2 v[0:1], v[8:9], off
.LBB22_244:
	s_andn2_b64 vcc, exec, s[6:7]
	s_cbranch_vccnz .LBB22_246
; %bb.245:
	v_cvt_f32_f16_e32 v7, v6
	global_store_dword v[0:1], v7, off
.LBB22_246:
	s_mov_b64 s[6:7], 0
.LBB22_247:
	s_andn2_b64 vcc, exec, s[6:7]
	s_cbranch_vccnz .LBB22_249
; %bb.248:
	global_store_short v[0:1], v6, off
.LBB22_249:
	s_mov_b64 s[6:7], 0
.LBB22_250:
	s_andn2_b64 vcc, exec, s[6:7]
	s_cbranch_vccnz .LBB22_266
; %bb.251:
	v_mov_b32_e32 v7, 2
	v_cmp_lt_i16_sdwa s[24:25], v2, v7 src0_sel:BYTE_0 src1_sel:DWORD
	s_mov_b64 s[6:7], -1
	s_and_b64 vcc, exec, s[24:25]
	s_cbranch_vccnz .LBB22_261
; %bb.252:
	v_mov_b32_e32 v7, 3
	v_cmp_lt_i16_sdwa s[24:25], v2, v7 src0_sel:BYTE_0 src1_sel:DWORD
	s_and_b64 vcc, exec, s[24:25]
	s_cbranch_vccnz .LBB22_258
; %bb.253:
	v_cmp_gt_i16_sdwa s[24:25], v2, v7 src0_sel:BYTE_0 src1_sel:DWORD
	s_and_b64 vcc, exec, s[24:25]
	s_cbranch_vccz .LBB22_255
; %bb.254:
	v_cvt_f32_f16_e32 v7, v6
	s_mov_b64 s[6:7], 0
	v_cvt_i32_f32_e32 v8, v7
	v_ashrrev_i32_e32 v9, 31, v8
	global_store_dwordx2 v[0:1], v[8:9], off
.LBB22_255:
	s_andn2_b64 vcc, exec, s[6:7]
	s_cbranch_vccnz .LBB22_257
; %bb.256:
	v_cvt_f32_f16_e32 v7, v6
	v_cvt_i32_f32_e32 v7, v7
	global_store_dword v[0:1], v7, off
.LBB22_257:
	s_mov_b64 s[6:7], 0
.LBB22_258:
	s_andn2_b64 vcc, exec, s[6:7]
	s_cbranch_vccnz .LBB22_260
; %bb.259:
	v_cvt_i16_f16_e32 v7, v6
	global_store_short v[0:1], v7, off
.LBB22_260:
	s_mov_b64 s[6:7], 0
.LBB22_261:
	s_andn2_b64 vcc, exec, s[6:7]
	s_cbranch_vccnz .LBB22_266
; %bb.262:
	v_mov_b32_e32 v7, 0
	v_cmp_gt_i16_sdwa s[24:25], v2, v7 src0_sel:BYTE_0 src1_sel:DWORD
	s_mov_b64 s[6:7], -1
	s_and_b64 vcc, exec, s[24:25]
	s_cbranch_vccz .LBB22_264
; %bb.263:
	v_cvt_i16_f16_e32 v7, v6
	global_store_byte v[0:1], v7, off
	s_mov_b64 s[6:7], 0
.LBB22_264:
	s_andn2_b64 vcc, exec, s[6:7]
	s_cbranch_vccnz .LBB22_266
; %bb.265:
	v_cvt_f32_f16_e32 v6, v6
	v_cvt_i32_f32_e32 v6, v6
	global_store_byte v[0:1], v6, off
.LBB22_266:
	s_mov_b64 s[6:7], -1
.LBB22_267:
	s_andn2_b64 vcc, exec, s[6:7]
	s_cbranch_vccnz .LBB22_269
; %bb.268:
	v_add_u32_e32 v3, 0x80, v3
	s_mov_b64 s[24:25], -1
	s_branch .LBB22_382
.LBB22_269:
	s_mov_b64 s[24:25], 0
                                        ; implicit-def: $vgpr3
	s_branch .LBB22_382
.LBB22_270:
	s_mov_b64 s[18:19], -1
                                        ; implicit-def: $vgpr8
.LBB22_271:
	s_mov_b64 s[6:7], 0
.LBB22_272:
	s_and_b64 vcc, exec, s[6:7]
	s_cbranch_vccz .LBB22_276
; %bb.273:
	v_mov_b32_e32 v7, 29
	v_cmp_eq_u16_sdwa s[6:7], v4, v7 src0_sel:BYTE_0 src1_sel:DWORD
	s_and_b64 vcc, exec, s[6:7]
	s_cbranch_vccz .LBB22_275
; %bb.274:
	global_load_dwordx2 v[8:9], v[0:1], off
	s_mov_b64 s[0:1], -1
	s_mov_b64 s[18:19], 0
	s_mov_b64 s[6:7], 0
	s_waitcnt vmcnt(0)
	v_ffbh_u32_e32 v7, v9
	v_min_u32_e32 v7, 32, v7
	v_lshlrev_b64 v[8:9], v7, v[8:9]
	v_min_u32_e32 v8, 1, v8
	v_or_b32_e32 v8, v9, v8
	v_cvt_f32_u32_e32 v8, v8
	v_sub_u32_e32 v7, 32, v7
	v_ldexp_f32 v7, v8, v7
	v_cvt_f16_f32_e32 v8, v7
	s_branch .LBB22_277
.LBB22_275:
	s_mov_b64 s[18:19], -1
                                        ; implicit-def: $vgpr8
.LBB22_276:
	s_mov_b64 s[6:7], 0
.LBB22_277:
	s_and_b64 vcc, exec, s[6:7]
	s_cbranch_vccz .LBB22_295
; %bb.278:
	v_mov_b32_e32 v7, 27
	v_cmp_lt_i16_sdwa s[0:1], v4, v7 src0_sel:BYTE_0 src1_sel:DWORD
	s_and_b64 vcc, exec, s[0:1]
	s_cbranch_vccnz .LBB22_281
; %bb.279:
	v_cmp_gt_i16_sdwa s[0:1], v4, v7 src0_sel:BYTE_0 src1_sel:DWORD
	s_and_b64 vcc, exec, s[0:1]
	s_cbranch_vccz .LBB22_282
; %bb.280:
	global_load_dword v7, v[0:1], off
	s_mov_b64 s[0:1], 0
	s_waitcnt vmcnt(0)
	v_cvt_f32_u32_e32 v7, v7
	v_cvt_f16_f32_e32 v8, v7
	s_branch .LBB22_283
.LBB22_281:
	s_mov_b64 s[0:1], -1
                                        ; implicit-def: $vgpr8
	s_branch .LBB22_286
.LBB22_282:
	s_mov_b64 s[0:1], -1
                                        ; implicit-def: $vgpr8
.LBB22_283:
	s_andn2_b64 vcc, exec, s[0:1]
	s_cbranch_vccnz .LBB22_285
; %bb.284:
	global_load_ushort v7, v[0:1], off
	s_waitcnt vmcnt(0)
	v_cvt_f16_u16_e32 v8, v7
.LBB22_285:
	s_mov_b64 s[0:1], 0
.LBB22_286:
	s_andn2_b64 vcc, exec, s[0:1]
	s_cbranch_vccnz .LBB22_294
; %bb.287:
	global_load_ubyte v7, v[0:1], off
	s_movk_i32 s0, 0x7f
                                        ; implicit-def: $sgpr15
	s_waitcnt vmcnt(0)
	v_cmp_lt_i16_e32 vcc, s0, v7
	s_mov_b64 s[0:1], 0
	s_and_saveexec_b64 s[6:7], vcc
	s_xor_b64 s[6:7], exec, s[6:7]
	s_cbranch_execz .LBB22_308
; %bb.288:
	s_movk_i32 s0, 0x80
	v_cmp_eq_u16_e32 vcc, s0, v7
	s_mov_b64 s[0:1], -1
                                        ; implicit-def: $sgpr15
	s_and_saveexec_b64 s[24:25], vcc
; %bb.289:
	s_movk_i32 s15, 0x7e00
	s_xor_b64 s[0:1], exec, -1
; %bb.290:
	s_or_b64 exec, exec, s[24:25]
	s_and_b64 s[0:1], s[0:1], exec
	s_or_saveexec_b64 s[6:7], s[6:7]
	v_mov_b32_e32 v8, s15
	s_xor_b64 exec, exec, s[6:7]
	s_cbranch_execnz .LBB22_309
.LBB22_291:
	s_or_b64 exec, exec, s[6:7]
	s_and_saveexec_b64 s[6:7], s[0:1]
	s_cbranch_execz .LBB22_293
.LBB22_292:
	v_lshlrev_b32_e32 v8, 24, v7
	v_and_b32_e32 v7, 0xffff, v7
	v_and_b32_e32 v9, 7, v7
	v_ffbh_u32_e32 v11, v9
	v_min_u32_e32 v11, 32, v11
	v_subrev_u32_e32 v12, 28, v11
	v_bfe_u32 v10, v7, 3, 4
	v_lshlrev_b32_e32 v7, v12, v7
	v_sub_u32_e32 v11, 29, v11
	v_and_b32_e32 v7, 7, v7
	v_cmp_eq_u32_e32 vcc, 0, v10
	v_cndmask_b32_e32 v10, v10, v11, vcc
	v_cndmask_b32_e32 v7, v9, v7, vcc
	v_mov_b32_e32 v9, 0x3b800000
	v_lshlrev_b32_e32 v7, 20, v7
	v_and_b32_e32 v8, 0x80000000, v8
	v_lshl_add_u32 v9, v10, 23, v9
	v_or3_b32 v7, v8, v9, v7
	v_cvt_f16_f32_e32 v8, v7
.LBB22_293:
	s_or_b64 exec, exec, s[6:7]
.LBB22_294:
	s_mov_b64 s[0:1], -1
.LBB22_295:
	s_mov_b64 s[6:7], 0
.LBB22_296:
	s_and_b64 vcc, exec, s[6:7]
	s_cbranch_vccz .LBB22_331
; %bb.297:
	v_mov_b32_e32 v7, 22
	v_cmp_gt_i16_sdwa s[6:7], v4, v7 src0_sel:BYTE_0 src1_sel:DWORD
	s_and_b64 vcc, exec, s[6:7]
	s_cbranch_vccz .LBB22_307
; %bb.298:
	v_mov_b32_e32 v7, 24
	v_cmp_lt_i16_sdwa s[0:1], v4, v7 src0_sel:BYTE_0 src1_sel:DWORD
	s_and_b64 vcc, exec, s[0:1]
	s_cbranch_vccnz .LBB22_310
; %bb.299:
	v_cmp_gt_i16_sdwa s[0:1], v4, v7 src0_sel:BYTE_0 src1_sel:DWORD
	s_and_b64 vcc, exec, s[0:1]
	s_cbranch_vccz .LBB22_311
; %bb.300:
	global_load_ubyte v7, v[0:1], off
	s_movk_i32 s0, 0x7f
                                        ; implicit-def: $sgpr15
	s_waitcnt vmcnt(0)
	v_cmp_lt_i16_e32 vcc, s0, v7
	s_mov_b64 s[0:1], 0
	s_and_saveexec_b64 s[6:7], vcc
	s_xor_b64 s[6:7], exec, s[6:7]
	s_cbranch_execz .LBB22_323
; %bb.301:
	s_movk_i32 s0, 0x80
	v_cmp_eq_u16_e32 vcc, s0, v7
	s_mov_b64 s[0:1], -1
                                        ; implicit-def: $sgpr15
	s_and_saveexec_b64 s[24:25], vcc
; %bb.302:
	s_movk_i32 s15, 0x7e00
	s_xor_b64 s[0:1], exec, -1
; %bb.303:
	s_or_b64 exec, exec, s[24:25]
	s_and_b64 s[0:1], s[0:1], exec
	s_or_saveexec_b64 s[6:7], s[6:7]
	v_mov_b32_e32 v8, s15
	s_xor_b64 exec, exec, s[6:7]
	s_cbranch_execnz .LBB22_324
.LBB22_304:
	s_or_b64 exec, exec, s[6:7]
	s_and_saveexec_b64 s[6:7], s[0:1]
	s_cbranch_execz .LBB22_306
.LBB22_305:
	v_lshlrev_b32_e32 v8, 24, v7
	v_and_b32_e32 v7, 0xffff, v7
	v_and_b32_e32 v9, 3, v7
	v_ffbh_u32_e32 v11, v9
	v_min_u32_e32 v11, 32, v11
	v_subrev_u32_e32 v12, 29, v11
	v_bfe_u32 v10, v7, 2, 5
	v_lshlrev_b32_e32 v7, v12, v7
	v_sub_u32_e32 v11, 30, v11
	v_and_b32_e32 v7, 3, v7
	v_cmp_eq_u32_e32 vcc, 0, v10
	v_cndmask_b32_e32 v10, v10, v11, vcc
	v_cndmask_b32_e32 v7, v9, v7, vcc
	v_mov_b32_e32 v9, 0x37800000
	v_lshlrev_b32_e32 v7, 21, v7
	v_and_b32_e32 v8, 0x80000000, v8
	v_lshl_add_u32 v9, v10, 23, v9
	v_or3_b32 v7, v8, v9, v7
	v_cvt_f16_f32_e32 v8, v7
.LBB22_306:
	s_or_b64 exec, exec, s[6:7]
	s_mov_b64 s[0:1], 0
	s_branch .LBB22_312
.LBB22_307:
	s_mov_b64 s[6:7], -1
                                        ; implicit-def: $vgpr8
	s_branch .LBB22_318
.LBB22_308:
	s_or_saveexec_b64 s[6:7], s[6:7]
	v_mov_b32_e32 v8, s15
	s_xor_b64 exec, exec, s[6:7]
	s_cbranch_execz .LBB22_291
.LBB22_309:
	v_cmp_ne_u16_e32 vcc, 0, v7
	s_andn2_b64 s[0:1], s[0:1], exec
	s_and_b64 s[24:25], vcc, exec
	s_or_b64 s[0:1], s[0:1], s[24:25]
	v_mov_b32_e32 v8, v7
	s_or_b64 exec, exec, s[6:7]
	s_and_saveexec_b64 s[6:7], s[0:1]
	s_cbranch_execnz .LBB22_292
	s_branch .LBB22_293
.LBB22_310:
	s_mov_b64 s[0:1], -1
                                        ; implicit-def: $vgpr8
	s_branch .LBB22_315
.LBB22_311:
	s_mov_b64 s[0:1], -1
                                        ; implicit-def: $vgpr8
.LBB22_312:
	s_and_b64 vcc, exec, s[0:1]
	s_cbranch_vccz .LBB22_314
; %bb.313:
	global_load_ubyte v7, v[0:1], off
	s_mov_b32 s0, 0x7f800000
	s_waitcnt vmcnt(0)
	v_lshlrev_b32_e32 v7, 24, v7
	v_and_b32_e32 v8, 0x7f000000, v7
	v_ffbh_u32_e32 v9, v8
	v_min_u32_e32 v9, 32, v9
	v_sub_u32_e64 v9, v9, 4 clamp
	v_lshlrev_b32_e32 v11, v9, v8
	v_lshlrev_b32_e32 v9, 23, v9
	v_lshrrev_b32_e32 v11, 4, v11
	v_add_u32_e32 v10, 0x1000000, v8
	v_sub_u32_e32 v9, v11, v9
	v_ashrrev_i32_e32 v10, 8, v10
	v_add_u32_e32 v9, 0x3c000000, v9
	v_and_or_b32 v9, v10, s0, v9
	v_cmp_ne_u32_e32 vcc, 0, v8
	v_cndmask_b32_e32 v8, 0, v9, vcc
	s_brev_b32 s0, 1
	v_and_or_b32 v7, v7, s0, v8
	v_cvt_f16_f32_e32 v8, v7
.LBB22_314:
	s_mov_b64 s[0:1], 0
.LBB22_315:
	s_andn2_b64 vcc, exec, s[0:1]
	s_cbranch_vccnz .LBB22_317
; %bb.316:
	global_load_ubyte v7, v[0:1], off
	s_movk_i32 s0, 0x7f00
	s_brev_b32 s1, 16
	s_waitcnt vmcnt(0)
	v_lshlrev_b16_e32 v8, 8, v7
	v_lshlrev_b32_e32 v7, 25, v7
	v_lshrrev_b32_e32 v9, 4, v7
	v_and_or_b32 v10, v8, s0, 0.5
	v_or_b32_e32 v9, 0x70000000, v9
	v_add_f32_e32 v10, -0.5, v10
	v_mul_f32_e32 v9, 0x7800000, v9
	v_cmp_gt_u32_e32 vcc, s1, v7
	v_bfe_i32 v8, v8, 0, 16
	v_cndmask_b32_e32 v7, v9, v10, vcc
	s_brev_b32 s0, 1
	v_and_or_b32 v7, v8, s0, v7
	v_cvt_f16_f32_e32 v8, v7
.LBB22_317:
	s_mov_b64 s[6:7], 0
	s_mov_b64 s[0:1], -1
.LBB22_318:
	s_andn2_b64 vcc, exec, s[6:7]
	s_cbranch_vccnz .LBB22_331
; %bb.319:
	v_mov_b32_e32 v7, 14
	v_cmp_gt_i16_sdwa s[6:7], v4, v7 src0_sel:BYTE_0 src1_sel:DWORD
	s_and_b64 vcc, exec, s[6:7]
	s_cbranch_vccz .LBB22_322
; %bb.320:
	v_mov_b32_e32 v7, 15
	v_cmp_eq_u16_sdwa s[6:7], v4, v7 src0_sel:BYTE_0 src1_sel:DWORD
	s_and_b64 vcc, exec, s[6:7]
	s_cbranch_vccz .LBB22_325
; %bb.321:
	global_load_ushort v7, v[0:1], off
	s_mov_b64 s[0:1], -1
	s_mov_b64 s[18:19], 0
	s_waitcnt vmcnt(0)
	v_lshlrev_b32_e32 v7, 16, v7
	v_cvt_f16_f32_e32 v8, v7
	s_branch .LBB22_326
.LBB22_322:
	s_mov_b64 s[6:7], -1
                                        ; implicit-def: $vgpr8
	s_branch .LBB22_327
.LBB22_323:
	s_or_saveexec_b64 s[6:7], s[6:7]
	v_mov_b32_e32 v8, s15
	s_xor_b64 exec, exec, s[6:7]
	s_cbranch_execz .LBB22_304
.LBB22_324:
	v_cmp_ne_u16_e32 vcc, 0, v7
	s_andn2_b64 s[0:1], s[0:1], exec
	s_and_b64 s[24:25], vcc, exec
	s_or_b64 s[0:1], s[0:1], s[24:25]
	v_mov_b32_e32 v8, v7
	s_or_b64 exec, exec, s[6:7]
	s_and_saveexec_b64 s[6:7], s[0:1]
	s_cbranch_execnz .LBB22_305
	s_branch .LBB22_306
.LBB22_325:
	s_mov_b64 s[18:19], -1
                                        ; implicit-def: $vgpr8
.LBB22_326:
	s_mov_b64 s[6:7], 0
.LBB22_327:
	s_and_b64 vcc, exec, s[6:7]
	s_cbranch_vccz .LBB22_331
; %bb.328:
	v_mov_b32_e32 v7, 11
	v_cmp_eq_u16_sdwa s[6:7], v4, v7 src0_sel:BYTE_0 src1_sel:DWORD
	s_and_b64 vcc, exec, s[6:7]
	s_cbranch_vccz .LBB22_330
; %bb.329:
	global_load_ubyte v7, v[0:1], off
	v_mov_b32_e32 v8, 0x3c00
	s_mov_b64 s[0:1], -1
	s_mov_b64 s[18:19], 0
	s_waitcnt vmcnt(0)
	v_cmp_ne_u16_e32 vcc, 0, v7
	v_cndmask_b32_e32 v8, 0, v8, vcc
	s_branch .LBB22_331
.LBB22_330:
	s_mov_b64 s[18:19], -1
                                        ; implicit-def: $vgpr8
.LBB22_331:
	s_branch .LBB22_20
.LBB22_332:
	v_mov_b32_e32 v7, 5
	v_cmp_lt_i16_sdwa s[0:1], v4, v7 src0_sel:BYTE_0 src1_sel:DWORD
	s_and_b64 vcc, exec, s[0:1]
	s_cbranch_vccnz .LBB22_337
; %bb.333:
	v_mov_b32_e32 v7, 8
	v_cmp_lt_i16_sdwa s[0:1], v4, v7 src0_sel:BYTE_0 src1_sel:DWORD
	s_and_b64 vcc, exec, s[0:1]
	s_cbranch_vccnz .LBB22_338
; %bb.334:
	;; [unrolled: 5-line block ×3, first 2 shown]
	v_cmp_gt_i16_sdwa s[0:1], v4, v7 src0_sel:BYTE_0 src1_sel:DWORD
	s_and_b64 vcc, exec, s[0:1]
	s_cbranch_vccz .LBB22_340
; %bb.336:
	global_load_dwordx2 v[8:9], v[0:1], off
	s_mov_b64 s[0:1], 0
	s_waitcnt vmcnt(0)
	v_cvt_f32_f64_e32 v7, v[8:9]
	v_cvt_f16_f32_e32 v8, v7
	s_branch .LBB22_341
.LBB22_337:
	s_mov_b64 s[0:1], -1
                                        ; implicit-def: $vgpr8
	s_branch .LBB22_359
.LBB22_338:
	s_mov_b64 s[0:1], -1
                                        ; implicit-def: $vgpr8
	s_branch .LBB22_347
.LBB22_339:
	s_mov_b64 s[0:1], -1
                                        ; implicit-def: $vgpr8
	s_branch .LBB22_344
.LBB22_340:
	s_mov_b64 s[0:1], -1
                                        ; implicit-def: $vgpr8
.LBB22_341:
	s_andn2_b64 vcc, exec, s[0:1]
	s_cbranch_vccnz .LBB22_343
; %bb.342:
	global_load_dword v7, v[0:1], off
	s_waitcnt vmcnt(0)
	v_cvt_f16_f32_e32 v8, v7
.LBB22_343:
	s_mov_b64 s[0:1], 0
.LBB22_344:
	s_andn2_b64 vcc, exec, s[0:1]
	s_cbranch_vccnz .LBB22_346
; %bb.345:
	global_load_dword v8, v[0:1], off
.LBB22_346:
	s_mov_b64 s[0:1], 0
.LBB22_347:
	s_andn2_b64 vcc, exec, s[0:1]
	s_cbranch_vccnz .LBB22_358
; %bb.348:
	v_mov_b32_e32 v7, 6
	v_cmp_lt_i16_sdwa s[0:1], v4, v7 src0_sel:BYTE_0 src1_sel:DWORD
	s_and_b64 vcc, exec, s[0:1]
	s_cbranch_vccnz .LBB22_351
; %bb.349:
	v_cmp_gt_i16_sdwa s[0:1], v4, v7 src0_sel:BYTE_0 src1_sel:DWORD
	s_and_b64 vcc, exec, s[0:1]
	s_cbranch_vccz .LBB22_352
; %bb.350:
	global_load_dwordx2 v[8:9], v[0:1], off
	s_mov_b64 s[0:1], 0
	s_waitcnt vmcnt(0)
	v_cvt_f32_f64_e32 v7, v[8:9]
	v_cvt_f16_f32_e32 v8, v7
	s_branch .LBB22_353
.LBB22_351:
	s_mov_b64 s[0:1], -1
                                        ; implicit-def: $vgpr8
	s_branch .LBB22_356
.LBB22_352:
	s_mov_b64 s[0:1], -1
                                        ; implicit-def: $vgpr8
.LBB22_353:
	s_andn2_b64 vcc, exec, s[0:1]
	s_cbranch_vccnz .LBB22_355
; %bb.354:
	global_load_dword v7, v[0:1], off
	s_waitcnt vmcnt(0)
	v_cvt_f16_f32_e32 v8, v7
.LBB22_355:
	s_mov_b64 s[0:1], 0
.LBB22_356:
	s_andn2_b64 vcc, exec, s[0:1]
	s_cbranch_vccnz .LBB22_358
; %bb.357:
	global_load_ushort v8, v[0:1], off
.LBB22_358:
	s_mov_b64 s[0:1], 0
.LBB22_359:
	s_andn2_b64 vcc, exec, s[0:1]
	s_cbranch_vccnz .LBB22_379
; %bb.360:
	v_mov_b32_e32 v7, 2
	v_cmp_lt_i16_sdwa s[0:1], v4, v7 src0_sel:BYTE_0 src1_sel:DWORD
	s_and_b64 vcc, exec, s[0:1]
	s_cbranch_vccnz .LBB22_364
; %bb.361:
	v_mov_b32_e32 v7, 3
	v_cmp_lt_i16_sdwa s[0:1], v4, v7 src0_sel:BYTE_0 src1_sel:DWORD
	s_and_b64 vcc, exec, s[0:1]
	s_cbranch_vccnz .LBB22_365
; %bb.362:
	v_cmp_gt_i16_sdwa s[0:1], v4, v7 src0_sel:BYTE_0 src1_sel:DWORD
	s_and_b64 vcc, exec, s[0:1]
	s_cbranch_vccz .LBB22_366
; %bb.363:
	global_load_dwordx2 v[8:9], v[0:1], off
	s_mov_b64 s[0:1], 0
	s_waitcnt vmcnt(0)
	v_xor_b32_e32 v10, v8, v9
	v_ffbh_i32_e32 v7, v9
	v_ashrrev_i32_e32 v10, 31, v10
	v_add_u32_e32 v7, -1, v7
	v_add_u32_e32 v10, 32, v10
	v_min_u32_e32 v7, v7, v10
	v_lshlrev_b64 v[8:9], v7, v[8:9]
	v_min_u32_e32 v8, 1, v8
	v_or_b32_e32 v8, v9, v8
	v_cvt_f32_i32_e32 v8, v8
	v_sub_u32_e32 v7, 32, v7
	v_ldexp_f32 v7, v8, v7
	v_cvt_f16_f32_e32 v8, v7
	s_branch .LBB22_367
.LBB22_364:
	s_mov_b64 s[0:1], -1
                                        ; implicit-def: $vgpr8
	s_branch .LBB22_373
.LBB22_365:
	s_mov_b64 s[0:1], -1
                                        ; implicit-def: $vgpr8
	s_branch .LBB22_370
.LBB22_366:
	s_mov_b64 s[0:1], -1
                                        ; implicit-def: $vgpr8
.LBB22_367:
	s_andn2_b64 vcc, exec, s[0:1]
	s_cbranch_vccnz .LBB22_369
; %bb.368:
	global_load_dword v7, v[0:1], off
	s_waitcnt vmcnt(0)
	v_cvt_f32_i32_e32 v7, v7
	v_cvt_f16_f32_e32 v8, v7
.LBB22_369:
	s_mov_b64 s[0:1], 0
.LBB22_370:
	s_andn2_b64 vcc, exec, s[0:1]
	s_cbranch_vccnz .LBB22_372
; %bb.371:
	global_load_ushort v7, v[0:1], off
	s_waitcnt vmcnt(0)
	v_cvt_f16_i16_e32 v8, v7
.LBB22_372:
	s_mov_b64 s[0:1], 0
.LBB22_373:
	s_andn2_b64 vcc, exec, s[0:1]
	s_cbranch_vccnz .LBB22_379
; %bb.374:
	v_mov_b32_e32 v7, 0
	v_cmp_gt_i16_sdwa s[0:1], v4, v7 src0_sel:BYTE_0 src1_sel:DWORD
	s_and_b64 vcc, exec, s[0:1]
	s_cbranch_vccz .LBB22_376
; %bb.375:
	global_load_sbyte v7, v[0:1], off
	s_mov_b64 s[0:1], 0
	s_waitcnt vmcnt(0)
	v_cvt_f16_i16_e32 v8, v7
	s_branch .LBB22_377
.LBB22_376:
	s_mov_b64 s[0:1], -1
                                        ; implicit-def: $vgpr8
.LBB22_377:
	s_andn2_b64 vcc, exec, s[0:1]
	s_cbranch_vccnz .LBB22_379
; %bb.378:
	global_load_ubyte v0, v[0:1], off
	s_waitcnt vmcnt(0)
	v_cvt_f16_u16_e32 v8, v0
.LBB22_379:
	s_branch .LBB22_21
.LBB22_380:
	s_mov_b64 s[0:1], 0
.LBB22_381:
                                        ; implicit-def: $vgpr3
	s_mov_b64 s[24:25], 0
.LBB22_382:
	s_and_b64 s[6:7], s[0:1], exec
	s_and_b64 s[18:19], s[18:19], exec
	;; [unrolled: 1-line block ×3, first 2 shown]
	s_orn2_b64 s[0:1], s[24:25], exec
.LBB22_383:
	s_or_b64 exec, exec, s[22:23]
	s_mov_b64 s[30:31], 0
	s_mov_b64 s[28:29], 0
                                        ; implicit-def: $vgpr7
                                        ; implicit-def: $vgpr0_vgpr1
                                        ; implicit-def: $vgpr6
	s_and_saveexec_b64 s[22:23], s[0:1]
	s_cbranch_execz .LBB22_392
; %bb.384:
	v_cmp_gt_i32_e32 vcc, s33, v3
	s_mov_b64 s[0:1], -1
	s_mov_b64 s[24:25], s[20:21]
	s_mov_b64 s[26:27], s[18:19]
	s_mov_b64 s[28:29], s[6:7]
	s_and_saveexec_b64 s[30:31], vcc
	s_cbranch_execz .LBB22_773
; %bb.385:
	v_mul_lo_u32 v0, v3, s13
	v_ashrrev_i32_e32 v1, 31, v0
	s_waitcnt vmcnt(0)
	v_mov_b32_e32 v6, s11
	v_add_co_u32_e32 v0, vcc, s10, v0
	v_addc_co_u32_e32 v1, vcc, v6, v1, vcc
	v_mov_b32_e32 v6, 11
	v_cmp_lt_i16_sdwa s[0:1], v5, v6 src0_sel:BYTE_0 src1_sel:DWORD
	s_and_b64 vcc, exec, s[0:1]
	s_cbranch_vccnz .LBB22_395
; %bb.386:
	v_mov_b32_e32 v6, 25
	v_cmp_gt_i16_sdwa s[0:1], v5, v6 src0_sel:BYTE_0 src1_sel:DWORD
	s_and_b64 vcc, exec, s[0:1]
	s_cbranch_vccz .LBB22_404
; %bb.387:
	v_mov_b32_e32 v6, 28
	v_cmp_gt_i16_sdwa s[0:1], v5, v6 src0_sel:BYTE_0 src1_sel:DWORD
	s_and_b64 vcc, exec, s[0:1]
	s_cbranch_vccz .LBB22_406
	;; [unrolled: 5-line block ×4, first 2 shown]
; %bb.390:
	v_mov_b32_e32 v6, 46
	v_cmp_eq_u16_sdwa s[0:1], v5, v6 src0_sel:BYTE_0 src1_sel:DWORD
	s_mov_b64 s[26:27], 0
	s_and_b64 vcc, exec, s[0:1]
	s_cbranch_vccz .LBB22_414
; %bb.391:
	global_load_dword v6, v[0:1], off
	s_mov_b64 s[0:1], -1
	s_mov_b64 s[24:25], 0
	s_waitcnt vmcnt(0)
	v_lshlrev_b32_e32 v6, 16, v6
	v_cvt_f16_f32_e32 v6, v6
	s_branch .LBB22_415
.LBB22_392:
	s_or_b64 exec, exec, s[22:23]
	s_mov_b64 s[22:23], 0
	s_and_saveexec_b64 s[0:1], s[20:21]
	s_cbranch_execnz .LBB22_1248
.LBB22_393:
	s_or_b64 exec, exec, s[0:1]
	s_and_saveexec_b64 s[0:1], s[26:27]
	s_xor_b64 s[0:1], exec, s[0:1]
	s_cbranch_execz .LBB22_1249
.LBB22_394:
	global_load_ubyte v5, v[0:1], off
	s_waitcnt vmcnt(1)
	v_mov_b32_e32 v6, 0x3c00
	s_or_b64 s[28:29], s[28:29], exec
	s_waitcnt vmcnt(0)
	v_cmp_ne_u16_e32 vcc, 0, v5
	v_cndmask_b32_e32 v6, 0, v6, vcc
	s_or_b64 exec, exec, s[0:1]
	s_and_saveexec_b64 s[0:1], s[30:31]
	s_cbranch_execz .LBB22_1295
	s_branch .LBB22_1250
.LBB22_395:
	s_mov_b64 s[0:1], 0
                                        ; implicit-def: $vgpr6
	s_mov_b64 s[24:25], s[20:21]
	s_cbranch_execnz .LBB22_481
.LBB22_396:
	s_andn2_b64 vcc, exec, s[0:1]
	s_cbranch_vccnz .LBB22_529
.LBB22_397:
	v_mul_lo_u32 v0, v3, s14
	v_ashrrev_i32_e32 v1, 31, v0
	v_mov_b32_e32 v7, s3
	v_add_co_u32_e32 v0, vcc, s2, v0
	v_addc_co_u32_e32 v1, vcc, v7, v1, vcc
	v_mov_b32_e32 v7, 11
	v_cmp_lt_i16_sdwa s[0:1], v4, v7 src0_sel:BYTE_0 src1_sel:DWORD
	s_and_b64 vcc, exec, s[0:1]
	s_cbranch_vccnz .LBB22_405
; %bb.398:
	v_mov_b32_e32 v7, 25
	v_cmp_gt_i16_sdwa s[0:1], v4, v7 src0_sel:BYTE_0 src1_sel:DWORD
	s_and_b64 vcc, exec, s[0:1]
	s_cbranch_vccz .LBB22_407
; %bb.399:
	v_mov_b32_e32 v7, 28
	v_cmp_gt_i16_sdwa s[0:1], v4, v7 src0_sel:BYTE_0 src1_sel:DWORD
	s_and_b64 vcc, exec, s[0:1]
	s_cbranch_vccz .LBB22_409
	;; [unrolled: 5-line block ×4, first 2 shown]
; %bb.402:
	v_mov_b32_e32 v7, 46
	v_cmp_eq_u16_sdwa s[0:1], v4, v7 src0_sel:BYTE_0 src1_sel:DWORD
	s_mov_b64 s[28:29], 0
	s_and_b64 vcc, exec, s[0:1]
	s_cbranch_vccz .LBB22_533
; %bb.403:
	global_load_dword v7, v[0:1], off
	s_mov_b64 s[0:1], -1
	s_mov_b64 s[26:27], 0
	s_waitcnt vmcnt(0)
	v_lshlrev_b32_e32 v7, 16, v7
	v_cvt_f16_f32_e32 v8, v7
	s_branch .LBB22_534
.LBB22_404:
	s_mov_b64 s[26:27], -1
	s_mov_b64 s[0:1], 0
	s_mov_b64 s[24:25], s[20:21]
                                        ; implicit-def: $vgpr6
	s_branch .LBB22_445
.LBB22_405:
	s_mov_b64 s[28:29], -1
	s_mov_b64 s[0:1], 0
                                        ; implicit-def: $vgpr8
	s_mov_b64 s[26:27], s[18:19]
	s_branch .LBB22_599
.LBB22_406:
	s_mov_b64 s[26:27], -1
	s_mov_b64 s[0:1], 0
	s_mov_b64 s[24:25], s[20:21]
                                        ; implicit-def: $vgpr6
	s_branch .LBB22_426
.LBB22_407:
	s_mov_b64 s[28:29], -1
	s_mov_b64 s[0:1], 0
	s_mov_b64 s[26:27], s[18:19]
                                        ; implicit-def: $vgpr8
	s_branch .LBB22_563
.LBB22_408:
	s_mov_b64 s[26:27], -1
	s_mov_b64 s[0:1], 0
	s_mov_b64 s[24:25], s[20:21]
                                        ; implicit-def: $vgpr6
	s_branch .LBB22_421
.LBB22_409:
	s_mov_b64 s[28:29], -1
	s_mov_b64 s[0:1], 0
	s_mov_b64 s[26:27], s[18:19]
                                        ; implicit-def: $vgpr8
	s_branch .LBB22_544
.LBB22_410:
	s_mov_b64 s[26:27], -1
	s_mov_b64 s[0:1], 0
	s_mov_b64 s[24:25], s[20:21]
                                        ; implicit-def: $vgpr6
	s_branch .LBB22_415
.LBB22_411:
	s_mov_b64 s[28:29], -1
	s_mov_b64 s[0:1], 0
	s_mov_b64 s[26:27], s[18:19]
                                        ; implicit-def: $vgpr8
	s_branch .LBB22_539
.LBB22_412:
	s_or_saveexec_b64 s[28:29], s[28:29]
                                        ; implicit-def: $sgpr15
	s_xor_b64 exec, exec, s[28:29]
	s_cbranch_execz .LBB22_180
.LBB22_413:
	s_mov_b32 s15, 0x46000000
	v_add_f32_e64 v9, |v8|, s15
	v_and_b32_e32 v9, 0xff, v9
	v_cmp_ne_u32_e32 vcc, 0, v9
	s_andn2_b64 s[24:25], s[24:25], exec
	s_and_b64 s[30:31], vcc, exec
	s_mov_b32 s15, 0
	s_or_b64 s[24:25], s[24:25], s[30:31]
	s_or_b64 exec, exec, s[28:29]
	v_mov_b32_e32 v10, s15
	s_and_saveexec_b64 s[28:29], s[24:25]
	s_cbranch_execnz .LBB22_181
	s_branch .LBB22_182
.LBB22_414:
	s_mov_b64 s[24:25], -1
                                        ; implicit-def: $vgpr6
	s_mov_b64 s[0:1], 0
.LBB22_415:
	s_and_b64 vcc, exec, s[26:27]
	s_cbranch_vccz .LBB22_420
; %bb.416:
	v_mov_b32_e32 v6, 44
	v_cmp_eq_u16_sdwa s[24:25], v5, v6 src0_sel:BYTE_0 src1_sel:DWORD
	s_and_b64 vcc, exec, s[24:25]
	s_cbranch_vccz .LBB22_419
; %bb.417:
	global_load_ubyte v6, v[0:1], off
	s_movk_i32 s15, 0xff
	v_mov_b32_e32 v8, 0x7e00
	s_mov_b64 s[0:1], -1
	s_mov_b64 s[24:25], 0
	s_waitcnt vmcnt(0)
	v_lshlrev_b32_e32 v7, 23, v6
	v_cvt_f16_f32_e32 v7, v7
	v_cmp_ne_u32_e32 vcc, s15, v6
	v_cndmask_b32_e32 v7, v8, v7, vcc
	v_cmp_ne_u32_e32 vcc, 0, v6
	v_cndmask_b32_e32 v6, 0, v7, vcc
	s_branch .LBB22_420
.LBB22_418:
	s_mov_b64 s[28:29], -1
	s_mov_b64 s[0:1], 0
	s_mov_b64 s[26:27], s[18:19]
                                        ; implicit-def: $vgpr8
	s_branch .LBB22_534
.LBB22_419:
	s_mov_b64 s[24:25], -1
                                        ; implicit-def: $vgpr6
.LBB22_420:
	s_mov_b64 s[26:27], 0
.LBB22_421:
	s_and_b64 vcc, exec, s[26:27]
	s_cbranch_vccz .LBB22_425
; %bb.422:
	v_mov_b32_e32 v6, 29
	v_cmp_eq_u16_sdwa s[24:25], v5, v6 src0_sel:BYTE_0 src1_sel:DWORD
	s_and_b64 vcc, exec, s[24:25]
	s_cbranch_vccz .LBB22_424
; %bb.423:
	global_load_dwordx2 v[6:7], v[0:1], off
	s_mov_b64 s[0:1], -1
	s_mov_b64 s[24:25], 0
	s_mov_b64 s[26:27], 0
	s_waitcnt vmcnt(0)
	v_ffbh_u32_e32 v8, v7
	v_min_u32_e32 v8, 32, v8
	v_lshlrev_b64 v[6:7], v8, v[6:7]
	v_min_u32_e32 v6, 1, v6
	v_or_b32_e32 v6, v7, v6
	v_cvt_f32_u32_e32 v6, v6
	v_sub_u32_e32 v7, 32, v8
	v_ldexp_f32 v6, v6, v7
	v_cvt_f16_f32_e32 v6, v6
	s_branch .LBB22_426
.LBB22_424:
	s_mov_b64 s[24:25], -1
                                        ; implicit-def: $vgpr6
.LBB22_425:
	s_mov_b64 s[26:27], 0
.LBB22_426:
	s_and_b64 vcc, exec, s[26:27]
	s_cbranch_vccz .LBB22_444
; %bb.427:
	v_mov_b32_e32 v6, 27
	v_cmp_lt_i16_sdwa s[0:1], v5, v6 src0_sel:BYTE_0 src1_sel:DWORD
	s_and_b64 vcc, exec, s[0:1]
	s_cbranch_vccnz .LBB22_430
; %bb.428:
	v_cmp_gt_i16_sdwa s[0:1], v5, v6 src0_sel:BYTE_0 src1_sel:DWORD
	s_and_b64 vcc, exec, s[0:1]
	s_cbranch_vccz .LBB22_431
; %bb.429:
	global_load_dword v6, v[0:1], off
	s_mov_b64 s[0:1], 0
	s_waitcnt vmcnt(0)
	v_cvt_f32_u32_e32 v6, v6
	v_cvt_f16_f32_e32 v6, v6
	s_branch .LBB22_432
.LBB22_430:
	s_mov_b64 s[0:1], -1
                                        ; implicit-def: $vgpr6
	s_branch .LBB22_435
.LBB22_431:
	s_mov_b64 s[0:1], -1
                                        ; implicit-def: $vgpr6
.LBB22_432:
	s_andn2_b64 vcc, exec, s[0:1]
	s_cbranch_vccnz .LBB22_434
; %bb.433:
	global_load_ushort v6, v[0:1], off
	s_waitcnt vmcnt(0)
	v_cvt_f16_u16_e32 v6, v6
.LBB22_434:
	s_mov_b64 s[0:1], 0
.LBB22_435:
	s_andn2_b64 vcc, exec, s[0:1]
	s_cbranch_vccnz .LBB22_443
; %bb.436:
	global_load_ubyte v7, v[0:1], off
	s_movk_i32 s0, 0x7f
                                        ; implicit-def: $sgpr15
	s_waitcnt vmcnt(0)
	v_cmp_lt_i16_e32 vcc, s0, v7
	s_mov_b64 s[0:1], 0
	s_and_saveexec_b64 s[26:27], vcc
	s_xor_b64 s[26:27], exec, s[26:27]
	s_cbranch_execz .LBB22_457
; %bb.437:
	s_movk_i32 s0, 0x80
	v_cmp_eq_u16_e32 vcc, s0, v7
	s_mov_b64 s[0:1], -1
                                        ; implicit-def: $sgpr15
	s_and_saveexec_b64 s[28:29], vcc
; %bb.438:
	s_movk_i32 s15, 0x7e00
	s_xor_b64 s[0:1], exec, -1
; %bb.439:
	s_or_b64 exec, exec, s[28:29]
	s_and_b64 s[0:1], s[0:1], exec
	s_or_saveexec_b64 s[26:27], s[26:27]
	v_mov_b32_e32 v6, s15
	s_xor_b64 exec, exec, s[26:27]
	s_cbranch_execnz .LBB22_458
.LBB22_440:
	s_or_b64 exec, exec, s[26:27]
	s_and_saveexec_b64 s[26:27], s[0:1]
	s_cbranch_execz .LBB22_442
.LBB22_441:
	v_lshlrev_b32_e32 v6, 24, v7
	v_and_b32_e32 v7, 0xffff, v7
	v_and_b32_e32 v8, 7, v7
	v_ffbh_u32_e32 v10, v8
	v_min_u32_e32 v10, 32, v10
	v_subrev_u32_e32 v11, 28, v10
	v_bfe_u32 v9, v7, 3, 4
	v_lshlrev_b32_e32 v7, v11, v7
	v_sub_u32_e32 v10, 29, v10
	v_and_b32_e32 v7, 7, v7
	v_cmp_eq_u32_e32 vcc, 0, v9
	v_cndmask_b32_e32 v9, v9, v10, vcc
	v_cndmask_b32_e32 v7, v8, v7, vcc
	v_mov_b32_e32 v8, 0x3b800000
	v_lshlrev_b32_e32 v7, 20, v7
	v_and_b32_e32 v6, 0x80000000, v6
	v_lshl_add_u32 v8, v9, 23, v8
	v_or3_b32 v6, v6, v8, v7
	v_cvt_f16_f32_e32 v6, v6
.LBB22_442:
	s_or_b64 exec, exec, s[26:27]
.LBB22_443:
	s_mov_b64 s[0:1], -1
.LBB22_444:
	s_mov_b64 s[26:27], 0
.LBB22_445:
	s_and_b64 vcc, exec, s[26:27]
	s_cbranch_vccz .LBB22_480
; %bb.446:
	v_mov_b32_e32 v6, 22
	v_cmp_gt_i16_sdwa s[26:27], v5, v6 src0_sel:BYTE_0 src1_sel:DWORD
	s_and_b64 vcc, exec, s[26:27]
	s_cbranch_vccz .LBB22_456
; %bb.447:
	v_mov_b32_e32 v6, 24
	v_cmp_lt_i16_sdwa s[0:1], v5, v6 src0_sel:BYTE_0 src1_sel:DWORD
	s_and_b64 vcc, exec, s[0:1]
	s_cbranch_vccnz .LBB22_459
; %bb.448:
	v_cmp_gt_i16_sdwa s[0:1], v5, v6 src0_sel:BYTE_0 src1_sel:DWORD
	s_and_b64 vcc, exec, s[0:1]
	s_cbranch_vccz .LBB22_460
; %bb.449:
	global_load_ubyte v7, v[0:1], off
	s_movk_i32 s0, 0x7f
                                        ; implicit-def: $sgpr15
	s_waitcnt vmcnt(0)
	v_cmp_lt_i16_e32 vcc, s0, v7
	s_mov_b64 s[0:1], 0
	s_and_saveexec_b64 s[26:27], vcc
	s_xor_b64 s[26:27], exec, s[26:27]
	s_cbranch_execz .LBB22_472
; %bb.450:
	s_movk_i32 s0, 0x80
	v_cmp_eq_u16_e32 vcc, s0, v7
	s_mov_b64 s[0:1], -1
                                        ; implicit-def: $sgpr15
	s_and_saveexec_b64 s[28:29], vcc
; %bb.451:
	s_movk_i32 s15, 0x7e00
	s_xor_b64 s[0:1], exec, -1
; %bb.452:
	s_or_b64 exec, exec, s[28:29]
	s_and_b64 s[0:1], s[0:1], exec
	s_or_saveexec_b64 s[26:27], s[26:27]
	v_mov_b32_e32 v6, s15
	s_xor_b64 exec, exec, s[26:27]
	s_cbranch_execnz .LBB22_473
.LBB22_453:
	s_or_b64 exec, exec, s[26:27]
	s_and_saveexec_b64 s[26:27], s[0:1]
	s_cbranch_execz .LBB22_455
.LBB22_454:
	v_lshlrev_b32_e32 v6, 24, v7
	v_and_b32_e32 v7, 0xffff, v7
	v_and_b32_e32 v8, 3, v7
	v_ffbh_u32_e32 v10, v8
	v_min_u32_e32 v10, 32, v10
	v_subrev_u32_e32 v11, 29, v10
	v_bfe_u32 v9, v7, 2, 5
	v_lshlrev_b32_e32 v7, v11, v7
	v_sub_u32_e32 v10, 30, v10
	v_and_b32_e32 v7, 3, v7
	v_cmp_eq_u32_e32 vcc, 0, v9
	v_cndmask_b32_e32 v9, v9, v10, vcc
	v_cndmask_b32_e32 v7, v8, v7, vcc
	v_mov_b32_e32 v8, 0x37800000
	v_lshlrev_b32_e32 v7, 21, v7
	v_and_b32_e32 v6, 0x80000000, v6
	v_lshl_add_u32 v8, v9, 23, v8
	v_or3_b32 v6, v6, v8, v7
	v_cvt_f16_f32_e32 v6, v6
.LBB22_455:
	s_or_b64 exec, exec, s[26:27]
	s_mov_b64 s[0:1], 0
	s_branch .LBB22_461
.LBB22_456:
	s_mov_b64 s[26:27], -1
                                        ; implicit-def: $vgpr6
	s_branch .LBB22_467
.LBB22_457:
	s_or_saveexec_b64 s[26:27], s[26:27]
	v_mov_b32_e32 v6, s15
	s_xor_b64 exec, exec, s[26:27]
	s_cbranch_execz .LBB22_440
.LBB22_458:
	v_cmp_ne_u16_e32 vcc, 0, v7
	s_andn2_b64 s[0:1], s[0:1], exec
	s_and_b64 s[28:29], vcc, exec
	s_or_b64 s[0:1], s[0:1], s[28:29]
	v_mov_b32_e32 v6, v7
	s_or_b64 exec, exec, s[26:27]
	s_and_saveexec_b64 s[26:27], s[0:1]
	s_cbranch_execnz .LBB22_441
	s_branch .LBB22_442
.LBB22_459:
	s_mov_b64 s[0:1], -1
                                        ; implicit-def: $vgpr6
	s_branch .LBB22_464
.LBB22_460:
	s_mov_b64 s[0:1], -1
                                        ; implicit-def: $vgpr6
.LBB22_461:
	s_and_b64 vcc, exec, s[0:1]
	s_cbranch_vccz .LBB22_463
; %bb.462:
	global_load_ubyte v6, v[0:1], off
	s_mov_b32 s0, 0x7f800000
	s_waitcnt vmcnt(0)
	v_lshlrev_b32_e32 v6, 24, v6
	v_and_b32_e32 v7, 0x7f000000, v6
	v_ffbh_u32_e32 v8, v7
	v_min_u32_e32 v8, 32, v8
	v_sub_u32_e64 v8, v8, 4 clamp
	v_lshlrev_b32_e32 v10, v8, v7
	v_lshlrev_b32_e32 v8, 23, v8
	v_lshrrev_b32_e32 v10, 4, v10
	v_add_u32_e32 v9, 0x1000000, v7
	v_sub_u32_e32 v8, v10, v8
	v_ashrrev_i32_e32 v9, 8, v9
	v_add_u32_e32 v8, 0x3c000000, v8
	v_and_or_b32 v8, v9, s0, v8
	v_cmp_ne_u32_e32 vcc, 0, v7
	v_cndmask_b32_e32 v7, 0, v8, vcc
	s_brev_b32 s0, 1
	v_and_or_b32 v6, v6, s0, v7
	v_cvt_f16_f32_e32 v6, v6
.LBB22_463:
	s_mov_b64 s[0:1], 0
.LBB22_464:
	s_andn2_b64 vcc, exec, s[0:1]
	s_cbranch_vccnz .LBB22_466
; %bb.465:
	global_load_ubyte v6, v[0:1], off
	s_movk_i32 s0, 0x7f00
	s_brev_b32 s1, 16
	s_waitcnt vmcnt(0)
	v_lshlrev_b16_e32 v7, 8, v6
	v_lshlrev_b32_e32 v6, 25, v6
	v_lshrrev_b32_e32 v8, 4, v6
	v_and_or_b32 v9, v7, s0, 0.5
	v_or_b32_e32 v8, 0x70000000, v8
	v_add_f32_e32 v9, -0.5, v9
	v_mul_f32_e32 v8, 0x7800000, v8
	v_cmp_gt_u32_e32 vcc, s1, v6
	v_bfe_i32 v7, v7, 0, 16
	v_cndmask_b32_e32 v6, v8, v9, vcc
	s_brev_b32 s0, 1
	v_and_or_b32 v6, v7, s0, v6
	v_cvt_f16_f32_e32 v6, v6
.LBB22_466:
	s_mov_b64 s[26:27], 0
	s_mov_b64 s[0:1], -1
.LBB22_467:
	s_andn2_b64 vcc, exec, s[26:27]
	s_cbranch_vccnz .LBB22_480
; %bb.468:
	v_mov_b32_e32 v6, 14
	v_cmp_gt_i16_sdwa s[26:27], v5, v6 src0_sel:BYTE_0 src1_sel:DWORD
	s_and_b64 vcc, exec, s[26:27]
	s_cbranch_vccz .LBB22_471
; %bb.469:
	v_mov_b32_e32 v6, 15
	v_cmp_eq_u16_sdwa s[24:25], v5, v6 src0_sel:BYTE_0 src1_sel:DWORD
	s_and_b64 vcc, exec, s[24:25]
	s_cbranch_vccz .LBB22_474
; %bb.470:
	global_load_ushort v6, v[0:1], off
	s_mov_b64 s[0:1], -1
	s_mov_b64 s[24:25], 0
	s_waitcnt vmcnt(0)
	v_lshlrev_b32_e32 v6, 16, v6
	v_cvt_f16_f32_e32 v6, v6
	s_branch .LBB22_475
.LBB22_471:
	s_mov_b64 s[26:27], -1
                                        ; implicit-def: $vgpr6
	s_branch .LBB22_476
.LBB22_472:
	s_or_saveexec_b64 s[26:27], s[26:27]
	v_mov_b32_e32 v6, s15
	s_xor_b64 exec, exec, s[26:27]
	s_cbranch_execz .LBB22_453
.LBB22_473:
	v_cmp_ne_u16_e32 vcc, 0, v7
	s_andn2_b64 s[0:1], s[0:1], exec
	s_and_b64 s[28:29], vcc, exec
	s_or_b64 s[0:1], s[0:1], s[28:29]
	v_mov_b32_e32 v6, v7
	s_or_b64 exec, exec, s[26:27]
	s_and_saveexec_b64 s[26:27], s[0:1]
	s_cbranch_execnz .LBB22_454
	s_branch .LBB22_455
.LBB22_474:
	s_mov_b64 s[24:25], -1
                                        ; implicit-def: $vgpr6
.LBB22_475:
	s_mov_b64 s[26:27], 0
.LBB22_476:
	s_and_b64 vcc, exec, s[26:27]
	s_cbranch_vccz .LBB22_480
; %bb.477:
	v_mov_b32_e32 v6, 11
	v_cmp_eq_u16_sdwa s[24:25], v5, v6 src0_sel:BYTE_0 src1_sel:DWORD
	s_and_b64 vcc, exec, s[24:25]
	s_cbranch_vccz .LBB22_479
; %bb.478:
	global_load_ubyte v6, v[0:1], off
	v_mov_b32_e32 v7, 0x3c00
	s_mov_b64 s[0:1], -1
	s_mov_b64 s[24:25], 0
	s_waitcnt vmcnt(0)
	v_cmp_ne_u16_e32 vcc, 0, v6
	v_cndmask_b32_e32 v6, 0, v7, vcc
	s_branch .LBB22_480
.LBB22_479:
	s_mov_b64 s[24:25], -1
                                        ; implicit-def: $vgpr6
.LBB22_480:
	s_branch .LBB22_396
.LBB22_481:
	v_mov_b32_e32 v6, 5
	v_cmp_lt_i16_sdwa s[0:1], v5, v6 src0_sel:BYTE_0 src1_sel:DWORD
	s_and_b64 vcc, exec, s[0:1]
	s_cbranch_vccnz .LBB22_486
; %bb.482:
	v_mov_b32_e32 v6, 8
	v_cmp_lt_i16_sdwa s[0:1], v5, v6 src0_sel:BYTE_0 src1_sel:DWORD
	s_and_b64 vcc, exec, s[0:1]
	s_cbranch_vccnz .LBB22_487
; %bb.483:
	v_mov_b32_e32 v6, 9
	v_cmp_lt_i16_sdwa s[0:1], v5, v6 src0_sel:BYTE_0 src1_sel:DWORD
	s_and_b64 vcc, exec, s[0:1]
	s_cbranch_vccnz .LBB22_488
; %bb.484:
	v_cmp_gt_i16_sdwa s[0:1], v5, v6 src0_sel:BYTE_0 src1_sel:DWORD
	s_and_b64 vcc, exec, s[0:1]
	s_cbranch_vccz .LBB22_489
; %bb.485:
	global_load_dwordx2 v[6:7], v[0:1], off
	s_mov_b64 s[0:1], 0
	s_waitcnt vmcnt(0)
	v_cvt_f32_f64_e32 v6, v[6:7]
	v_cvt_f16_f32_e32 v6, v6
	s_branch .LBB22_490
.LBB22_486:
	s_mov_b64 s[0:1], -1
                                        ; implicit-def: $vgpr6
	s_branch .LBB22_508
.LBB22_487:
	s_mov_b64 s[0:1], -1
                                        ; implicit-def: $vgpr6
	s_branch .LBB22_496
.LBB22_488:
	s_mov_b64 s[0:1], -1
                                        ; implicit-def: $vgpr6
	s_branch .LBB22_493
.LBB22_489:
	s_mov_b64 s[0:1], -1
                                        ; implicit-def: $vgpr6
.LBB22_490:
	s_andn2_b64 vcc, exec, s[0:1]
	s_cbranch_vccnz .LBB22_492
; %bb.491:
	global_load_dword v6, v[0:1], off
	s_waitcnt vmcnt(0)
	v_cvt_f16_f32_e32 v6, v6
.LBB22_492:
	s_mov_b64 s[0:1], 0
.LBB22_493:
	s_andn2_b64 vcc, exec, s[0:1]
	s_cbranch_vccnz .LBB22_495
; %bb.494:
	global_load_dword v6, v[0:1], off
.LBB22_495:
	s_mov_b64 s[0:1], 0
.LBB22_496:
	s_andn2_b64 vcc, exec, s[0:1]
	s_cbranch_vccnz .LBB22_507
; %bb.497:
	s_waitcnt vmcnt(0)
	v_mov_b32_e32 v6, 6
	v_cmp_lt_i16_sdwa s[0:1], v5, v6 src0_sel:BYTE_0 src1_sel:DWORD
	s_and_b64 vcc, exec, s[0:1]
	s_cbranch_vccnz .LBB22_500
; %bb.498:
	v_cmp_gt_i16_sdwa s[0:1], v5, v6 src0_sel:BYTE_0 src1_sel:DWORD
	s_and_b64 vcc, exec, s[0:1]
	s_cbranch_vccz .LBB22_501
; %bb.499:
	global_load_dwordx2 v[6:7], v[0:1], off
	s_mov_b64 s[0:1], 0
	s_waitcnt vmcnt(0)
	v_cvt_f32_f64_e32 v6, v[6:7]
	v_cvt_f16_f32_e32 v6, v6
	s_branch .LBB22_502
.LBB22_500:
	s_mov_b64 s[0:1], -1
                                        ; implicit-def: $vgpr6
	s_branch .LBB22_505
.LBB22_501:
	s_mov_b64 s[0:1], -1
                                        ; implicit-def: $vgpr6
.LBB22_502:
	s_andn2_b64 vcc, exec, s[0:1]
	s_cbranch_vccnz .LBB22_504
; %bb.503:
	global_load_dword v6, v[0:1], off
	s_waitcnt vmcnt(0)
	v_cvt_f16_f32_e32 v6, v6
.LBB22_504:
	s_mov_b64 s[0:1], 0
.LBB22_505:
	s_andn2_b64 vcc, exec, s[0:1]
	s_cbranch_vccnz .LBB22_507
; %bb.506:
	global_load_ushort v6, v[0:1], off
.LBB22_507:
	s_mov_b64 s[0:1], 0
.LBB22_508:
	s_andn2_b64 vcc, exec, s[0:1]
	s_cbranch_vccnz .LBB22_528
; %bb.509:
	s_waitcnt vmcnt(0)
	v_mov_b32_e32 v6, 2
	v_cmp_lt_i16_sdwa s[0:1], v5, v6 src0_sel:BYTE_0 src1_sel:DWORD
	s_and_b64 vcc, exec, s[0:1]
	s_cbranch_vccnz .LBB22_513
; %bb.510:
	v_mov_b32_e32 v6, 3
	v_cmp_lt_i16_sdwa s[0:1], v5, v6 src0_sel:BYTE_0 src1_sel:DWORD
	s_and_b64 vcc, exec, s[0:1]
	s_cbranch_vccnz .LBB22_514
; %bb.511:
	v_cmp_gt_i16_sdwa s[0:1], v5, v6 src0_sel:BYTE_0 src1_sel:DWORD
	s_and_b64 vcc, exec, s[0:1]
	s_cbranch_vccz .LBB22_515
; %bb.512:
	global_load_dwordx2 v[6:7], v[0:1], off
	s_mov_b64 s[0:1], 0
	s_waitcnt vmcnt(0)
	v_xor_b32_e32 v9, v6, v7
	v_ffbh_i32_e32 v8, v7
	v_ashrrev_i32_e32 v9, 31, v9
	v_add_u32_e32 v8, -1, v8
	v_add_u32_e32 v9, 32, v9
	v_min_u32_e32 v8, v8, v9
	v_lshlrev_b64 v[6:7], v8, v[6:7]
	v_min_u32_e32 v6, 1, v6
	v_or_b32_e32 v6, v7, v6
	v_cvt_f32_i32_e32 v6, v6
	v_sub_u32_e32 v7, 32, v8
	v_ldexp_f32 v6, v6, v7
	v_cvt_f16_f32_e32 v6, v6
	s_branch .LBB22_516
.LBB22_513:
	s_mov_b64 s[0:1], -1
                                        ; implicit-def: $vgpr6
	s_branch .LBB22_522
.LBB22_514:
	s_mov_b64 s[0:1], -1
                                        ; implicit-def: $vgpr6
	s_branch .LBB22_519
.LBB22_515:
	s_mov_b64 s[0:1], -1
                                        ; implicit-def: $vgpr6
.LBB22_516:
	s_andn2_b64 vcc, exec, s[0:1]
	s_cbranch_vccnz .LBB22_518
; %bb.517:
	global_load_dword v6, v[0:1], off
	s_waitcnt vmcnt(0)
	v_cvt_f32_i32_e32 v6, v6
	v_cvt_f16_f32_e32 v6, v6
.LBB22_518:
	s_mov_b64 s[0:1], 0
.LBB22_519:
	s_andn2_b64 vcc, exec, s[0:1]
	s_cbranch_vccnz .LBB22_521
; %bb.520:
	global_load_ushort v6, v[0:1], off
	s_waitcnt vmcnt(0)
	v_cvt_f16_i16_e32 v6, v6
.LBB22_521:
	s_mov_b64 s[0:1], 0
.LBB22_522:
	s_andn2_b64 vcc, exec, s[0:1]
	s_cbranch_vccnz .LBB22_528
; %bb.523:
	v_mov_b32_e32 v6, 0
	v_cmp_gt_i16_sdwa s[0:1], v5, v6 src0_sel:BYTE_0 src1_sel:DWORD
	s_and_b64 vcc, exec, s[0:1]
	s_cbranch_vccz .LBB22_525
; %bb.524:
	global_load_sbyte v6, v[0:1], off
	s_mov_b64 s[0:1], 0
	s_waitcnt vmcnt(0)
	v_cvt_f16_i16_e32 v6, v6
	s_branch .LBB22_526
.LBB22_525:
	s_mov_b64 s[0:1], -1
                                        ; implicit-def: $vgpr6
.LBB22_526:
	s_andn2_b64 vcc, exec, s[0:1]
	s_cbranch_vccnz .LBB22_528
; %bb.527:
	global_load_ubyte v0, v[0:1], off
	s_waitcnt vmcnt(0)
	v_cvt_f16_u16_e32 v6, v0
.LBB22_528:
	s_branch .LBB22_397
.LBB22_529:
	s_mov_b64 s[34:35], 0
	s_mov_b64 s[0:1], s[6:7]
	s_mov_b64 s[26:27], s[18:19]
.LBB22_530:
                                        ; implicit-def: $vgpr3
	s_branch .LBB22_772
.LBB22_531:
	s_or_saveexec_b64 s[28:29], s[28:29]
                                        ; implicit-def: $sgpr15
	s_xor_b64 exec, exec, s[28:29]
	s_cbranch_execz .LBB22_193
.LBB22_532:
	s_mov_b32 s15, 0x42800000
	v_add_f32_e64 v9, |v8|, s15
	v_and_b32_e32 v9, 0xff, v9
	v_cmp_ne_u32_e32 vcc, 0, v9
	s_andn2_b64 s[24:25], s[24:25], exec
	s_and_b64 s[30:31], vcc, exec
	s_mov_b32 s15, 0
	s_or_b64 s[24:25], s[24:25], s[30:31]
	s_or_b64 exec, exec, s[28:29]
	v_mov_b32_e32 v10, s15
	s_and_saveexec_b64 s[28:29], s[24:25]
	s_cbranch_execnz .LBB22_194
	s_branch .LBB22_195
.LBB22_533:
	s_mov_b64 s[26:27], -1
                                        ; implicit-def: $vgpr8
	s_mov_b64 s[0:1], 0
.LBB22_534:
	s_and_b64 vcc, exec, s[28:29]
	s_cbranch_vccz .LBB22_538
; %bb.535:
	v_mov_b32_e32 v7, 44
	v_cmp_eq_u16_sdwa s[26:27], v4, v7 src0_sel:BYTE_0 src1_sel:DWORD
	s_and_b64 vcc, exec, s[26:27]
	s_cbranch_vccz .LBB22_537
; %bb.536:
	global_load_ubyte v7, v[0:1], off
	s_movk_i32 s15, 0xff
	v_mov_b32_e32 v9, 0x7e00
	s_mov_b64 s[0:1], -1
	s_mov_b64 s[26:27], 0
	s_waitcnt vmcnt(0)
	v_lshlrev_b32_e32 v8, 23, v7
	v_cvt_f16_f32_e32 v8, v8
	v_cmp_ne_u32_e32 vcc, s15, v7
	v_cndmask_b32_e32 v8, v9, v8, vcc
	v_cmp_ne_u32_e32 vcc, 0, v7
	v_cndmask_b32_e32 v8, 0, v8, vcc
	s_branch .LBB22_538
.LBB22_537:
	s_mov_b64 s[26:27], -1
                                        ; implicit-def: $vgpr8
.LBB22_538:
	s_mov_b64 s[28:29], 0
.LBB22_539:
	s_and_b64 vcc, exec, s[28:29]
	s_cbranch_vccz .LBB22_543
; %bb.540:
	v_mov_b32_e32 v7, 29
	v_cmp_eq_u16_sdwa s[26:27], v4, v7 src0_sel:BYTE_0 src1_sel:DWORD
	s_and_b64 vcc, exec, s[26:27]
	s_cbranch_vccz .LBB22_542
; %bb.541:
	global_load_dwordx2 v[8:9], v[0:1], off
	s_mov_b64 s[0:1], -1
	s_mov_b64 s[26:27], 0
	s_mov_b64 s[28:29], 0
	s_waitcnt vmcnt(0)
	v_ffbh_u32_e32 v7, v9
	v_min_u32_e32 v7, 32, v7
	v_lshlrev_b64 v[8:9], v7, v[8:9]
	v_min_u32_e32 v8, 1, v8
	v_or_b32_e32 v8, v9, v8
	v_cvt_f32_u32_e32 v8, v8
	v_sub_u32_e32 v7, 32, v7
	v_ldexp_f32 v7, v8, v7
	v_cvt_f16_f32_e32 v8, v7
	s_branch .LBB22_544
.LBB22_542:
	s_mov_b64 s[26:27], -1
                                        ; implicit-def: $vgpr8
.LBB22_543:
	s_mov_b64 s[28:29], 0
.LBB22_544:
	s_and_b64 vcc, exec, s[28:29]
	s_cbranch_vccz .LBB22_562
; %bb.545:
	v_mov_b32_e32 v7, 27
	v_cmp_lt_i16_sdwa s[0:1], v4, v7 src0_sel:BYTE_0 src1_sel:DWORD
	s_and_b64 vcc, exec, s[0:1]
	s_cbranch_vccnz .LBB22_548
; %bb.546:
	v_cmp_gt_i16_sdwa s[0:1], v4, v7 src0_sel:BYTE_0 src1_sel:DWORD
	s_and_b64 vcc, exec, s[0:1]
	s_cbranch_vccz .LBB22_549
; %bb.547:
	global_load_dword v7, v[0:1], off
	s_mov_b64 s[0:1], 0
	s_waitcnt vmcnt(0)
	v_cvt_f32_u32_e32 v7, v7
	v_cvt_f16_f32_e32 v8, v7
	s_branch .LBB22_550
.LBB22_548:
	s_mov_b64 s[0:1], -1
                                        ; implicit-def: $vgpr8
	s_branch .LBB22_553
.LBB22_549:
	s_mov_b64 s[0:1], -1
                                        ; implicit-def: $vgpr8
.LBB22_550:
	s_andn2_b64 vcc, exec, s[0:1]
	s_cbranch_vccnz .LBB22_552
; %bb.551:
	global_load_ushort v7, v[0:1], off
	s_waitcnt vmcnt(0)
	v_cvt_f16_u16_e32 v8, v7
.LBB22_552:
	s_mov_b64 s[0:1], 0
.LBB22_553:
	s_andn2_b64 vcc, exec, s[0:1]
	s_cbranch_vccnz .LBB22_561
; %bb.554:
	global_load_ubyte v7, v[0:1], off
	s_movk_i32 s0, 0x7f
                                        ; implicit-def: $sgpr15
	s_waitcnt vmcnt(0)
	v_cmp_lt_i16_e32 vcc, s0, v7
	s_mov_b64 s[0:1], 0
	s_and_saveexec_b64 s[28:29], vcc
	s_xor_b64 s[28:29], exec, s[28:29]
	s_cbranch_execz .LBB22_575
; %bb.555:
	s_movk_i32 s0, 0x80
	v_cmp_eq_u16_e32 vcc, s0, v7
	s_mov_b64 s[0:1], -1
                                        ; implicit-def: $sgpr15
	s_and_saveexec_b64 s[34:35], vcc
; %bb.556:
	s_movk_i32 s15, 0x7e00
	s_xor_b64 s[0:1], exec, -1
; %bb.557:
	s_or_b64 exec, exec, s[34:35]
	s_and_b64 s[0:1], s[0:1], exec
	s_or_saveexec_b64 s[28:29], s[28:29]
	v_mov_b32_e32 v8, s15
	s_xor_b64 exec, exec, s[28:29]
	s_cbranch_execnz .LBB22_576
.LBB22_558:
	s_or_b64 exec, exec, s[28:29]
	s_and_saveexec_b64 s[28:29], s[0:1]
	s_cbranch_execz .LBB22_560
.LBB22_559:
	v_lshlrev_b32_e32 v8, 24, v7
	v_and_b32_e32 v7, 0xffff, v7
	v_and_b32_e32 v9, 7, v7
	v_ffbh_u32_e32 v11, v9
	v_min_u32_e32 v11, 32, v11
	v_subrev_u32_e32 v12, 28, v11
	v_bfe_u32 v10, v7, 3, 4
	v_lshlrev_b32_e32 v7, v12, v7
	v_sub_u32_e32 v11, 29, v11
	v_and_b32_e32 v7, 7, v7
	v_cmp_eq_u32_e32 vcc, 0, v10
	v_cndmask_b32_e32 v10, v10, v11, vcc
	v_cndmask_b32_e32 v7, v9, v7, vcc
	v_mov_b32_e32 v9, 0x3b800000
	v_lshlrev_b32_e32 v7, 20, v7
	v_and_b32_e32 v8, 0x80000000, v8
	v_lshl_add_u32 v9, v10, 23, v9
	v_or3_b32 v7, v8, v9, v7
	v_cvt_f16_f32_e32 v8, v7
.LBB22_560:
	s_or_b64 exec, exec, s[28:29]
.LBB22_561:
	s_mov_b64 s[0:1], -1
.LBB22_562:
	s_mov_b64 s[28:29], 0
.LBB22_563:
	s_and_b64 vcc, exec, s[28:29]
	s_cbranch_vccz .LBB22_598
; %bb.564:
	v_mov_b32_e32 v7, 22
	v_cmp_gt_i16_sdwa s[28:29], v4, v7 src0_sel:BYTE_0 src1_sel:DWORD
	s_and_b64 vcc, exec, s[28:29]
	s_cbranch_vccz .LBB22_574
; %bb.565:
	v_mov_b32_e32 v7, 24
	v_cmp_lt_i16_sdwa s[0:1], v4, v7 src0_sel:BYTE_0 src1_sel:DWORD
	s_and_b64 vcc, exec, s[0:1]
	s_cbranch_vccnz .LBB22_577
; %bb.566:
	v_cmp_gt_i16_sdwa s[0:1], v4, v7 src0_sel:BYTE_0 src1_sel:DWORD
	s_and_b64 vcc, exec, s[0:1]
	s_cbranch_vccz .LBB22_578
; %bb.567:
	global_load_ubyte v7, v[0:1], off
	s_movk_i32 s0, 0x7f
                                        ; implicit-def: $sgpr15
	s_waitcnt vmcnt(0)
	v_cmp_lt_i16_e32 vcc, s0, v7
	s_mov_b64 s[0:1], 0
	s_and_saveexec_b64 s[28:29], vcc
	s_xor_b64 s[28:29], exec, s[28:29]
	s_cbranch_execz .LBB22_590
; %bb.568:
	s_movk_i32 s0, 0x80
	v_cmp_eq_u16_e32 vcc, s0, v7
	s_mov_b64 s[0:1], -1
                                        ; implicit-def: $sgpr15
	s_and_saveexec_b64 s[34:35], vcc
; %bb.569:
	s_movk_i32 s15, 0x7e00
	s_xor_b64 s[0:1], exec, -1
; %bb.570:
	s_or_b64 exec, exec, s[34:35]
	s_and_b64 s[0:1], s[0:1], exec
	s_or_saveexec_b64 s[28:29], s[28:29]
	v_mov_b32_e32 v8, s15
	s_xor_b64 exec, exec, s[28:29]
	s_cbranch_execnz .LBB22_591
.LBB22_571:
	s_or_b64 exec, exec, s[28:29]
	s_and_saveexec_b64 s[28:29], s[0:1]
	s_cbranch_execz .LBB22_573
.LBB22_572:
	v_lshlrev_b32_e32 v8, 24, v7
	v_and_b32_e32 v7, 0xffff, v7
	v_and_b32_e32 v9, 3, v7
	v_ffbh_u32_e32 v11, v9
	v_min_u32_e32 v11, 32, v11
	v_subrev_u32_e32 v12, 29, v11
	v_bfe_u32 v10, v7, 2, 5
	v_lshlrev_b32_e32 v7, v12, v7
	v_sub_u32_e32 v11, 30, v11
	v_and_b32_e32 v7, 3, v7
	v_cmp_eq_u32_e32 vcc, 0, v10
	v_cndmask_b32_e32 v10, v10, v11, vcc
	v_cndmask_b32_e32 v7, v9, v7, vcc
	v_mov_b32_e32 v9, 0x37800000
	v_lshlrev_b32_e32 v7, 21, v7
	v_and_b32_e32 v8, 0x80000000, v8
	v_lshl_add_u32 v9, v10, 23, v9
	v_or3_b32 v7, v8, v9, v7
	v_cvt_f16_f32_e32 v8, v7
.LBB22_573:
	s_or_b64 exec, exec, s[28:29]
	s_mov_b64 s[0:1], 0
	s_branch .LBB22_579
.LBB22_574:
	s_mov_b64 s[28:29], -1
                                        ; implicit-def: $vgpr8
	s_branch .LBB22_585
.LBB22_575:
	s_or_saveexec_b64 s[28:29], s[28:29]
	v_mov_b32_e32 v8, s15
	s_xor_b64 exec, exec, s[28:29]
	s_cbranch_execz .LBB22_558
.LBB22_576:
	v_cmp_ne_u16_e32 vcc, 0, v7
	s_andn2_b64 s[0:1], s[0:1], exec
	s_and_b64 s[34:35], vcc, exec
	s_or_b64 s[0:1], s[0:1], s[34:35]
	v_mov_b32_e32 v8, v7
	s_or_b64 exec, exec, s[28:29]
	s_and_saveexec_b64 s[28:29], s[0:1]
	s_cbranch_execnz .LBB22_559
	s_branch .LBB22_560
.LBB22_577:
	s_mov_b64 s[0:1], -1
                                        ; implicit-def: $vgpr8
	s_branch .LBB22_582
.LBB22_578:
	s_mov_b64 s[0:1], -1
                                        ; implicit-def: $vgpr8
.LBB22_579:
	s_and_b64 vcc, exec, s[0:1]
	s_cbranch_vccz .LBB22_581
; %bb.580:
	global_load_ubyte v7, v[0:1], off
	s_mov_b32 s0, 0x7f800000
	s_waitcnt vmcnt(0)
	v_lshlrev_b32_e32 v7, 24, v7
	v_and_b32_e32 v8, 0x7f000000, v7
	v_ffbh_u32_e32 v9, v8
	v_min_u32_e32 v9, 32, v9
	v_sub_u32_e64 v9, v9, 4 clamp
	v_lshlrev_b32_e32 v11, v9, v8
	v_lshlrev_b32_e32 v9, 23, v9
	v_lshrrev_b32_e32 v11, 4, v11
	v_add_u32_e32 v10, 0x1000000, v8
	v_sub_u32_e32 v9, v11, v9
	v_ashrrev_i32_e32 v10, 8, v10
	v_add_u32_e32 v9, 0x3c000000, v9
	v_and_or_b32 v9, v10, s0, v9
	v_cmp_ne_u32_e32 vcc, 0, v8
	v_cndmask_b32_e32 v8, 0, v9, vcc
	s_brev_b32 s0, 1
	v_and_or_b32 v7, v7, s0, v8
	v_cvt_f16_f32_e32 v8, v7
.LBB22_581:
	s_mov_b64 s[0:1], 0
.LBB22_582:
	s_andn2_b64 vcc, exec, s[0:1]
	s_cbranch_vccnz .LBB22_584
; %bb.583:
	global_load_ubyte v7, v[0:1], off
	s_movk_i32 s0, 0x7f00
	s_brev_b32 s1, 16
	s_waitcnt vmcnt(0)
	v_lshlrev_b16_e32 v8, 8, v7
	v_lshlrev_b32_e32 v7, 25, v7
	v_lshrrev_b32_e32 v9, 4, v7
	v_and_or_b32 v10, v8, s0, 0.5
	v_or_b32_e32 v9, 0x70000000, v9
	v_add_f32_e32 v10, -0.5, v10
	v_mul_f32_e32 v9, 0x7800000, v9
	v_cmp_gt_u32_e32 vcc, s1, v7
	v_bfe_i32 v8, v8, 0, 16
	v_cndmask_b32_e32 v7, v9, v10, vcc
	s_brev_b32 s0, 1
	v_and_or_b32 v7, v8, s0, v7
	v_cvt_f16_f32_e32 v8, v7
.LBB22_584:
	s_mov_b64 s[28:29], 0
	s_mov_b64 s[0:1], -1
.LBB22_585:
	s_andn2_b64 vcc, exec, s[28:29]
	s_cbranch_vccnz .LBB22_598
; %bb.586:
	v_mov_b32_e32 v7, 14
	v_cmp_gt_i16_sdwa s[28:29], v4, v7 src0_sel:BYTE_0 src1_sel:DWORD
	s_and_b64 vcc, exec, s[28:29]
	s_cbranch_vccz .LBB22_589
; %bb.587:
	v_mov_b32_e32 v7, 15
	v_cmp_eq_u16_sdwa s[26:27], v4, v7 src0_sel:BYTE_0 src1_sel:DWORD
	s_and_b64 vcc, exec, s[26:27]
	s_cbranch_vccz .LBB22_592
; %bb.588:
	global_load_ushort v7, v[0:1], off
	s_mov_b64 s[0:1], -1
	s_mov_b64 s[26:27], 0
	s_waitcnt vmcnt(0)
	v_lshlrev_b32_e32 v7, 16, v7
	v_cvt_f16_f32_e32 v8, v7
	s_branch .LBB22_593
.LBB22_589:
	s_mov_b64 s[28:29], -1
                                        ; implicit-def: $vgpr8
	s_branch .LBB22_594
.LBB22_590:
	s_or_saveexec_b64 s[28:29], s[28:29]
	v_mov_b32_e32 v8, s15
	s_xor_b64 exec, exec, s[28:29]
	s_cbranch_execz .LBB22_571
.LBB22_591:
	v_cmp_ne_u16_e32 vcc, 0, v7
	s_andn2_b64 s[0:1], s[0:1], exec
	s_and_b64 s[34:35], vcc, exec
	s_or_b64 s[0:1], s[0:1], s[34:35]
	v_mov_b32_e32 v8, v7
	s_or_b64 exec, exec, s[28:29]
	s_and_saveexec_b64 s[28:29], s[0:1]
	s_cbranch_execnz .LBB22_572
	s_branch .LBB22_573
.LBB22_592:
	s_mov_b64 s[26:27], -1
                                        ; implicit-def: $vgpr8
.LBB22_593:
	s_mov_b64 s[28:29], 0
.LBB22_594:
	s_and_b64 vcc, exec, s[28:29]
	s_cbranch_vccz .LBB22_598
; %bb.595:
	v_mov_b32_e32 v7, 11
	v_cmp_eq_u16_sdwa s[26:27], v4, v7 src0_sel:BYTE_0 src1_sel:DWORD
	s_and_b64 vcc, exec, s[26:27]
	s_cbranch_vccz .LBB22_597
; %bb.596:
	global_load_ubyte v7, v[0:1], off
	v_mov_b32_e32 v8, 0x3c00
	s_mov_b64 s[0:1], -1
	s_mov_b64 s[26:27], 0
	s_waitcnt vmcnt(0)
	v_cmp_ne_u16_e32 vcc, 0, v7
	v_cndmask_b32_e32 v8, 0, v8, vcc
	s_branch .LBB22_598
.LBB22_597:
	s_mov_b64 s[26:27], -1
                                        ; implicit-def: $vgpr8
.LBB22_598:
	s_mov_b64 s[28:29], 0
.LBB22_599:
	s_and_b64 vcc, exec, s[28:29]
	s_cbranch_vccz .LBB22_648
; %bb.600:
	v_mov_b32_e32 v7, 5
	v_cmp_lt_i16_sdwa s[0:1], v4, v7 src0_sel:BYTE_0 src1_sel:DWORD
	s_and_b64 vcc, exec, s[0:1]
	s_cbranch_vccnz .LBB22_605
; %bb.601:
	v_mov_b32_e32 v7, 8
	v_cmp_lt_i16_sdwa s[0:1], v4, v7 src0_sel:BYTE_0 src1_sel:DWORD
	s_and_b64 vcc, exec, s[0:1]
	s_cbranch_vccnz .LBB22_606
	;; [unrolled: 5-line block ×3, first 2 shown]
; %bb.603:
	v_cmp_gt_i16_sdwa s[0:1], v4, v7 src0_sel:BYTE_0 src1_sel:DWORD
	s_and_b64 vcc, exec, s[0:1]
	s_cbranch_vccz .LBB22_608
; %bb.604:
	global_load_dwordx2 v[8:9], v[0:1], off
	s_mov_b64 s[0:1], 0
	s_waitcnt vmcnt(0)
	v_cvt_f32_f64_e32 v7, v[8:9]
	v_cvt_f16_f32_e32 v8, v7
	s_branch .LBB22_609
.LBB22_605:
	s_mov_b64 s[0:1], -1
                                        ; implicit-def: $vgpr8
	s_branch .LBB22_627
.LBB22_606:
	s_mov_b64 s[0:1], -1
                                        ; implicit-def: $vgpr8
	s_branch .LBB22_615
.LBB22_607:
	s_mov_b64 s[0:1], -1
                                        ; implicit-def: $vgpr8
	s_branch .LBB22_612
.LBB22_608:
	s_mov_b64 s[0:1], -1
                                        ; implicit-def: $vgpr8
.LBB22_609:
	s_andn2_b64 vcc, exec, s[0:1]
	s_cbranch_vccnz .LBB22_611
; %bb.610:
	global_load_dword v7, v[0:1], off
	s_waitcnt vmcnt(0)
	v_cvt_f16_f32_e32 v8, v7
.LBB22_611:
	s_mov_b64 s[0:1], 0
.LBB22_612:
	s_andn2_b64 vcc, exec, s[0:1]
	s_cbranch_vccnz .LBB22_614
; %bb.613:
	global_load_dword v8, v[0:1], off
.LBB22_614:
	s_mov_b64 s[0:1], 0
.LBB22_615:
	s_andn2_b64 vcc, exec, s[0:1]
	s_cbranch_vccnz .LBB22_626
; %bb.616:
	v_mov_b32_e32 v7, 6
	v_cmp_lt_i16_sdwa s[0:1], v4, v7 src0_sel:BYTE_0 src1_sel:DWORD
	s_and_b64 vcc, exec, s[0:1]
	s_cbranch_vccnz .LBB22_619
; %bb.617:
	v_cmp_gt_i16_sdwa s[0:1], v4, v7 src0_sel:BYTE_0 src1_sel:DWORD
	s_and_b64 vcc, exec, s[0:1]
	s_cbranch_vccz .LBB22_620
; %bb.618:
	global_load_dwordx2 v[8:9], v[0:1], off
	s_mov_b64 s[0:1], 0
	s_waitcnt vmcnt(0)
	v_cvt_f32_f64_e32 v7, v[8:9]
	v_cvt_f16_f32_e32 v8, v7
	s_branch .LBB22_621
.LBB22_619:
	s_mov_b64 s[0:1], -1
                                        ; implicit-def: $vgpr8
	s_branch .LBB22_624
.LBB22_620:
	s_mov_b64 s[0:1], -1
                                        ; implicit-def: $vgpr8
.LBB22_621:
	s_andn2_b64 vcc, exec, s[0:1]
	s_cbranch_vccnz .LBB22_623
; %bb.622:
	global_load_dword v7, v[0:1], off
	s_waitcnt vmcnt(0)
	v_cvt_f16_f32_e32 v8, v7
.LBB22_623:
	s_mov_b64 s[0:1], 0
.LBB22_624:
	s_andn2_b64 vcc, exec, s[0:1]
	s_cbranch_vccnz .LBB22_626
; %bb.625:
	global_load_ushort v8, v[0:1], off
.LBB22_626:
	s_mov_b64 s[0:1], 0
.LBB22_627:
	s_andn2_b64 vcc, exec, s[0:1]
	s_cbranch_vccnz .LBB22_647
; %bb.628:
	v_mov_b32_e32 v7, 2
	v_cmp_lt_i16_sdwa s[0:1], v4, v7 src0_sel:BYTE_0 src1_sel:DWORD
	s_and_b64 vcc, exec, s[0:1]
	s_cbranch_vccnz .LBB22_632
; %bb.629:
	v_mov_b32_e32 v7, 3
	v_cmp_lt_i16_sdwa s[0:1], v4, v7 src0_sel:BYTE_0 src1_sel:DWORD
	s_and_b64 vcc, exec, s[0:1]
	s_cbranch_vccnz .LBB22_633
; %bb.630:
	v_cmp_gt_i16_sdwa s[0:1], v4, v7 src0_sel:BYTE_0 src1_sel:DWORD
	s_and_b64 vcc, exec, s[0:1]
	s_cbranch_vccz .LBB22_634
; %bb.631:
	global_load_dwordx2 v[8:9], v[0:1], off
	s_mov_b64 s[0:1], 0
	s_waitcnt vmcnt(0)
	v_xor_b32_e32 v10, v8, v9
	v_ffbh_i32_e32 v7, v9
	v_ashrrev_i32_e32 v10, 31, v10
	v_add_u32_e32 v7, -1, v7
	v_add_u32_e32 v10, 32, v10
	v_min_u32_e32 v7, v7, v10
	v_lshlrev_b64 v[8:9], v7, v[8:9]
	v_min_u32_e32 v8, 1, v8
	v_or_b32_e32 v8, v9, v8
	v_cvt_f32_i32_e32 v8, v8
	v_sub_u32_e32 v7, 32, v7
	v_ldexp_f32 v7, v8, v7
	v_cvt_f16_f32_e32 v8, v7
	s_branch .LBB22_635
.LBB22_632:
	s_mov_b64 s[0:1], -1
                                        ; implicit-def: $vgpr8
	s_branch .LBB22_641
.LBB22_633:
	s_mov_b64 s[0:1], -1
                                        ; implicit-def: $vgpr8
	s_branch .LBB22_638
.LBB22_634:
	s_mov_b64 s[0:1], -1
                                        ; implicit-def: $vgpr8
.LBB22_635:
	s_andn2_b64 vcc, exec, s[0:1]
	s_cbranch_vccnz .LBB22_637
; %bb.636:
	global_load_dword v7, v[0:1], off
	s_waitcnt vmcnt(0)
	v_cvt_f32_i32_e32 v7, v7
	v_cvt_f16_f32_e32 v8, v7
.LBB22_637:
	s_mov_b64 s[0:1], 0
.LBB22_638:
	s_andn2_b64 vcc, exec, s[0:1]
	s_cbranch_vccnz .LBB22_640
; %bb.639:
	global_load_ushort v7, v[0:1], off
	s_waitcnt vmcnt(0)
	v_cvt_f16_i16_e32 v8, v7
.LBB22_640:
	s_mov_b64 s[0:1], 0
.LBB22_641:
	s_andn2_b64 vcc, exec, s[0:1]
	s_cbranch_vccnz .LBB22_647
; %bb.642:
	v_mov_b32_e32 v7, 0
	v_cmp_gt_i16_sdwa s[0:1], v4, v7 src0_sel:BYTE_0 src1_sel:DWORD
	s_and_b64 vcc, exec, s[0:1]
	s_cbranch_vccz .LBB22_644
; %bb.643:
	global_load_sbyte v7, v[0:1], off
	s_mov_b64 s[0:1], 0
	s_waitcnt vmcnt(0)
	v_cvt_f16_i16_e32 v8, v7
	s_branch .LBB22_645
.LBB22_644:
	s_mov_b64 s[0:1], -1
                                        ; implicit-def: $vgpr8
.LBB22_645:
	s_andn2_b64 vcc, exec, s[0:1]
	s_cbranch_vccnz .LBB22_647
; %bb.646:
	global_load_ubyte v0, v[0:1], off
	s_waitcnt vmcnt(0)
	v_cvt_f16_u16_e32 v8, v0
.LBB22_647:
	s_mov_b64 s[0:1], -1
.LBB22_648:
	s_andn2_b64 vcc, exec, s[0:1]
	s_cbranch_vccnz .LBB22_656
; %bb.649:
	s_waitcnt vmcnt(0)
	v_and_b32_e32 v7, 0x7fff, v6
	v_and_b32_e32 v0, 0xffff8000, v8
	v_or_b32_e32 v6, v0, v7
	v_mul_lo_u32 v0, v3, s12
	v_ashrrev_i32_e32 v1, 31, v0
	v_mov_b32_e32 v8, s9
	v_add_co_u32_e32 v0, vcc, s8, v0
	v_addc_co_u32_e32 v1, vcc, v8, v1, vcc
	v_mov_b32_e32 v8, 11
	v_cmp_lt_i16_sdwa s[0:1], v2, v8 src0_sel:BYTE_0 src1_sel:DWORD
	s_and_b64 vcc, exec, s[0:1]
	s_cbranch_vccnz .LBB22_657
; %bb.650:
	v_mov_b32_e32 v8, 25
	v_cmp_gt_i16_sdwa s[0:1], v2, v8 src0_sel:BYTE_0 src1_sel:DWORD
	s_and_b64 vcc, exec, s[0:1]
	s_cbranch_vccz .LBB22_658
; %bb.651:
	v_mov_b32_e32 v8, 28
	v_cmp_gt_i16_sdwa s[0:1], v2, v8 src0_sel:BYTE_0 src1_sel:DWORD
	s_and_b64 vcc, exec, s[0:1]
	s_cbranch_vccz .LBB22_659
; %bb.652:
	v_mov_b32_e32 v8, 43
	v_cmp_gt_i16_sdwa s[0:1], v2, v8 src0_sel:BYTE_0 src1_sel:DWORD
	s_and_b64 vcc, exec, s[0:1]
	s_cbranch_vccz .LBB22_660
; %bb.653:
	v_mov_b32_e32 v8, 45
	v_cmp_gt_i16_sdwa s[0:1], v2, v8 src0_sel:BYTE_0 src1_sel:DWORD
	s_and_b64 vcc, exec, s[0:1]
	s_cbranch_vccz .LBB22_661
; %bb.654:
	v_mov_b32_e32 v8, 46
	v_cmp_eq_u16_sdwa s[28:29], v2, v8 src0_sel:BYTE_0 src1_sel:DWORD
	s_mov_b64 s[34:35], 0
	s_mov_b64 s[0:1], -1
	s_and_b64 vcc, exec, s[28:29]
	s_mov_b64 s[28:29], 0
	s_cbranch_vccz .LBB22_662
; %bb.655:
	v_cvt_f32_f16_e32 v8, v6
	s_movk_i32 s0, 0x7fff
	v_mov_b32_e32 v9, 0x7fc0
	v_cmp_o_f16_e32 vcc, v6, v6
	v_bfe_u32 v10, v8, 16, 1
	v_add3_u32 v8, v8, v10, s0
	v_lshrrev_b32_e32 v8, 16, v8
	v_cndmask_b32_e32 v8, v9, v8, vcc
	global_store_dword v[0:1], v8, off
	s_mov_b64 s[28:29], -1
	s_mov_b64 s[0:1], 0
	s_branch .LBB22_662
.LBB22_656:
	s_mov_b64 s[34:35], 0
                                        ; implicit-def: $vgpr3
	s_mov_b64 s[0:1], s[6:7]
	s_branch .LBB22_772
.LBB22_657:
	s_mov_b64 s[34:35], -1
	s_mov_b64 s[28:29], 0
	s_mov_b64 s[0:1], s[6:7]
	s_branch .LBB22_731
.LBB22_658:
	s_mov_b64 s[34:35], -1
	s_mov_b64 s[28:29], 0
	s_mov_b64 s[0:1], s[6:7]
	s_branch .LBB22_689
.LBB22_659:
	s_mov_b64 s[34:35], -1
	s_mov_b64 s[28:29], 0
	s_mov_b64 s[0:1], s[6:7]
	s_branch .LBB22_672
.LBB22_660:
	s_mov_b64 s[34:35], -1
	s_mov_b64 s[28:29], 0
	s_mov_b64 s[0:1], s[6:7]
	s_branch .LBB22_668
.LBB22_661:
	s_mov_b64 s[34:35], -1
	s_mov_b64 s[28:29], 0
	s_mov_b64 s[0:1], s[6:7]
.LBB22_662:
	s_and_b64 vcc, exec, s[34:35]
	s_cbranch_vccz .LBB22_667
; %bb.663:
	v_mov_b32_e32 v8, 44
	v_cmp_eq_u16_sdwa s[34:35], v2, v8 src0_sel:BYTE_0 src1_sel:DWORD
	s_mov_b64 s[0:1], -1
	s_and_b64 vcc, exec, s[34:35]
	s_cbranch_vccz .LBB22_667
; %bb.664:
	v_cvt_f32_f16_e32 v8, v6
	s_movk_i32 s0, 0xff
	v_mov_b32_e32 v10, 0xff
	v_bfe_u32 v9, v8, 23, 8
	v_cmp_ne_u32_e32 vcc, s0, v9
	s_and_saveexec_b64 s[28:29], vcc
; %bb.665:
	s_mov_b32 s0, 0x3fffff
	v_lshrrev_b32_e32 v10, 23, v8
	v_and_b32_e32 v11, 0x400000, v8
	v_and_or_b32 v8, v8, s0, v9
	v_cmp_ne_u32_e32 vcc, 0, v11
	v_cmp_ne_u32_e64 s[0:1], 0, v8
	s_and_b64 s[0:1], vcc, s[0:1]
	v_cndmask_b32_e64 v8, 0, 1, s[0:1]
	v_add_u32_e32 v10, v10, v8
; %bb.666:
	s_or_b64 exec, exec, s[28:29]
	s_mov_b64 s[28:29], -1
	s_mov_b64 s[0:1], 0
	global_store_byte v[0:1], v10, off
.LBB22_667:
	s_mov_b64 s[34:35], 0
.LBB22_668:
	s_and_b64 vcc, exec, s[34:35]
	s_cbranch_vccz .LBB22_671
; %bb.669:
	v_mov_b32_e32 v8, 29
	v_cmp_eq_u16_sdwa s[34:35], v2, v8 src0_sel:BYTE_0 src1_sel:DWORD
	s_mov_b64 s[0:1], -1
	s_and_b64 vcc, exec, s[34:35]
	s_cbranch_vccz .LBB22_671
; %bb.670:
	v_cvt_f32_f16_e32 v8, v6
	v_mov_b32_e32 v9, 0
	s_mov_b64 s[28:29], -1
	s_mov_b64 s[0:1], 0
	v_cvt_u32_f32_e32 v8, v8
	s_mov_b64 s[34:35], 0
	global_store_dwordx2 v[0:1], v[8:9], off
	s_branch .LBB22_672
.LBB22_671:
	s_mov_b64 s[34:35], 0
.LBB22_672:
	s_and_b64 vcc, exec, s[34:35]
	s_cbranch_vccz .LBB22_688
; %bb.673:
	v_mov_b32_e32 v8, 27
	v_cmp_lt_i16_sdwa s[34:35], v2, v8 src0_sel:BYTE_0 src1_sel:DWORD
	s_mov_b64 s[28:29], -1
	s_and_b64 vcc, exec, s[34:35]
	s_cbranch_vccnz .LBB22_679
; %bb.674:
	v_cmp_gt_i16_sdwa s[34:35], v2, v8 src0_sel:BYTE_0 src1_sel:DWORD
	s_and_b64 vcc, exec, s[34:35]
	s_cbranch_vccz .LBB22_676
; %bb.675:
	v_cvt_f32_f16_e32 v8, v6
	s_mov_b64 s[28:29], 0
	v_cvt_u32_f32_e32 v8, v8
	global_store_dword v[0:1], v8, off
.LBB22_676:
	s_andn2_b64 vcc, exec, s[28:29]
	s_cbranch_vccnz .LBB22_678
; %bb.677:
	v_cvt_u16_f16_e32 v8, v6
	global_store_short v[0:1], v8, off
.LBB22_678:
	s_mov_b64 s[28:29], 0
.LBB22_679:
	s_andn2_b64 vcc, exec, s[28:29]
	s_cbranch_vccnz .LBB22_687
; %bb.680:
	v_cvt_f32_f16_e32 v8, v6
	s_mov_b32 s15, 0x43800000
	v_mov_b32_e32 v10, 0x80
	v_and_b32_e32 v9, 0x7fffffff, v8
	v_cmp_gt_u32_e32 vcc, s15, v9
	s_and_saveexec_b64 s[28:29], vcc
	s_cbranch_execz .LBB22_686
; %bb.681:
	s_mov_b32 s15, 0x3bffffff
	v_cmp_lt_u32_e32 vcc, s15, v9
	s_mov_b64 s[34:35], 0
                                        ; implicit-def: $vgpr9
	s_and_saveexec_b64 s[36:37], vcc
	s_xor_b64 s[36:37], exec, s[36:37]
	s_cbranch_execz .LBB22_788
; %bb.682:
	v_bfe_u32 v9, v8, 20, 1
	s_mov_b32 s15, 0x487ffff
	v_add3_u32 v9, v8, v9, s15
	s_mov_b64 s[34:35], exec
	v_lshrrev_b32_e32 v9, 20, v9
	s_or_saveexec_b64 s[36:37], s[36:37]
                                        ; implicit-def: $sgpr15
	s_xor_b64 exec, exec, s[36:37]
	s_cbranch_execnz .LBB22_789
.LBB22_683:
	s_or_b64 exec, exec, s[36:37]
	v_mov_b32_e32 v10, s15
	s_and_saveexec_b64 s[36:37], s[34:35]
.LBB22_684:
	v_lshrrev_b32_e32 v8, 24, v8
	s_movk_i32 s15, 0x80
	v_and_or_b32 v10, v8, s15, v9
.LBB22_685:
	s_or_b64 exec, exec, s[36:37]
.LBB22_686:
	s_or_b64 exec, exec, s[28:29]
	global_store_byte v[0:1], v10, off
.LBB22_687:
	s_mov_b64 s[28:29], -1
.LBB22_688:
	s_mov_b64 s[34:35], 0
.LBB22_689:
	s_and_b64 vcc, exec, s[34:35]
	s_cbranch_vccz .LBB22_730
; %bb.690:
	v_mov_b32_e32 v8, 22
	v_cmp_gt_i16_sdwa s[36:37], v2, v8 src0_sel:BYTE_0 src1_sel:DWORD
	s_mov_b64 s[34:35], -1
	s_and_b64 vcc, exec, s[36:37]
	s_cbranch_vccz .LBB22_722
; %bb.691:
	v_mov_b32_e32 v8, 24
	v_cmp_lt_i16_sdwa s[34:35], v2, v8 src0_sel:BYTE_0 src1_sel:DWORD
	s_mov_b64 s[28:29], -1
	s_and_b64 vcc, exec, s[34:35]
	s_cbranch_vccnz .LBB22_711
; %bb.692:
	v_cmp_gt_i16_sdwa s[34:35], v2, v8 src0_sel:BYTE_0 src1_sel:DWORD
	s_and_b64 vcc, exec, s[34:35]
	s_cbranch_vccz .LBB22_700
; %bb.693:
	v_cvt_f32_f16_e32 v8, v6
	s_mov_b32 s15, 0x47800000
	v_mov_b32_e32 v10, 0x80
	v_and_b32_e32 v9, 0x7fffffff, v8
	v_cmp_gt_u32_e32 vcc, s15, v9
	s_and_saveexec_b64 s[28:29], vcc
	s_cbranch_execz .LBB22_699
; %bb.694:
	s_mov_b32 s15, 0x37ffffff
	v_cmp_lt_u32_e32 vcc, s15, v9
	s_mov_b64 s[34:35], 0
                                        ; implicit-def: $vgpr9
	s_and_saveexec_b64 s[36:37], vcc
	s_xor_b64 s[36:37], exec, s[36:37]
	s_cbranch_execz .LBB22_920
; %bb.695:
	v_bfe_u32 v9, v8, 21, 1
	s_mov_b32 s15, 0x88fffff
	v_add3_u32 v9, v8, v9, s15
	s_mov_b64 s[34:35], exec
	v_lshrrev_b32_e32 v9, 21, v9
	s_or_saveexec_b64 s[36:37], s[36:37]
                                        ; implicit-def: $sgpr15
	s_xor_b64 exec, exec, s[36:37]
	s_cbranch_execnz .LBB22_921
.LBB22_696:
	s_or_b64 exec, exec, s[36:37]
	v_mov_b32_e32 v10, s15
	s_and_saveexec_b64 s[36:37], s[34:35]
.LBB22_697:
	v_lshrrev_b32_e32 v8, 24, v8
	s_movk_i32 s15, 0x80
	v_and_or_b32 v10, v8, s15, v9
.LBB22_698:
	s_or_b64 exec, exec, s[36:37]
.LBB22_699:
	s_or_b64 exec, exec, s[28:29]
	s_mov_b64 s[28:29], 0
	global_store_byte v[0:1], v10, off
.LBB22_700:
	s_and_b64 vcc, exec, s[28:29]
	s_cbranch_vccz .LBB22_710
; %bb.701:
	v_cvt_f32_f16_e32 v8, v6
	s_mov_b32 s15, 0x43f00000
                                        ; implicit-def: $vgpr9
	v_and_b32_e32 v10, 0x7fffffff, v8
	v_cmp_gt_u32_e32 vcc, s15, v10
	s_and_saveexec_b64 s[28:29], vcc
	s_xor_b64 s[28:29], exec, s[28:29]
	s_cbranch_execz .LBB22_707
; %bb.702:
	s_mov_b32 s15, 0x3c7fffff
	v_cmp_lt_u32_e32 vcc, s15, v10
                                        ; implicit-def: $vgpr9
	s_and_saveexec_b64 s[34:35], vcc
	s_xor_b64 s[34:35], exec, s[34:35]
; %bb.703:
	v_bfe_u32 v9, v8, 20, 1
	s_mov_b32 s15, 0x407ffff
	v_add3_u32 v9, v8, v9, s15
	v_lshrrev_b32_e32 v10, 20, v9
	v_and_b32_e32 v9, 0xff00000, v9
	s_mov_b32 s15, 0x7f00000
	v_mov_b32_e32 v11, 0x7e
	v_cmp_ne_u32_e32 vcc, s15, v9
	v_cndmask_b32_e32 v9, v11, v10, vcc
; %bb.704:
	s_andn2_saveexec_b64 s[34:35], s[34:35]
; %bb.705:
	s_mov_b32 s15, 0x46800000
	v_add_f32_e64 v9, |v8|, s15
; %bb.706:
	s_or_b64 exec, exec, s[34:35]
                                        ; implicit-def: $vgpr10
.LBB22_707:
	s_andn2_saveexec_b64 s[28:29], s[28:29]
; %bb.708:
	s_mov_b32 s15, 0x7f800000
	v_mov_b32_e32 v9, 0x7e
	v_mov_b32_e32 v11, 0x7f
	v_cmp_lt_u32_e32 vcc, s15, v10
	v_cndmask_b32_e32 v9, v9, v11, vcc
; %bb.709:
	s_or_b64 exec, exec, s[28:29]
	v_lshrrev_b32_e32 v8, 24, v8
	s_movk_i32 s15, 0x80
	v_and_or_b32 v8, v8, s15, v9
	global_store_byte v[0:1], v8, off
.LBB22_710:
	s_mov_b64 s[28:29], 0
.LBB22_711:
	s_andn2_b64 vcc, exec, s[28:29]
	s_cbranch_vccnz .LBB22_721
; %bb.712:
	v_cvt_f32_f16_e32 v8, v6
	s_mov_b32 s15, 0x47800000
                                        ; implicit-def: $vgpr9
	v_and_b32_e32 v10, 0x7fffffff, v8
	v_cmp_gt_u32_e32 vcc, s15, v10
	s_and_saveexec_b64 s[28:29], vcc
	s_xor_b64 s[28:29], exec, s[28:29]
	s_cbranch_execz .LBB22_718
; %bb.713:
	s_mov_b32 s15, 0x387fffff
	v_cmp_lt_u32_e32 vcc, s15, v10
                                        ; implicit-def: $vgpr9
	s_and_saveexec_b64 s[34:35], vcc
	s_xor_b64 s[34:35], exec, s[34:35]
; %bb.714:
	v_bfe_u32 v9, v8, 21, 1
	s_mov_b32 s15, 0x80fffff
	v_add3_u32 v9, v8, v9, s15
	v_lshrrev_b32_e32 v9, 21, v9
; %bb.715:
	s_andn2_saveexec_b64 s[34:35], s[34:35]
; %bb.716:
	s_mov_b32 s15, 0x43000000
	v_add_f32_e64 v9, |v8|, s15
; %bb.717:
	s_or_b64 exec, exec, s[34:35]
                                        ; implicit-def: $vgpr10
.LBB22_718:
	s_andn2_saveexec_b64 s[28:29], s[28:29]
; %bb.719:
	s_mov_b32 s15, 0x7f800000
	v_mov_b32_e32 v9, 0x7c
	v_mov_b32_e32 v11, 0x7f
	v_cmp_lt_u32_e32 vcc, s15, v10
	v_cndmask_b32_e32 v9, v9, v11, vcc
; %bb.720:
	s_or_b64 exec, exec, s[28:29]
	v_lshrrev_b32_e32 v8, 24, v8
	s_movk_i32 s15, 0x80
	v_and_or_b32 v8, v8, s15, v9
	global_store_byte v[0:1], v8, off
.LBB22_721:
	s_mov_b64 s[34:35], 0
	s_mov_b64 s[28:29], -1
.LBB22_722:
	s_andn2_b64 vcc, exec, s[34:35]
	s_cbranch_vccnz .LBB22_730
; %bb.723:
	v_mov_b32_e32 v8, 14
	v_cmp_gt_i16_sdwa s[36:37], v2, v8 src0_sel:BYTE_0 src1_sel:DWORD
	s_mov_b64 s[34:35], -1
	s_and_b64 vcc, exec, s[36:37]
	s_cbranch_vccz .LBB22_727
; %bb.724:
	v_mov_b32_e32 v8, 15
	v_cmp_eq_u16_sdwa s[34:35], v2, v8 src0_sel:BYTE_0 src1_sel:DWORD
	s_mov_b64 s[0:1], -1
	s_and_b64 vcc, exec, s[34:35]
	s_cbranch_vccz .LBB22_726
; %bb.725:
	v_cvt_f32_f16_e32 v8, v6
	s_movk_i32 s0, 0x7fff
	v_mov_b32_e32 v9, 0x7fc0
	v_cmp_o_f16_e32 vcc, v6, v6
	v_bfe_u32 v10, v8, 16, 1
	v_add3_u32 v8, v8, v10, s0
	v_lshrrev_b32_e32 v8, 16, v8
	v_cndmask_b32_e32 v8, v9, v8, vcc
	global_store_short v[0:1], v8, off
	s_mov_b64 s[28:29], -1
	s_mov_b64 s[0:1], 0
.LBB22_726:
	s_mov_b64 s[34:35], 0
.LBB22_727:
	s_and_b64 vcc, exec, s[34:35]
	s_cbranch_vccz .LBB22_730
; %bb.728:
	v_mov_b32_e32 v8, 11
	v_cmp_eq_u16_sdwa s[34:35], v2, v8 src0_sel:BYTE_0 src1_sel:DWORD
	s_mov_b64 s[0:1], -1
	s_and_b64 vcc, exec, s[34:35]
	s_cbranch_vccz .LBB22_730
; %bb.729:
	v_cmp_ne_u16_e32 vcc, 0, v7
	v_cndmask_b32_e64 v7, 0, 1, vcc
	s_mov_b64 s[28:29], -1
	s_mov_b64 s[0:1], 0
	global_store_byte v[0:1], v7, off
.LBB22_730:
	s_mov_b64 s[34:35], 0
.LBB22_731:
	s_and_b64 vcc, exec, s[34:35]
	s_cbranch_vccz .LBB22_770
; %bb.732:
	v_mov_b32_e32 v7, 5
	v_cmp_lt_i16_sdwa s[34:35], v2, v7 src0_sel:BYTE_0 src1_sel:DWORD
	s_mov_b64 s[28:29], -1
	s_and_b64 vcc, exec, s[34:35]
	s_cbranch_vccnz .LBB22_753
; %bb.733:
	v_mov_b32_e32 v7, 8
	v_cmp_lt_i16_sdwa s[34:35], v2, v7 src0_sel:BYTE_0 src1_sel:DWORD
	s_and_b64 vcc, exec, s[34:35]
	s_cbranch_vccnz .LBB22_743
; %bb.734:
	v_mov_b32_e32 v7, 9
	v_cmp_lt_i16_sdwa s[34:35], v2, v7 src0_sel:BYTE_0 src1_sel:DWORD
	s_and_b64 vcc, exec, s[34:35]
	s_cbranch_vccnz .LBB22_740
; %bb.735:
	v_cmp_gt_i16_sdwa s[34:35], v2, v7 src0_sel:BYTE_0 src1_sel:DWORD
	s_and_b64 vcc, exec, s[34:35]
	s_cbranch_vccz .LBB22_737
; %bb.736:
	v_cvt_f32_f16_e32 v7, v6
	v_mov_b32_e32 v10, 0
	v_mov_b32_e32 v11, v10
	s_mov_b64 s[28:29], 0
	v_cvt_f64_f32_e32 v[8:9], v7
	global_store_dwordx4 v[0:1], v[8:11], off
.LBB22_737:
	s_andn2_b64 vcc, exec, s[28:29]
	s_cbranch_vccnz .LBB22_739
; %bb.738:
	v_cvt_f32_f16_e32 v8, v6
	v_mov_b32_e32 v9, 0
	global_store_dwordx2 v[0:1], v[8:9], off
.LBB22_739:
	s_mov_b64 s[28:29], 0
.LBB22_740:
	s_andn2_b64 vcc, exec, s[28:29]
	s_cbranch_vccnz .LBB22_742
; %bb.741:
	v_and_b32_e32 v7, 0xffff, v6
	global_store_dword v[0:1], v7, off
.LBB22_742:
	s_mov_b64 s[28:29], 0
.LBB22_743:
	s_andn2_b64 vcc, exec, s[28:29]
	s_cbranch_vccnz .LBB22_752
; %bb.744:
	v_mov_b32_e32 v7, 6
	v_cmp_lt_i16_sdwa s[34:35], v2, v7 src0_sel:BYTE_0 src1_sel:DWORD
	s_mov_b64 s[28:29], -1
	s_and_b64 vcc, exec, s[34:35]
	s_cbranch_vccnz .LBB22_750
; %bb.745:
	v_cmp_gt_i16_sdwa s[34:35], v2, v7 src0_sel:BYTE_0 src1_sel:DWORD
	s_and_b64 vcc, exec, s[34:35]
	s_cbranch_vccz .LBB22_747
; %bb.746:
	v_cvt_f32_f16_e32 v7, v6
	s_mov_b64 s[28:29], 0
	v_cvt_f64_f32_e32 v[8:9], v7
	global_store_dwordx2 v[0:1], v[8:9], off
.LBB22_747:
	s_andn2_b64 vcc, exec, s[28:29]
	s_cbranch_vccnz .LBB22_749
; %bb.748:
	v_cvt_f32_f16_e32 v7, v6
	global_store_dword v[0:1], v7, off
.LBB22_749:
	s_mov_b64 s[28:29], 0
.LBB22_750:
	s_andn2_b64 vcc, exec, s[28:29]
	s_cbranch_vccnz .LBB22_752
; %bb.751:
	global_store_short v[0:1], v6, off
.LBB22_752:
	s_mov_b64 s[28:29], 0
.LBB22_753:
	s_andn2_b64 vcc, exec, s[28:29]
	s_cbranch_vccnz .LBB22_769
; %bb.754:
	v_mov_b32_e32 v7, 2
	v_cmp_lt_i16_sdwa s[34:35], v2, v7 src0_sel:BYTE_0 src1_sel:DWORD
	s_mov_b64 s[28:29], -1
	s_and_b64 vcc, exec, s[34:35]
	s_cbranch_vccnz .LBB22_764
; %bb.755:
	v_mov_b32_e32 v7, 3
	v_cmp_lt_i16_sdwa s[34:35], v2, v7 src0_sel:BYTE_0 src1_sel:DWORD
	s_and_b64 vcc, exec, s[34:35]
	s_cbranch_vccnz .LBB22_761
; %bb.756:
	v_cmp_gt_i16_sdwa s[34:35], v2, v7 src0_sel:BYTE_0 src1_sel:DWORD
	s_and_b64 vcc, exec, s[34:35]
	s_cbranch_vccz .LBB22_758
; %bb.757:
	v_cvt_f32_f16_e32 v7, v6
	s_mov_b64 s[28:29], 0
	v_cvt_i32_f32_e32 v8, v7
	v_ashrrev_i32_e32 v9, 31, v8
	global_store_dwordx2 v[0:1], v[8:9], off
.LBB22_758:
	s_andn2_b64 vcc, exec, s[28:29]
	s_cbranch_vccnz .LBB22_760
; %bb.759:
	v_cvt_f32_f16_e32 v7, v6
	v_cvt_i32_f32_e32 v7, v7
	global_store_dword v[0:1], v7, off
.LBB22_760:
	s_mov_b64 s[28:29], 0
.LBB22_761:
	s_andn2_b64 vcc, exec, s[28:29]
	s_cbranch_vccnz .LBB22_763
; %bb.762:
	v_cvt_i16_f16_e32 v7, v6
	global_store_short v[0:1], v7, off
.LBB22_763:
	s_mov_b64 s[28:29], 0
.LBB22_764:
	s_andn2_b64 vcc, exec, s[28:29]
	s_cbranch_vccnz .LBB22_769
; %bb.765:
	v_mov_b32_e32 v7, 0
	v_cmp_gt_i16_sdwa s[34:35], v2, v7 src0_sel:BYTE_0 src1_sel:DWORD
	s_mov_b64 s[28:29], -1
	s_and_b64 vcc, exec, s[34:35]
	s_cbranch_vccz .LBB22_767
; %bb.766:
	v_cvt_i16_f16_e32 v7, v6
	s_mov_b64 s[28:29], 0
	global_store_byte v[0:1], v7, off
.LBB22_767:
	s_andn2_b64 vcc, exec, s[28:29]
	s_cbranch_vccnz .LBB22_769
; %bb.768:
	v_cvt_f32_f16_e32 v6, v6
	v_cvt_i32_f32_e32 v6, v6
	global_store_byte v[0:1], v6, off
.LBB22_769:
	s_mov_b64 s[28:29], -1
.LBB22_770:
	s_andn2_b64 vcc, exec, s[28:29]
	s_cbranch_vccnz .LBB22_783
; %bb.771:
	v_add_u32_e32 v3, 0x80, v3
	s_mov_b64 s[34:35], -1
.LBB22_772:
	s_andn2_b64 s[28:29], s[6:7], exec
	s_and_b64 s[0:1], s[0:1], exec
	s_or_b64 s[28:29], s[28:29], s[0:1]
	s_andn2_b64 s[0:1], s[18:19], exec
	s_and_b64 s[26:27], s[26:27], exec
	s_or_b64 s[26:27], s[0:1], s[26:27]
	;; [unrolled: 3-line block ×3, first 2 shown]
	s_orn2_b64 s[0:1], s[34:35], exec
.LBB22_773:
	s_or_b64 exec, exec, s[30:31]
	s_mov_b64 s[34:35], 0
	s_mov_b64 s[36:37], 0
	;; [unrolled: 1-line block ×3, first 2 shown]
                                        ; implicit-def: $vgpr7
                                        ; implicit-def: $vgpr0_vgpr1
                                        ; implicit-def: $vgpr6
	s_and_saveexec_b64 s[30:31], s[0:1]
	s_cbranch_execz .LBB22_1247
; %bb.774:
	v_cmp_gt_i32_e32 vcc, s33, v3
	s_mov_b64 s[46:47], -1
	s_mov_b64 s[0:1], s[24:25]
	s_mov_b64 s[38:39], s[26:27]
	;; [unrolled: 1-line block ×3, first 2 shown]
	s_and_saveexec_b64 s[34:35], vcc
	s_cbranch_execz .LBB22_1162
; %bb.775:
	v_mul_lo_u32 v0, v3, s13
	v_ashrrev_i32_e32 v1, 31, v0
	s_waitcnt vmcnt(0)
	v_mov_b32_e32 v6, s11
	v_add_co_u32_e32 v0, vcc, s10, v0
	v_addc_co_u32_e32 v1, vcc, v6, v1, vcc
	v_mov_b32_e32 v6, 11
	v_cmp_lt_i16_sdwa s[0:1], v5, v6 src0_sel:BYTE_0 src1_sel:DWORD
	s_and_b64 vcc, exec, s[0:1]
	s_cbranch_vccnz .LBB22_782
; %bb.776:
	v_mov_b32_e32 v6, 25
	v_cmp_gt_i16_sdwa s[0:1], v5, v6 src0_sel:BYTE_0 src1_sel:DWORD
	s_and_b64 vcc, exec, s[0:1]
	s_cbranch_vccz .LBB22_784
; %bb.777:
	v_mov_b32_e32 v6, 28
	v_cmp_gt_i16_sdwa s[0:1], v5, v6 src0_sel:BYTE_0 src1_sel:DWORD
	s_and_b64 vcc, exec, s[0:1]
	s_cbranch_vccz .LBB22_785
; %bb.778:
	v_mov_b32_e32 v6, 43
	v_cmp_gt_i16_sdwa s[0:1], v5, v6 src0_sel:BYTE_0 src1_sel:DWORD
	s_and_b64 vcc, exec, s[0:1]
	s_cbranch_vccz .LBB22_786
; %bb.779:
	v_mov_b32_e32 v6, 45
	v_cmp_gt_i16_sdwa s[0:1], v5, v6 src0_sel:BYTE_0 src1_sel:DWORD
	s_and_b64 vcc, exec, s[0:1]
	s_cbranch_vccz .LBB22_787
; %bb.780:
	v_mov_b32_e32 v6, 46
	v_cmp_eq_u16_sdwa s[0:1], v5, v6 src0_sel:BYTE_0 src1_sel:DWORD
	s_mov_b64 s[38:39], 0
	s_and_b64 vcc, exec, s[0:1]
	s_cbranch_vccz .LBB22_790
; %bb.781:
	global_load_dword v6, v[0:1], off
	s_mov_b64 s[0:1], -1
	s_waitcnt vmcnt(0)
	v_lshlrev_b32_e32 v6, 16, v6
	v_cvt_f16_f32_e32 v6, v6
	s_branch .LBB22_791
.LBB22_782:
	s_mov_b64 s[38:39], -1
	s_mov_b64 s[0:1], 0
                                        ; implicit-def: $vgpr6
	s_mov_b64 s[36:37], s[24:25]
	s_branch .LBB22_856
.LBB22_783:
	s_mov_b64 s[34:35], 0
	s_branch .LBB22_530
.LBB22_784:
	s_mov_b64 s[38:39], -1
	s_mov_b64 s[0:1], 0
	s_mov_b64 s[36:37], s[24:25]
                                        ; implicit-def: $vgpr6
	s_branch .LBB22_820
.LBB22_785:
	s_mov_b64 s[38:39], -1
	s_mov_b64 s[0:1], 0
	s_mov_b64 s[36:37], s[24:25]
                                        ; implicit-def: $vgpr6
	s_branch .LBB22_801
.LBB22_786:
	s_mov_b64 s[38:39], -1
	s_mov_b64 s[0:1], 0
	s_mov_b64 s[36:37], s[24:25]
                                        ; implicit-def: $vgpr6
	s_branch .LBB22_796
.LBB22_787:
	s_mov_b64 s[38:39], -1
	s_mov_b64 s[0:1], 0
	s_mov_b64 s[36:37], s[24:25]
                                        ; implicit-def: $vgpr6
	s_branch .LBB22_791
.LBB22_788:
	s_or_saveexec_b64 s[36:37], s[36:37]
                                        ; implicit-def: $sgpr15
	s_xor_b64 exec, exec, s[36:37]
	s_cbranch_execz .LBB22_683
.LBB22_789:
	s_mov_b32 s15, 0x46000000
	v_add_f32_e64 v9, |v8|, s15
	v_and_b32_e32 v9, 0xff, v9
	v_cmp_ne_u32_e32 vcc, 0, v9
	s_andn2_b64 s[34:35], s[34:35], exec
	s_and_b64 s[38:39], vcc, exec
	s_mov_b32 s15, 0
	s_or_b64 s[34:35], s[34:35], s[38:39]
	s_or_b64 exec, exec, s[36:37]
	v_mov_b32_e32 v10, s15
	s_and_saveexec_b64 s[36:37], s[34:35]
	s_cbranch_execnz .LBB22_684
	s_branch .LBB22_685
.LBB22_790:
	s_mov_b64 s[36:37], -1
                                        ; implicit-def: $vgpr6
	s_mov_b64 s[0:1], 0
.LBB22_791:
	s_and_b64 vcc, exec, s[38:39]
	s_cbranch_vccz .LBB22_795
; %bb.792:
	v_mov_b32_e32 v6, 44
	v_cmp_eq_u16_sdwa s[36:37], v5, v6 src0_sel:BYTE_0 src1_sel:DWORD
	s_and_b64 vcc, exec, s[36:37]
	s_cbranch_vccz .LBB22_794
; %bb.793:
	global_load_ubyte v6, v[0:1], off
	s_movk_i32 s15, 0xff
	v_mov_b32_e32 v8, 0x7e00
	s_mov_b64 s[0:1], -1
	s_mov_b64 s[36:37], 0
	s_waitcnt vmcnt(0)
	v_lshlrev_b32_e32 v7, 23, v6
	v_cvt_f16_f32_e32 v7, v7
	v_cmp_ne_u32_e32 vcc, s15, v6
	v_cndmask_b32_e32 v7, v8, v7, vcc
	v_cmp_ne_u32_e32 vcc, 0, v6
	v_cndmask_b32_e32 v6, 0, v7, vcc
	s_branch .LBB22_795
.LBB22_794:
	s_mov_b64 s[36:37], -1
                                        ; implicit-def: $vgpr6
.LBB22_795:
	s_mov_b64 s[38:39], 0
.LBB22_796:
	s_and_b64 vcc, exec, s[38:39]
	s_cbranch_vccz .LBB22_800
; %bb.797:
	v_mov_b32_e32 v6, 29
	v_cmp_eq_u16_sdwa s[36:37], v5, v6 src0_sel:BYTE_0 src1_sel:DWORD
	s_and_b64 vcc, exec, s[36:37]
	s_cbranch_vccz .LBB22_799
; %bb.798:
	global_load_dwordx2 v[6:7], v[0:1], off
	s_mov_b64 s[0:1], -1
	s_mov_b64 s[36:37], 0
	s_mov_b64 s[38:39], 0
	s_waitcnt vmcnt(0)
	v_ffbh_u32_e32 v8, v7
	v_min_u32_e32 v8, 32, v8
	v_lshlrev_b64 v[6:7], v8, v[6:7]
	v_min_u32_e32 v6, 1, v6
	v_or_b32_e32 v6, v7, v6
	v_cvt_f32_u32_e32 v6, v6
	v_sub_u32_e32 v7, 32, v8
	v_ldexp_f32 v6, v6, v7
	v_cvt_f16_f32_e32 v6, v6
	s_branch .LBB22_801
.LBB22_799:
	s_mov_b64 s[36:37], -1
                                        ; implicit-def: $vgpr6
.LBB22_800:
	s_mov_b64 s[38:39], 0
.LBB22_801:
	s_and_b64 vcc, exec, s[38:39]
	s_cbranch_vccz .LBB22_819
; %bb.802:
	v_mov_b32_e32 v6, 27
	v_cmp_lt_i16_sdwa s[0:1], v5, v6 src0_sel:BYTE_0 src1_sel:DWORD
	s_and_b64 vcc, exec, s[0:1]
	s_cbranch_vccnz .LBB22_805
; %bb.803:
	v_cmp_gt_i16_sdwa s[0:1], v5, v6 src0_sel:BYTE_0 src1_sel:DWORD
	s_and_b64 vcc, exec, s[0:1]
	s_cbranch_vccz .LBB22_806
; %bb.804:
	global_load_dword v6, v[0:1], off
	s_mov_b64 s[0:1], 0
	s_waitcnt vmcnt(0)
	v_cvt_f32_u32_e32 v6, v6
	v_cvt_f16_f32_e32 v6, v6
	s_branch .LBB22_807
.LBB22_805:
	s_mov_b64 s[0:1], -1
                                        ; implicit-def: $vgpr6
	s_branch .LBB22_810
.LBB22_806:
	s_mov_b64 s[0:1], -1
                                        ; implicit-def: $vgpr6
.LBB22_807:
	s_andn2_b64 vcc, exec, s[0:1]
	s_cbranch_vccnz .LBB22_809
; %bb.808:
	global_load_ushort v6, v[0:1], off
	s_waitcnt vmcnt(0)
	v_cvt_f16_u16_e32 v6, v6
.LBB22_809:
	s_mov_b64 s[0:1], 0
.LBB22_810:
	s_andn2_b64 vcc, exec, s[0:1]
	s_cbranch_vccnz .LBB22_818
; %bb.811:
	global_load_ubyte v7, v[0:1], off
	s_movk_i32 s0, 0x7f
                                        ; implicit-def: $sgpr15
	s_waitcnt vmcnt(0)
	v_cmp_lt_i16_e32 vcc, s0, v7
	s_mov_b64 s[0:1], 0
	s_and_saveexec_b64 s[38:39], vcc
	s_xor_b64 s[38:39], exec, s[38:39]
	s_cbranch_execz .LBB22_832
; %bb.812:
	s_movk_i32 s0, 0x80
	v_cmp_eq_u16_e32 vcc, s0, v7
	s_mov_b64 s[0:1], -1
                                        ; implicit-def: $sgpr15
	s_and_saveexec_b64 s[40:41], vcc
; %bb.813:
	s_movk_i32 s15, 0x7e00
	s_xor_b64 s[0:1], exec, -1
; %bb.814:
	s_or_b64 exec, exec, s[40:41]
	s_and_b64 s[0:1], s[0:1], exec
	s_or_saveexec_b64 s[38:39], s[38:39]
	v_mov_b32_e32 v6, s15
	s_xor_b64 exec, exec, s[38:39]
	s_cbranch_execnz .LBB22_833
.LBB22_815:
	s_or_b64 exec, exec, s[38:39]
	s_and_saveexec_b64 s[38:39], s[0:1]
	s_cbranch_execz .LBB22_817
.LBB22_816:
	v_lshlrev_b32_e32 v6, 24, v7
	v_and_b32_e32 v7, 0xffff, v7
	v_and_b32_e32 v8, 7, v7
	v_ffbh_u32_e32 v10, v8
	v_min_u32_e32 v10, 32, v10
	v_subrev_u32_e32 v11, 28, v10
	v_bfe_u32 v9, v7, 3, 4
	v_lshlrev_b32_e32 v7, v11, v7
	v_sub_u32_e32 v10, 29, v10
	v_and_b32_e32 v7, 7, v7
	v_cmp_eq_u32_e32 vcc, 0, v9
	v_cndmask_b32_e32 v9, v9, v10, vcc
	v_cndmask_b32_e32 v7, v8, v7, vcc
	v_mov_b32_e32 v8, 0x3b800000
	v_lshlrev_b32_e32 v7, 20, v7
	v_and_b32_e32 v6, 0x80000000, v6
	v_lshl_add_u32 v8, v9, 23, v8
	v_or3_b32 v6, v6, v8, v7
	v_cvt_f16_f32_e32 v6, v6
.LBB22_817:
	s_or_b64 exec, exec, s[38:39]
.LBB22_818:
	s_mov_b64 s[0:1], -1
.LBB22_819:
	s_mov_b64 s[38:39], 0
.LBB22_820:
	s_and_b64 vcc, exec, s[38:39]
	s_cbranch_vccz .LBB22_855
; %bb.821:
	v_mov_b32_e32 v6, 22
	v_cmp_gt_i16_sdwa s[38:39], v5, v6 src0_sel:BYTE_0 src1_sel:DWORD
	s_and_b64 vcc, exec, s[38:39]
	s_cbranch_vccz .LBB22_831
; %bb.822:
	v_mov_b32_e32 v6, 24
	v_cmp_lt_i16_sdwa s[0:1], v5, v6 src0_sel:BYTE_0 src1_sel:DWORD
	s_and_b64 vcc, exec, s[0:1]
	s_cbranch_vccnz .LBB22_834
; %bb.823:
	v_cmp_gt_i16_sdwa s[0:1], v5, v6 src0_sel:BYTE_0 src1_sel:DWORD
	s_and_b64 vcc, exec, s[0:1]
	s_cbranch_vccz .LBB22_835
; %bb.824:
	global_load_ubyte v7, v[0:1], off
	s_movk_i32 s0, 0x7f
                                        ; implicit-def: $sgpr15
	s_waitcnt vmcnt(0)
	v_cmp_lt_i16_e32 vcc, s0, v7
	s_mov_b64 s[0:1], 0
	s_and_saveexec_b64 s[38:39], vcc
	s_xor_b64 s[38:39], exec, s[38:39]
	s_cbranch_execz .LBB22_847
; %bb.825:
	s_movk_i32 s0, 0x80
	v_cmp_eq_u16_e32 vcc, s0, v7
	s_mov_b64 s[0:1], -1
                                        ; implicit-def: $sgpr15
	s_and_saveexec_b64 s[40:41], vcc
; %bb.826:
	s_movk_i32 s15, 0x7e00
	s_xor_b64 s[0:1], exec, -1
; %bb.827:
	s_or_b64 exec, exec, s[40:41]
	s_and_b64 s[0:1], s[0:1], exec
	s_or_saveexec_b64 s[38:39], s[38:39]
	v_mov_b32_e32 v6, s15
	s_xor_b64 exec, exec, s[38:39]
	s_cbranch_execnz .LBB22_848
.LBB22_828:
	s_or_b64 exec, exec, s[38:39]
	s_and_saveexec_b64 s[38:39], s[0:1]
	s_cbranch_execz .LBB22_830
.LBB22_829:
	v_lshlrev_b32_e32 v6, 24, v7
	v_and_b32_e32 v7, 0xffff, v7
	v_and_b32_e32 v8, 3, v7
	v_ffbh_u32_e32 v10, v8
	v_min_u32_e32 v10, 32, v10
	v_subrev_u32_e32 v11, 29, v10
	v_bfe_u32 v9, v7, 2, 5
	v_lshlrev_b32_e32 v7, v11, v7
	v_sub_u32_e32 v10, 30, v10
	v_and_b32_e32 v7, 3, v7
	v_cmp_eq_u32_e32 vcc, 0, v9
	v_cndmask_b32_e32 v9, v9, v10, vcc
	v_cndmask_b32_e32 v7, v8, v7, vcc
	v_mov_b32_e32 v8, 0x37800000
	v_lshlrev_b32_e32 v7, 21, v7
	v_and_b32_e32 v6, 0x80000000, v6
	v_lshl_add_u32 v8, v9, 23, v8
	v_or3_b32 v6, v6, v8, v7
	v_cvt_f16_f32_e32 v6, v6
.LBB22_830:
	s_or_b64 exec, exec, s[38:39]
	s_mov_b64 s[0:1], 0
	s_branch .LBB22_836
.LBB22_831:
	s_mov_b64 s[38:39], -1
                                        ; implicit-def: $vgpr6
	s_branch .LBB22_842
.LBB22_832:
	s_or_saveexec_b64 s[38:39], s[38:39]
	v_mov_b32_e32 v6, s15
	s_xor_b64 exec, exec, s[38:39]
	s_cbranch_execz .LBB22_815
.LBB22_833:
	v_cmp_ne_u16_e32 vcc, 0, v7
	s_andn2_b64 s[0:1], s[0:1], exec
	s_and_b64 s[40:41], vcc, exec
	s_or_b64 s[0:1], s[0:1], s[40:41]
	v_mov_b32_e32 v6, v7
	s_or_b64 exec, exec, s[38:39]
	s_and_saveexec_b64 s[38:39], s[0:1]
	s_cbranch_execnz .LBB22_816
	s_branch .LBB22_817
.LBB22_834:
	s_mov_b64 s[0:1], -1
                                        ; implicit-def: $vgpr6
	s_branch .LBB22_839
.LBB22_835:
	s_mov_b64 s[0:1], -1
                                        ; implicit-def: $vgpr6
.LBB22_836:
	s_and_b64 vcc, exec, s[0:1]
	s_cbranch_vccz .LBB22_838
; %bb.837:
	global_load_ubyte v6, v[0:1], off
	s_mov_b32 s0, 0x7f800000
	s_waitcnt vmcnt(0)
	v_lshlrev_b32_e32 v6, 24, v6
	v_and_b32_e32 v7, 0x7f000000, v6
	v_ffbh_u32_e32 v8, v7
	v_min_u32_e32 v8, 32, v8
	v_sub_u32_e64 v8, v8, 4 clamp
	v_lshlrev_b32_e32 v10, v8, v7
	v_lshlrev_b32_e32 v8, 23, v8
	v_lshrrev_b32_e32 v10, 4, v10
	v_add_u32_e32 v9, 0x1000000, v7
	v_sub_u32_e32 v8, v10, v8
	v_ashrrev_i32_e32 v9, 8, v9
	v_add_u32_e32 v8, 0x3c000000, v8
	v_and_or_b32 v8, v9, s0, v8
	v_cmp_ne_u32_e32 vcc, 0, v7
	v_cndmask_b32_e32 v7, 0, v8, vcc
	s_brev_b32 s0, 1
	v_and_or_b32 v6, v6, s0, v7
	v_cvt_f16_f32_e32 v6, v6
.LBB22_838:
	s_mov_b64 s[0:1], 0
.LBB22_839:
	s_andn2_b64 vcc, exec, s[0:1]
	s_cbranch_vccnz .LBB22_841
; %bb.840:
	global_load_ubyte v6, v[0:1], off
	s_movk_i32 s0, 0x7f00
	s_brev_b32 s1, 16
	s_waitcnt vmcnt(0)
	v_lshlrev_b16_e32 v7, 8, v6
	v_lshlrev_b32_e32 v6, 25, v6
	v_lshrrev_b32_e32 v8, 4, v6
	v_and_or_b32 v9, v7, s0, 0.5
	v_or_b32_e32 v8, 0x70000000, v8
	v_add_f32_e32 v9, -0.5, v9
	v_mul_f32_e32 v8, 0x7800000, v8
	v_cmp_gt_u32_e32 vcc, s1, v6
	v_bfe_i32 v7, v7, 0, 16
	v_cndmask_b32_e32 v6, v8, v9, vcc
	s_brev_b32 s0, 1
	v_and_or_b32 v6, v7, s0, v6
	v_cvt_f16_f32_e32 v6, v6
.LBB22_841:
	s_mov_b64 s[38:39], 0
	s_mov_b64 s[0:1], -1
.LBB22_842:
	s_andn2_b64 vcc, exec, s[38:39]
	s_cbranch_vccnz .LBB22_855
; %bb.843:
	v_mov_b32_e32 v6, 14
	v_cmp_gt_i16_sdwa s[38:39], v5, v6 src0_sel:BYTE_0 src1_sel:DWORD
	s_and_b64 vcc, exec, s[38:39]
	s_cbranch_vccz .LBB22_846
; %bb.844:
	v_mov_b32_e32 v6, 15
	v_cmp_eq_u16_sdwa s[36:37], v5, v6 src0_sel:BYTE_0 src1_sel:DWORD
	s_and_b64 vcc, exec, s[36:37]
	s_cbranch_vccz .LBB22_849
; %bb.845:
	global_load_ushort v6, v[0:1], off
	s_mov_b64 s[0:1], -1
	s_mov_b64 s[36:37], 0
	s_waitcnt vmcnt(0)
	v_lshlrev_b32_e32 v6, 16, v6
	v_cvt_f16_f32_e32 v6, v6
	s_branch .LBB22_850
.LBB22_846:
	s_mov_b64 s[38:39], -1
                                        ; implicit-def: $vgpr6
	s_branch .LBB22_851
.LBB22_847:
	s_or_saveexec_b64 s[38:39], s[38:39]
	v_mov_b32_e32 v6, s15
	s_xor_b64 exec, exec, s[38:39]
	s_cbranch_execz .LBB22_828
.LBB22_848:
	v_cmp_ne_u16_e32 vcc, 0, v7
	s_andn2_b64 s[0:1], s[0:1], exec
	s_and_b64 s[40:41], vcc, exec
	s_or_b64 s[0:1], s[0:1], s[40:41]
	v_mov_b32_e32 v6, v7
	s_or_b64 exec, exec, s[38:39]
	s_and_saveexec_b64 s[38:39], s[0:1]
	s_cbranch_execnz .LBB22_829
	s_branch .LBB22_830
.LBB22_849:
	s_mov_b64 s[36:37], -1
                                        ; implicit-def: $vgpr6
.LBB22_850:
	s_mov_b64 s[38:39], 0
.LBB22_851:
	s_and_b64 vcc, exec, s[38:39]
	s_cbranch_vccz .LBB22_855
; %bb.852:
	v_mov_b32_e32 v6, 11
	v_cmp_eq_u16_sdwa s[36:37], v5, v6 src0_sel:BYTE_0 src1_sel:DWORD
	s_and_b64 vcc, exec, s[36:37]
	s_cbranch_vccz .LBB22_854
; %bb.853:
	global_load_ubyte v6, v[0:1], off
	v_mov_b32_e32 v7, 0x3c00
	s_mov_b64 s[0:1], -1
	s_mov_b64 s[36:37], 0
	s_waitcnt vmcnt(0)
	v_cmp_ne_u16_e32 vcc, 0, v6
	v_cndmask_b32_e32 v6, 0, v7, vcc
	s_branch .LBB22_855
.LBB22_854:
	s_mov_b64 s[36:37], -1
                                        ; implicit-def: $vgpr6
.LBB22_855:
	s_mov_b64 s[38:39], 0
.LBB22_856:
	s_and_b64 vcc, exec, s[38:39]
	s_cbranch_vccz .LBB22_905
; %bb.857:
	v_mov_b32_e32 v6, 5
	v_cmp_lt_i16_sdwa s[0:1], v5, v6 src0_sel:BYTE_0 src1_sel:DWORD
	s_and_b64 vcc, exec, s[0:1]
	s_cbranch_vccnz .LBB22_862
; %bb.858:
	v_mov_b32_e32 v6, 8
	v_cmp_lt_i16_sdwa s[0:1], v5, v6 src0_sel:BYTE_0 src1_sel:DWORD
	s_and_b64 vcc, exec, s[0:1]
	s_cbranch_vccnz .LBB22_863
	;; [unrolled: 5-line block ×3, first 2 shown]
; %bb.860:
	v_cmp_gt_i16_sdwa s[0:1], v5, v6 src0_sel:BYTE_0 src1_sel:DWORD
	s_and_b64 vcc, exec, s[0:1]
	s_cbranch_vccz .LBB22_865
; %bb.861:
	global_load_dwordx2 v[6:7], v[0:1], off
	s_mov_b64 s[0:1], 0
	s_waitcnt vmcnt(0)
	v_cvt_f32_f64_e32 v6, v[6:7]
	v_cvt_f16_f32_e32 v6, v6
	s_branch .LBB22_866
.LBB22_862:
	s_mov_b64 s[0:1], -1
                                        ; implicit-def: $vgpr6
	s_branch .LBB22_884
.LBB22_863:
	s_mov_b64 s[0:1], -1
                                        ; implicit-def: $vgpr6
	s_branch .LBB22_872
.LBB22_864:
	s_mov_b64 s[0:1], -1
                                        ; implicit-def: $vgpr6
	s_branch .LBB22_869
.LBB22_865:
	s_mov_b64 s[0:1], -1
                                        ; implicit-def: $vgpr6
.LBB22_866:
	s_andn2_b64 vcc, exec, s[0:1]
	s_cbranch_vccnz .LBB22_868
; %bb.867:
	global_load_dword v6, v[0:1], off
	s_waitcnt vmcnt(0)
	v_cvt_f16_f32_e32 v6, v6
.LBB22_868:
	s_mov_b64 s[0:1], 0
.LBB22_869:
	s_andn2_b64 vcc, exec, s[0:1]
	s_cbranch_vccnz .LBB22_871
; %bb.870:
	global_load_dword v6, v[0:1], off
.LBB22_871:
	s_mov_b64 s[0:1], 0
.LBB22_872:
	s_andn2_b64 vcc, exec, s[0:1]
	s_cbranch_vccnz .LBB22_883
; %bb.873:
	s_waitcnt vmcnt(0)
	v_mov_b32_e32 v6, 6
	v_cmp_lt_i16_sdwa s[0:1], v5, v6 src0_sel:BYTE_0 src1_sel:DWORD
	s_and_b64 vcc, exec, s[0:1]
	s_cbranch_vccnz .LBB22_876
; %bb.874:
	v_cmp_gt_i16_sdwa s[0:1], v5, v6 src0_sel:BYTE_0 src1_sel:DWORD
	s_and_b64 vcc, exec, s[0:1]
	s_cbranch_vccz .LBB22_877
; %bb.875:
	global_load_dwordx2 v[6:7], v[0:1], off
	s_mov_b64 s[0:1], 0
	s_waitcnt vmcnt(0)
	v_cvt_f32_f64_e32 v6, v[6:7]
	v_cvt_f16_f32_e32 v6, v6
	s_branch .LBB22_878
.LBB22_876:
	s_mov_b64 s[0:1], -1
                                        ; implicit-def: $vgpr6
	s_branch .LBB22_881
.LBB22_877:
	s_mov_b64 s[0:1], -1
                                        ; implicit-def: $vgpr6
.LBB22_878:
	s_andn2_b64 vcc, exec, s[0:1]
	s_cbranch_vccnz .LBB22_880
; %bb.879:
	global_load_dword v6, v[0:1], off
	s_waitcnt vmcnt(0)
	v_cvt_f16_f32_e32 v6, v6
.LBB22_880:
	s_mov_b64 s[0:1], 0
.LBB22_881:
	s_andn2_b64 vcc, exec, s[0:1]
	s_cbranch_vccnz .LBB22_883
; %bb.882:
	global_load_ushort v6, v[0:1], off
.LBB22_883:
	s_mov_b64 s[0:1], 0
.LBB22_884:
	s_andn2_b64 vcc, exec, s[0:1]
	s_cbranch_vccnz .LBB22_904
; %bb.885:
	s_waitcnt vmcnt(0)
	v_mov_b32_e32 v6, 2
	v_cmp_lt_i16_sdwa s[0:1], v5, v6 src0_sel:BYTE_0 src1_sel:DWORD
	s_and_b64 vcc, exec, s[0:1]
	s_cbranch_vccnz .LBB22_889
; %bb.886:
	v_mov_b32_e32 v6, 3
	v_cmp_lt_i16_sdwa s[0:1], v5, v6 src0_sel:BYTE_0 src1_sel:DWORD
	s_and_b64 vcc, exec, s[0:1]
	s_cbranch_vccnz .LBB22_890
; %bb.887:
	v_cmp_gt_i16_sdwa s[0:1], v5, v6 src0_sel:BYTE_0 src1_sel:DWORD
	s_and_b64 vcc, exec, s[0:1]
	s_cbranch_vccz .LBB22_891
; %bb.888:
	global_load_dwordx2 v[6:7], v[0:1], off
	s_mov_b64 s[0:1], 0
	s_waitcnt vmcnt(0)
	v_xor_b32_e32 v9, v6, v7
	v_ffbh_i32_e32 v8, v7
	v_ashrrev_i32_e32 v9, 31, v9
	v_add_u32_e32 v8, -1, v8
	v_add_u32_e32 v9, 32, v9
	v_min_u32_e32 v8, v8, v9
	v_lshlrev_b64 v[6:7], v8, v[6:7]
	v_min_u32_e32 v6, 1, v6
	v_or_b32_e32 v6, v7, v6
	v_cvt_f32_i32_e32 v6, v6
	v_sub_u32_e32 v7, 32, v8
	v_ldexp_f32 v6, v6, v7
	v_cvt_f16_f32_e32 v6, v6
	s_branch .LBB22_892
.LBB22_889:
	s_mov_b64 s[0:1], -1
                                        ; implicit-def: $vgpr6
	s_branch .LBB22_898
.LBB22_890:
	s_mov_b64 s[0:1], -1
                                        ; implicit-def: $vgpr6
	s_branch .LBB22_895
.LBB22_891:
	s_mov_b64 s[0:1], -1
                                        ; implicit-def: $vgpr6
.LBB22_892:
	s_andn2_b64 vcc, exec, s[0:1]
	s_cbranch_vccnz .LBB22_894
; %bb.893:
	global_load_dword v6, v[0:1], off
	s_waitcnt vmcnt(0)
	v_cvt_f32_i32_e32 v6, v6
	v_cvt_f16_f32_e32 v6, v6
.LBB22_894:
	s_mov_b64 s[0:1], 0
.LBB22_895:
	s_andn2_b64 vcc, exec, s[0:1]
	s_cbranch_vccnz .LBB22_897
; %bb.896:
	global_load_ushort v6, v[0:1], off
	s_waitcnt vmcnt(0)
	v_cvt_f16_i16_e32 v6, v6
.LBB22_897:
	s_mov_b64 s[0:1], 0
.LBB22_898:
	s_andn2_b64 vcc, exec, s[0:1]
	s_cbranch_vccnz .LBB22_904
; %bb.899:
	v_mov_b32_e32 v6, 0
	v_cmp_gt_i16_sdwa s[0:1], v5, v6 src0_sel:BYTE_0 src1_sel:DWORD
	s_and_b64 vcc, exec, s[0:1]
	s_cbranch_vccz .LBB22_901
; %bb.900:
	global_load_sbyte v6, v[0:1], off
	s_mov_b64 s[0:1], 0
	s_waitcnt vmcnt(0)
	v_cvt_f16_i16_e32 v6, v6
	s_branch .LBB22_902
.LBB22_901:
	s_mov_b64 s[0:1], -1
                                        ; implicit-def: $vgpr6
.LBB22_902:
	s_andn2_b64 vcc, exec, s[0:1]
	s_cbranch_vccnz .LBB22_904
; %bb.903:
	global_load_ubyte v0, v[0:1], off
	s_waitcnt vmcnt(0)
	v_cvt_f16_u16_e32 v6, v0
.LBB22_904:
	s_mov_b64 s[0:1], -1
.LBB22_905:
	s_andn2_b64 vcc, exec, s[0:1]
	s_cbranch_vccnz .LBB22_913
; %bb.906:
	v_mul_lo_u32 v0, v3, s14
	v_ashrrev_i32_e32 v1, 31, v0
	v_mov_b32_e32 v7, s3
	v_add_co_u32_e32 v0, vcc, s2, v0
	v_addc_co_u32_e32 v1, vcc, v7, v1, vcc
	v_mov_b32_e32 v7, 11
	v_cmp_lt_i16_sdwa s[0:1], v4, v7 src0_sel:BYTE_0 src1_sel:DWORD
	s_and_b64 vcc, exec, s[0:1]
	s_cbranch_vccnz .LBB22_915
; %bb.907:
	v_mov_b32_e32 v7, 25
	v_cmp_gt_i16_sdwa s[0:1], v4, v7 src0_sel:BYTE_0 src1_sel:DWORD
	s_and_b64 vcc, exec, s[0:1]
	s_cbranch_vccz .LBB22_916
; %bb.908:
	v_mov_b32_e32 v7, 28
	v_cmp_gt_i16_sdwa s[0:1], v4, v7 src0_sel:BYTE_0 src1_sel:DWORD
	s_and_b64 vcc, exec, s[0:1]
	s_cbranch_vccz .LBB22_917
	;; [unrolled: 5-line block ×4, first 2 shown]
; %bb.911:
	v_mov_b32_e32 v7, 46
	v_cmp_eq_u16_sdwa s[0:1], v4, v7 src0_sel:BYTE_0 src1_sel:DWORD
	s_mov_b64 s[40:41], 0
	s_and_b64 vcc, exec, s[0:1]
	s_cbranch_vccz .LBB22_922
; %bb.912:
	global_load_dword v7, v[0:1], off
	s_mov_b64 s[0:1], -1
	s_mov_b64 s[38:39], 0
	s_waitcnt vmcnt(0)
	v_lshlrev_b32_e32 v7, 16, v7
	v_cvt_f16_f32_e32 v8, v7
	s_branch .LBB22_923
.LBB22_913:
	s_mov_b64 s[42:43], 0
	s_mov_b64 s[0:1], s[28:29]
	;; [unrolled: 1-line block ×3, first 2 shown]
.LBB22_914:
                                        ; implicit-def: $vgpr3
	s_branch .LBB22_1161
.LBB22_915:
	s_mov_b64 s[40:41], -1
	s_mov_b64 s[0:1], 0
                                        ; implicit-def: $vgpr8
	s_mov_b64 s[38:39], s[26:27]
	s_branch .LBB22_988
.LBB22_916:
	s_mov_b64 s[40:41], -1
	s_mov_b64 s[0:1], 0
	s_mov_b64 s[38:39], s[26:27]
                                        ; implicit-def: $vgpr8
	s_branch .LBB22_952
.LBB22_917:
	s_mov_b64 s[40:41], -1
	s_mov_b64 s[0:1], 0
	s_mov_b64 s[38:39], s[26:27]
                                        ; implicit-def: $vgpr8
	s_branch .LBB22_933
.LBB22_918:
	s_mov_b64 s[40:41], -1
	s_mov_b64 s[0:1], 0
	s_mov_b64 s[38:39], s[26:27]
                                        ; implicit-def: $vgpr8
	s_branch .LBB22_928
.LBB22_919:
	s_mov_b64 s[40:41], -1
	s_mov_b64 s[0:1], 0
	s_mov_b64 s[38:39], s[26:27]
                                        ; implicit-def: $vgpr8
	s_branch .LBB22_923
.LBB22_920:
	s_or_saveexec_b64 s[36:37], s[36:37]
                                        ; implicit-def: $sgpr15
	s_xor_b64 exec, exec, s[36:37]
	s_cbranch_execz .LBB22_696
.LBB22_921:
	s_mov_b32 s15, 0x42800000
	v_add_f32_e64 v9, |v8|, s15
	v_and_b32_e32 v9, 0xff, v9
	v_cmp_ne_u32_e32 vcc, 0, v9
	s_andn2_b64 s[34:35], s[34:35], exec
	s_and_b64 s[38:39], vcc, exec
	s_mov_b32 s15, 0
	s_or_b64 s[34:35], s[34:35], s[38:39]
	s_or_b64 exec, exec, s[36:37]
	v_mov_b32_e32 v10, s15
	s_and_saveexec_b64 s[36:37], s[34:35]
	s_cbranch_execnz .LBB22_697
	s_branch .LBB22_698
.LBB22_922:
	s_mov_b64 s[38:39], -1
                                        ; implicit-def: $vgpr8
	s_mov_b64 s[0:1], 0
.LBB22_923:
	s_and_b64 vcc, exec, s[40:41]
	s_cbranch_vccz .LBB22_927
; %bb.924:
	v_mov_b32_e32 v7, 44
	v_cmp_eq_u16_sdwa s[38:39], v4, v7 src0_sel:BYTE_0 src1_sel:DWORD
	s_and_b64 vcc, exec, s[38:39]
	s_cbranch_vccz .LBB22_926
; %bb.925:
	global_load_ubyte v7, v[0:1], off
	s_movk_i32 s15, 0xff
	v_mov_b32_e32 v9, 0x7e00
	s_mov_b64 s[0:1], -1
	s_mov_b64 s[38:39], 0
	s_waitcnt vmcnt(0)
	v_lshlrev_b32_e32 v8, 23, v7
	v_cvt_f16_f32_e32 v8, v8
	v_cmp_ne_u32_e32 vcc, s15, v7
	v_cndmask_b32_e32 v8, v9, v8, vcc
	v_cmp_ne_u32_e32 vcc, 0, v7
	v_cndmask_b32_e32 v8, 0, v8, vcc
	s_branch .LBB22_927
.LBB22_926:
	s_mov_b64 s[38:39], -1
                                        ; implicit-def: $vgpr8
.LBB22_927:
	s_mov_b64 s[40:41], 0
.LBB22_928:
	s_and_b64 vcc, exec, s[40:41]
	s_cbranch_vccz .LBB22_932
; %bb.929:
	v_mov_b32_e32 v7, 29
	v_cmp_eq_u16_sdwa s[38:39], v4, v7 src0_sel:BYTE_0 src1_sel:DWORD
	s_and_b64 vcc, exec, s[38:39]
	s_cbranch_vccz .LBB22_931
; %bb.930:
	global_load_dwordx2 v[8:9], v[0:1], off
	s_mov_b64 s[0:1], -1
	s_mov_b64 s[38:39], 0
	s_mov_b64 s[40:41], 0
	s_waitcnt vmcnt(0)
	v_ffbh_u32_e32 v7, v9
	v_min_u32_e32 v7, 32, v7
	v_lshlrev_b64 v[8:9], v7, v[8:9]
	v_min_u32_e32 v8, 1, v8
	v_or_b32_e32 v8, v9, v8
	v_cvt_f32_u32_e32 v8, v8
	v_sub_u32_e32 v7, 32, v7
	v_ldexp_f32 v7, v8, v7
	v_cvt_f16_f32_e32 v8, v7
	s_branch .LBB22_933
.LBB22_931:
	s_mov_b64 s[38:39], -1
                                        ; implicit-def: $vgpr8
.LBB22_932:
	s_mov_b64 s[40:41], 0
.LBB22_933:
	s_and_b64 vcc, exec, s[40:41]
	s_cbranch_vccz .LBB22_951
; %bb.934:
	v_mov_b32_e32 v7, 27
	v_cmp_lt_i16_sdwa s[0:1], v4, v7 src0_sel:BYTE_0 src1_sel:DWORD
	s_and_b64 vcc, exec, s[0:1]
	s_cbranch_vccnz .LBB22_937
; %bb.935:
	v_cmp_gt_i16_sdwa s[0:1], v4, v7 src0_sel:BYTE_0 src1_sel:DWORD
	s_and_b64 vcc, exec, s[0:1]
	s_cbranch_vccz .LBB22_938
; %bb.936:
	global_load_dword v7, v[0:1], off
	s_mov_b64 s[0:1], 0
	s_waitcnt vmcnt(0)
	v_cvt_f32_u32_e32 v7, v7
	v_cvt_f16_f32_e32 v8, v7
	s_branch .LBB22_939
.LBB22_937:
	s_mov_b64 s[0:1], -1
                                        ; implicit-def: $vgpr8
	s_branch .LBB22_942
.LBB22_938:
	s_mov_b64 s[0:1], -1
                                        ; implicit-def: $vgpr8
.LBB22_939:
	s_andn2_b64 vcc, exec, s[0:1]
	s_cbranch_vccnz .LBB22_941
; %bb.940:
	global_load_ushort v7, v[0:1], off
	s_waitcnt vmcnt(0)
	v_cvt_f16_u16_e32 v8, v7
.LBB22_941:
	s_mov_b64 s[0:1], 0
.LBB22_942:
	s_andn2_b64 vcc, exec, s[0:1]
	s_cbranch_vccnz .LBB22_950
; %bb.943:
	global_load_ubyte v7, v[0:1], off
	s_movk_i32 s0, 0x7f
                                        ; implicit-def: $sgpr15
	s_waitcnt vmcnt(0)
	v_cmp_lt_i16_e32 vcc, s0, v7
	s_mov_b64 s[0:1], 0
	s_and_saveexec_b64 s[40:41], vcc
	s_xor_b64 s[40:41], exec, s[40:41]
	s_cbranch_execz .LBB22_964
; %bb.944:
	s_movk_i32 s0, 0x80
	v_cmp_eq_u16_e32 vcc, s0, v7
	s_mov_b64 s[0:1], -1
                                        ; implicit-def: $sgpr15
	s_and_saveexec_b64 s[42:43], vcc
; %bb.945:
	s_movk_i32 s15, 0x7e00
	s_xor_b64 s[0:1], exec, -1
; %bb.946:
	s_or_b64 exec, exec, s[42:43]
	s_and_b64 s[0:1], s[0:1], exec
	s_or_saveexec_b64 s[40:41], s[40:41]
	v_mov_b32_e32 v8, s15
	s_xor_b64 exec, exec, s[40:41]
	s_cbranch_execnz .LBB22_965
.LBB22_947:
	s_or_b64 exec, exec, s[40:41]
	s_and_saveexec_b64 s[40:41], s[0:1]
	s_cbranch_execz .LBB22_949
.LBB22_948:
	v_lshlrev_b32_e32 v8, 24, v7
	v_and_b32_e32 v7, 0xffff, v7
	v_and_b32_e32 v9, 7, v7
	v_ffbh_u32_e32 v11, v9
	v_min_u32_e32 v11, 32, v11
	v_subrev_u32_e32 v12, 28, v11
	v_bfe_u32 v10, v7, 3, 4
	v_lshlrev_b32_e32 v7, v12, v7
	v_sub_u32_e32 v11, 29, v11
	v_and_b32_e32 v7, 7, v7
	v_cmp_eq_u32_e32 vcc, 0, v10
	v_cndmask_b32_e32 v10, v10, v11, vcc
	v_cndmask_b32_e32 v7, v9, v7, vcc
	v_mov_b32_e32 v9, 0x3b800000
	v_lshlrev_b32_e32 v7, 20, v7
	v_and_b32_e32 v8, 0x80000000, v8
	v_lshl_add_u32 v9, v10, 23, v9
	v_or3_b32 v7, v8, v9, v7
	v_cvt_f16_f32_e32 v8, v7
.LBB22_949:
	s_or_b64 exec, exec, s[40:41]
.LBB22_950:
	s_mov_b64 s[0:1], -1
.LBB22_951:
	s_mov_b64 s[40:41], 0
.LBB22_952:
	s_and_b64 vcc, exec, s[40:41]
	s_cbranch_vccz .LBB22_987
; %bb.953:
	v_mov_b32_e32 v7, 22
	v_cmp_gt_i16_sdwa s[40:41], v4, v7 src0_sel:BYTE_0 src1_sel:DWORD
	s_and_b64 vcc, exec, s[40:41]
	s_cbranch_vccz .LBB22_963
; %bb.954:
	v_mov_b32_e32 v7, 24
	v_cmp_lt_i16_sdwa s[0:1], v4, v7 src0_sel:BYTE_0 src1_sel:DWORD
	s_and_b64 vcc, exec, s[0:1]
	s_cbranch_vccnz .LBB22_966
; %bb.955:
	v_cmp_gt_i16_sdwa s[0:1], v4, v7 src0_sel:BYTE_0 src1_sel:DWORD
	s_and_b64 vcc, exec, s[0:1]
	s_cbranch_vccz .LBB22_967
; %bb.956:
	global_load_ubyte v7, v[0:1], off
	s_movk_i32 s0, 0x7f
                                        ; implicit-def: $sgpr15
	s_waitcnt vmcnt(0)
	v_cmp_lt_i16_e32 vcc, s0, v7
	s_mov_b64 s[0:1], 0
	s_and_saveexec_b64 s[40:41], vcc
	s_xor_b64 s[40:41], exec, s[40:41]
	s_cbranch_execz .LBB22_979
; %bb.957:
	s_movk_i32 s0, 0x80
	v_cmp_eq_u16_e32 vcc, s0, v7
	s_mov_b64 s[0:1], -1
                                        ; implicit-def: $sgpr15
	s_and_saveexec_b64 s[42:43], vcc
; %bb.958:
	s_movk_i32 s15, 0x7e00
	s_xor_b64 s[0:1], exec, -1
; %bb.959:
	s_or_b64 exec, exec, s[42:43]
	s_and_b64 s[0:1], s[0:1], exec
	s_or_saveexec_b64 s[40:41], s[40:41]
	v_mov_b32_e32 v8, s15
	s_xor_b64 exec, exec, s[40:41]
	s_cbranch_execnz .LBB22_980
.LBB22_960:
	s_or_b64 exec, exec, s[40:41]
	s_and_saveexec_b64 s[40:41], s[0:1]
	s_cbranch_execz .LBB22_962
.LBB22_961:
	v_lshlrev_b32_e32 v8, 24, v7
	v_and_b32_e32 v7, 0xffff, v7
	v_and_b32_e32 v9, 3, v7
	v_ffbh_u32_e32 v11, v9
	v_min_u32_e32 v11, 32, v11
	v_subrev_u32_e32 v12, 29, v11
	v_bfe_u32 v10, v7, 2, 5
	v_lshlrev_b32_e32 v7, v12, v7
	v_sub_u32_e32 v11, 30, v11
	v_and_b32_e32 v7, 3, v7
	v_cmp_eq_u32_e32 vcc, 0, v10
	v_cndmask_b32_e32 v10, v10, v11, vcc
	v_cndmask_b32_e32 v7, v9, v7, vcc
	v_mov_b32_e32 v9, 0x37800000
	v_lshlrev_b32_e32 v7, 21, v7
	v_and_b32_e32 v8, 0x80000000, v8
	v_lshl_add_u32 v9, v10, 23, v9
	v_or3_b32 v7, v8, v9, v7
	v_cvt_f16_f32_e32 v8, v7
.LBB22_962:
	s_or_b64 exec, exec, s[40:41]
	s_mov_b64 s[0:1], 0
	s_branch .LBB22_968
.LBB22_963:
	s_mov_b64 s[40:41], -1
                                        ; implicit-def: $vgpr8
	s_branch .LBB22_974
.LBB22_964:
	s_or_saveexec_b64 s[40:41], s[40:41]
	v_mov_b32_e32 v8, s15
	s_xor_b64 exec, exec, s[40:41]
	s_cbranch_execz .LBB22_947
.LBB22_965:
	v_cmp_ne_u16_e32 vcc, 0, v7
	s_andn2_b64 s[0:1], s[0:1], exec
	s_and_b64 s[42:43], vcc, exec
	s_or_b64 s[0:1], s[0:1], s[42:43]
	v_mov_b32_e32 v8, v7
	s_or_b64 exec, exec, s[40:41]
	s_and_saveexec_b64 s[40:41], s[0:1]
	s_cbranch_execnz .LBB22_948
	s_branch .LBB22_949
.LBB22_966:
	s_mov_b64 s[0:1], -1
                                        ; implicit-def: $vgpr8
	s_branch .LBB22_971
.LBB22_967:
	s_mov_b64 s[0:1], -1
                                        ; implicit-def: $vgpr8
.LBB22_968:
	s_and_b64 vcc, exec, s[0:1]
	s_cbranch_vccz .LBB22_970
; %bb.969:
	global_load_ubyte v7, v[0:1], off
	s_mov_b32 s0, 0x7f800000
	s_waitcnt vmcnt(0)
	v_lshlrev_b32_e32 v7, 24, v7
	v_and_b32_e32 v8, 0x7f000000, v7
	v_ffbh_u32_e32 v9, v8
	v_min_u32_e32 v9, 32, v9
	v_sub_u32_e64 v9, v9, 4 clamp
	v_lshlrev_b32_e32 v11, v9, v8
	v_lshlrev_b32_e32 v9, 23, v9
	v_lshrrev_b32_e32 v11, 4, v11
	v_add_u32_e32 v10, 0x1000000, v8
	v_sub_u32_e32 v9, v11, v9
	v_ashrrev_i32_e32 v10, 8, v10
	v_add_u32_e32 v9, 0x3c000000, v9
	v_and_or_b32 v9, v10, s0, v9
	v_cmp_ne_u32_e32 vcc, 0, v8
	v_cndmask_b32_e32 v8, 0, v9, vcc
	s_brev_b32 s0, 1
	v_and_or_b32 v7, v7, s0, v8
	v_cvt_f16_f32_e32 v8, v7
.LBB22_970:
	s_mov_b64 s[0:1], 0
.LBB22_971:
	s_andn2_b64 vcc, exec, s[0:1]
	s_cbranch_vccnz .LBB22_973
; %bb.972:
	global_load_ubyte v7, v[0:1], off
	s_movk_i32 s0, 0x7f00
	s_brev_b32 s1, 16
	s_waitcnt vmcnt(0)
	v_lshlrev_b16_e32 v8, 8, v7
	v_lshlrev_b32_e32 v7, 25, v7
	v_lshrrev_b32_e32 v9, 4, v7
	v_and_or_b32 v10, v8, s0, 0.5
	v_or_b32_e32 v9, 0x70000000, v9
	v_add_f32_e32 v10, -0.5, v10
	v_mul_f32_e32 v9, 0x7800000, v9
	v_cmp_gt_u32_e32 vcc, s1, v7
	v_bfe_i32 v8, v8, 0, 16
	v_cndmask_b32_e32 v7, v9, v10, vcc
	s_brev_b32 s0, 1
	v_and_or_b32 v7, v8, s0, v7
	v_cvt_f16_f32_e32 v8, v7
.LBB22_973:
	s_mov_b64 s[40:41], 0
	s_mov_b64 s[0:1], -1
.LBB22_974:
	s_andn2_b64 vcc, exec, s[40:41]
	s_cbranch_vccnz .LBB22_987
; %bb.975:
	v_mov_b32_e32 v7, 14
	v_cmp_gt_i16_sdwa s[40:41], v4, v7 src0_sel:BYTE_0 src1_sel:DWORD
	s_and_b64 vcc, exec, s[40:41]
	s_cbranch_vccz .LBB22_978
; %bb.976:
	v_mov_b32_e32 v7, 15
	v_cmp_eq_u16_sdwa s[38:39], v4, v7 src0_sel:BYTE_0 src1_sel:DWORD
	s_and_b64 vcc, exec, s[38:39]
	s_cbranch_vccz .LBB22_981
; %bb.977:
	global_load_ushort v7, v[0:1], off
	s_mov_b64 s[0:1], -1
	s_mov_b64 s[38:39], 0
	s_waitcnt vmcnt(0)
	v_lshlrev_b32_e32 v7, 16, v7
	v_cvt_f16_f32_e32 v8, v7
	s_branch .LBB22_982
.LBB22_978:
	s_mov_b64 s[40:41], -1
                                        ; implicit-def: $vgpr8
	s_branch .LBB22_983
.LBB22_979:
	s_or_saveexec_b64 s[40:41], s[40:41]
	v_mov_b32_e32 v8, s15
	s_xor_b64 exec, exec, s[40:41]
	s_cbranch_execz .LBB22_960
.LBB22_980:
	v_cmp_ne_u16_e32 vcc, 0, v7
	s_andn2_b64 s[0:1], s[0:1], exec
	s_and_b64 s[42:43], vcc, exec
	s_or_b64 s[0:1], s[0:1], s[42:43]
	v_mov_b32_e32 v8, v7
	s_or_b64 exec, exec, s[40:41]
	s_and_saveexec_b64 s[40:41], s[0:1]
	s_cbranch_execnz .LBB22_961
	s_branch .LBB22_962
.LBB22_981:
	s_mov_b64 s[38:39], -1
                                        ; implicit-def: $vgpr8
.LBB22_982:
	s_mov_b64 s[40:41], 0
.LBB22_983:
	s_and_b64 vcc, exec, s[40:41]
	s_cbranch_vccz .LBB22_987
; %bb.984:
	v_mov_b32_e32 v7, 11
	v_cmp_eq_u16_sdwa s[38:39], v4, v7 src0_sel:BYTE_0 src1_sel:DWORD
	s_and_b64 vcc, exec, s[38:39]
	s_cbranch_vccz .LBB22_986
; %bb.985:
	global_load_ubyte v7, v[0:1], off
	v_mov_b32_e32 v8, 0x3c00
	s_mov_b64 s[0:1], -1
	s_mov_b64 s[38:39], 0
	s_waitcnt vmcnt(0)
	v_cmp_ne_u16_e32 vcc, 0, v7
	v_cndmask_b32_e32 v8, 0, v8, vcc
	s_branch .LBB22_987
.LBB22_986:
	s_mov_b64 s[38:39], -1
                                        ; implicit-def: $vgpr8
.LBB22_987:
	s_mov_b64 s[40:41], 0
.LBB22_988:
	s_and_b64 vcc, exec, s[40:41]
	s_cbranch_vccz .LBB22_1037
; %bb.989:
	v_mov_b32_e32 v7, 5
	v_cmp_lt_i16_sdwa s[0:1], v4, v7 src0_sel:BYTE_0 src1_sel:DWORD
	s_and_b64 vcc, exec, s[0:1]
	s_cbranch_vccnz .LBB22_994
; %bb.990:
	v_mov_b32_e32 v7, 8
	v_cmp_lt_i16_sdwa s[0:1], v4, v7 src0_sel:BYTE_0 src1_sel:DWORD
	s_and_b64 vcc, exec, s[0:1]
	s_cbranch_vccnz .LBB22_995
	;; [unrolled: 5-line block ×3, first 2 shown]
; %bb.992:
	v_cmp_gt_i16_sdwa s[0:1], v4, v7 src0_sel:BYTE_0 src1_sel:DWORD
	s_and_b64 vcc, exec, s[0:1]
	s_cbranch_vccz .LBB22_997
; %bb.993:
	global_load_dwordx2 v[8:9], v[0:1], off
	s_mov_b64 s[0:1], 0
	s_waitcnt vmcnt(0)
	v_cvt_f32_f64_e32 v7, v[8:9]
	v_cvt_f16_f32_e32 v8, v7
	s_branch .LBB22_998
.LBB22_994:
	s_mov_b64 s[0:1], -1
                                        ; implicit-def: $vgpr8
	s_branch .LBB22_1016
.LBB22_995:
	s_mov_b64 s[0:1], -1
                                        ; implicit-def: $vgpr8
	s_branch .LBB22_1004
.LBB22_996:
	s_mov_b64 s[0:1], -1
                                        ; implicit-def: $vgpr8
	s_branch .LBB22_1001
.LBB22_997:
	s_mov_b64 s[0:1], -1
                                        ; implicit-def: $vgpr8
.LBB22_998:
	s_andn2_b64 vcc, exec, s[0:1]
	s_cbranch_vccnz .LBB22_1000
; %bb.999:
	global_load_dword v7, v[0:1], off
	s_waitcnt vmcnt(0)
	v_cvt_f16_f32_e32 v8, v7
.LBB22_1000:
	s_mov_b64 s[0:1], 0
.LBB22_1001:
	s_andn2_b64 vcc, exec, s[0:1]
	s_cbranch_vccnz .LBB22_1003
; %bb.1002:
	global_load_dword v8, v[0:1], off
.LBB22_1003:
	s_mov_b64 s[0:1], 0
.LBB22_1004:
	s_andn2_b64 vcc, exec, s[0:1]
	s_cbranch_vccnz .LBB22_1015
; %bb.1005:
	v_mov_b32_e32 v7, 6
	v_cmp_lt_i16_sdwa s[0:1], v4, v7 src0_sel:BYTE_0 src1_sel:DWORD
	s_and_b64 vcc, exec, s[0:1]
	s_cbranch_vccnz .LBB22_1008
; %bb.1006:
	v_cmp_gt_i16_sdwa s[0:1], v4, v7 src0_sel:BYTE_0 src1_sel:DWORD
	s_and_b64 vcc, exec, s[0:1]
	s_cbranch_vccz .LBB22_1009
; %bb.1007:
	global_load_dwordx2 v[8:9], v[0:1], off
	s_mov_b64 s[0:1], 0
	s_waitcnt vmcnt(0)
	v_cvt_f32_f64_e32 v7, v[8:9]
	v_cvt_f16_f32_e32 v8, v7
	s_branch .LBB22_1010
.LBB22_1008:
	s_mov_b64 s[0:1], -1
                                        ; implicit-def: $vgpr8
	s_branch .LBB22_1013
.LBB22_1009:
	s_mov_b64 s[0:1], -1
                                        ; implicit-def: $vgpr8
.LBB22_1010:
	s_andn2_b64 vcc, exec, s[0:1]
	s_cbranch_vccnz .LBB22_1012
; %bb.1011:
	global_load_dword v7, v[0:1], off
	s_waitcnt vmcnt(0)
	v_cvt_f16_f32_e32 v8, v7
.LBB22_1012:
	s_mov_b64 s[0:1], 0
.LBB22_1013:
	s_andn2_b64 vcc, exec, s[0:1]
	s_cbranch_vccnz .LBB22_1015
; %bb.1014:
	global_load_ushort v8, v[0:1], off
.LBB22_1015:
	s_mov_b64 s[0:1], 0
.LBB22_1016:
	s_andn2_b64 vcc, exec, s[0:1]
	s_cbranch_vccnz .LBB22_1036
; %bb.1017:
	v_mov_b32_e32 v7, 2
	v_cmp_lt_i16_sdwa s[0:1], v4, v7 src0_sel:BYTE_0 src1_sel:DWORD
	s_and_b64 vcc, exec, s[0:1]
	s_cbranch_vccnz .LBB22_1021
; %bb.1018:
	v_mov_b32_e32 v7, 3
	v_cmp_lt_i16_sdwa s[0:1], v4, v7 src0_sel:BYTE_0 src1_sel:DWORD
	s_and_b64 vcc, exec, s[0:1]
	s_cbranch_vccnz .LBB22_1022
; %bb.1019:
	v_cmp_gt_i16_sdwa s[0:1], v4, v7 src0_sel:BYTE_0 src1_sel:DWORD
	s_and_b64 vcc, exec, s[0:1]
	s_cbranch_vccz .LBB22_1023
; %bb.1020:
	global_load_dwordx2 v[8:9], v[0:1], off
	s_mov_b64 s[0:1], 0
	s_waitcnt vmcnt(0)
	v_xor_b32_e32 v10, v8, v9
	v_ffbh_i32_e32 v7, v9
	v_ashrrev_i32_e32 v10, 31, v10
	v_add_u32_e32 v7, -1, v7
	v_add_u32_e32 v10, 32, v10
	v_min_u32_e32 v7, v7, v10
	v_lshlrev_b64 v[8:9], v7, v[8:9]
	v_min_u32_e32 v8, 1, v8
	v_or_b32_e32 v8, v9, v8
	v_cvt_f32_i32_e32 v8, v8
	v_sub_u32_e32 v7, 32, v7
	v_ldexp_f32 v7, v8, v7
	v_cvt_f16_f32_e32 v8, v7
	s_branch .LBB22_1024
.LBB22_1021:
	s_mov_b64 s[0:1], -1
                                        ; implicit-def: $vgpr8
	s_branch .LBB22_1030
.LBB22_1022:
	s_mov_b64 s[0:1], -1
                                        ; implicit-def: $vgpr8
	s_branch .LBB22_1027
.LBB22_1023:
	s_mov_b64 s[0:1], -1
                                        ; implicit-def: $vgpr8
.LBB22_1024:
	s_andn2_b64 vcc, exec, s[0:1]
	s_cbranch_vccnz .LBB22_1026
; %bb.1025:
	global_load_dword v7, v[0:1], off
	s_waitcnt vmcnt(0)
	v_cvt_f32_i32_e32 v7, v7
	v_cvt_f16_f32_e32 v8, v7
.LBB22_1026:
	s_mov_b64 s[0:1], 0
.LBB22_1027:
	s_andn2_b64 vcc, exec, s[0:1]
	s_cbranch_vccnz .LBB22_1029
; %bb.1028:
	global_load_ushort v7, v[0:1], off
	s_waitcnt vmcnt(0)
	v_cvt_f16_i16_e32 v8, v7
.LBB22_1029:
	s_mov_b64 s[0:1], 0
.LBB22_1030:
	s_andn2_b64 vcc, exec, s[0:1]
	s_cbranch_vccnz .LBB22_1036
; %bb.1031:
	v_mov_b32_e32 v7, 0
	v_cmp_gt_i16_sdwa s[0:1], v4, v7 src0_sel:BYTE_0 src1_sel:DWORD
	s_and_b64 vcc, exec, s[0:1]
	s_cbranch_vccz .LBB22_1033
; %bb.1032:
	global_load_sbyte v7, v[0:1], off
	s_mov_b64 s[0:1], 0
	s_waitcnt vmcnt(0)
	v_cvt_f16_i16_e32 v8, v7
	s_branch .LBB22_1034
.LBB22_1033:
	s_mov_b64 s[0:1], -1
                                        ; implicit-def: $vgpr8
.LBB22_1034:
	s_andn2_b64 vcc, exec, s[0:1]
	s_cbranch_vccnz .LBB22_1036
; %bb.1035:
	global_load_ubyte v0, v[0:1], off
	s_waitcnt vmcnt(0)
	v_cvt_f16_u16_e32 v8, v0
.LBB22_1036:
	s_mov_b64 s[0:1], -1
.LBB22_1037:
	s_andn2_b64 vcc, exec, s[0:1]
	s_cbranch_vccnz .LBB22_1045
; %bb.1038:
	s_waitcnt vmcnt(0)
	v_and_b32_e32 v7, 0x7fff, v6
	v_and_b32_e32 v0, 0xffff8000, v8
	v_or_b32_e32 v6, v0, v7
	v_mul_lo_u32 v0, v3, s12
	v_ashrrev_i32_e32 v1, 31, v0
	v_mov_b32_e32 v8, s9
	v_add_co_u32_e32 v0, vcc, s8, v0
	v_addc_co_u32_e32 v1, vcc, v8, v1, vcc
	v_mov_b32_e32 v8, 11
	v_cmp_lt_i16_sdwa s[0:1], v2, v8 src0_sel:BYTE_0 src1_sel:DWORD
	s_and_b64 vcc, exec, s[0:1]
	s_cbranch_vccnz .LBB22_1046
; %bb.1039:
	v_mov_b32_e32 v8, 25
	v_cmp_gt_i16_sdwa s[0:1], v2, v8 src0_sel:BYTE_0 src1_sel:DWORD
	s_and_b64 vcc, exec, s[0:1]
	s_cbranch_vccz .LBB22_1047
; %bb.1040:
	v_mov_b32_e32 v8, 28
	v_cmp_gt_i16_sdwa s[0:1], v2, v8 src0_sel:BYTE_0 src1_sel:DWORD
	s_and_b64 vcc, exec, s[0:1]
	s_cbranch_vccz .LBB22_1048
	;; [unrolled: 5-line block ×4, first 2 shown]
; %bb.1043:
	v_mov_b32_e32 v8, 46
	v_cmp_eq_u16_sdwa s[40:41], v2, v8 src0_sel:BYTE_0 src1_sel:DWORD
	s_mov_b64 s[42:43], 0
	s_mov_b64 s[0:1], -1
	s_and_b64 vcc, exec, s[40:41]
	s_mov_b64 s[40:41], 0
	s_cbranch_vccz .LBB22_1051
; %bb.1044:
	v_cvt_f32_f16_e32 v8, v6
	s_movk_i32 s0, 0x7fff
	v_mov_b32_e32 v9, 0x7fc0
	v_cmp_o_f16_e32 vcc, v6, v6
	v_bfe_u32 v10, v8, 16, 1
	v_add3_u32 v8, v8, v10, s0
	v_lshrrev_b32_e32 v8, 16, v8
	v_cndmask_b32_e32 v8, v9, v8, vcc
	global_store_dword v[0:1], v8, off
	s_mov_b64 s[40:41], -1
	s_mov_b64 s[0:1], 0
	s_branch .LBB22_1051
.LBB22_1045:
	s_mov_b64 s[42:43], 0
                                        ; implicit-def: $vgpr3
	s_mov_b64 s[0:1], s[28:29]
	s_branch .LBB22_1161
.LBB22_1046:
	s_mov_b64 s[42:43], -1
	s_mov_b64 s[40:41], 0
	s_mov_b64 s[0:1], s[28:29]
	s_branch .LBB22_1120
.LBB22_1047:
	s_mov_b64 s[42:43], -1
	s_mov_b64 s[40:41], 0
	s_mov_b64 s[0:1], s[28:29]
	s_branch .LBB22_1078
.LBB22_1048:
	s_mov_b64 s[42:43], -1
	s_mov_b64 s[40:41], 0
	s_mov_b64 s[0:1], s[28:29]
	s_branch .LBB22_1061
.LBB22_1049:
	s_mov_b64 s[42:43], -1
	s_mov_b64 s[40:41], 0
	s_mov_b64 s[0:1], s[28:29]
	s_branch .LBB22_1057
.LBB22_1050:
	s_mov_b64 s[42:43], -1
	s_mov_b64 s[40:41], 0
	s_mov_b64 s[0:1], s[28:29]
.LBB22_1051:
	s_and_b64 vcc, exec, s[42:43]
	s_cbranch_vccz .LBB22_1056
; %bb.1052:
	v_mov_b32_e32 v8, 44
	v_cmp_eq_u16_sdwa s[42:43], v2, v8 src0_sel:BYTE_0 src1_sel:DWORD
	s_mov_b64 s[0:1], -1
	s_and_b64 vcc, exec, s[42:43]
	s_cbranch_vccz .LBB22_1056
; %bb.1053:
	v_cvt_f32_f16_e32 v8, v6
	s_movk_i32 s0, 0xff
	v_mov_b32_e32 v10, 0xff
	v_bfe_u32 v9, v8, 23, 8
	v_cmp_ne_u32_e32 vcc, s0, v9
	s_and_saveexec_b64 s[40:41], vcc
; %bb.1054:
	s_mov_b32 s0, 0x3fffff
	v_lshrrev_b32_e32 v10, 23, v8
	v_and_b32_e32 v11, 0x400000, v8
	v_and_or_b32 v8, v8, s0, v9
	v_cmp_ne_u32_e32 vcc, 0, v11
	v_cmp_ne_u32_e64 s[0:1], 0, v8
	s_and_b64 s[0:1], vcc, s[0:1]
	v_cndmask_b32_e64 v8, 0, 1, s[0:1]
	v_add_u32_e32 v10, v10, v8
; %bb.1055:
	s_or_b64 exec, exec, s[40:41]
	s_mov_b64 s[40:41], -1
	s_mov_b64 s[0:1], 0
	global_store_byte v[0:1], v10, off
.LBB22_1056:
	s_mov_b64 s[42:43], 0
.LBB22_1057:
	s_and_b64 vcc, exec, s[42:43]
	s_cbranch_vccz .LBB22_1060
; %bb.1058:
	v_mov_b32_e32 v8, 29
	v_cmp_eq_u16_sdwa s[42:43], v2, v8 src0_sel:BYTE_0 src1_sel:DWORD
	s_mov_b64 s[0:1], -1
	s_and_b64 vcc, exec, s[42:43]
	s_cbranch_vccz .LBB22_1060
; %bb.1059:
	v_cvt_f32_f16_e32 v8, v6
	v_mov_b32_e32 v9, 0
	s_mov_b64 s[40:41], -1
	s_mov_b64 s[0:1], 0
	v_cvt_u32_f32_e32 v8, v8
	s_mov_b64 s[42:43], 0
	global_store_dwordx2 v[0:1], v[8:9], off
	s_branch .LBB22_1061
.LBB22_1060:
	s_mov_b64 s[42:43], 0
.LBB22_1061:
	s_and_b64 vcc, exec, s[42:43]
	s_cbranch_vccz .LBB22_1077
; %bb.1062:
	v_mov_b32_e32 v8, 27
	v_cmp_lt_i16_sdwa s[42:43], v2, v8 src0_sel:BYTE_0 src1_sel:DWORD
	s_mov_b64 s[40:41], -1
	s_and_b64 vcc, exec, s[42:43]
	s_cbranch_vccnz .LBB22_1068
; %bb.1063:
	v_cmp_gt_i16_sdwa s[42:43], v2, v8 src0_sel:BYTE_0 src1_sel:DWORD
	s_and_b64 vcc, exec, s[42:43]
	s_cbranch_vccz .LBB22_1065
; %bb.1064:
	v_cvt_f32_f16_e32 v8, v6
	s_mov_b64 s[40:41], 0
	v_cvt_u32_f32_e32 v8, v8
	global_store_dword v[0:1], v8, off
.LBB22_1065:
	s_andn2_b64 vcc, exec, s[40:41]
	s_cbranch_vccnz .LBB22_1067
; %bb.1066:
	v_cvt_u16_f16_e32 v8, v6
	global_store_short v[0:1], v8, off
.LBB22_1067:
	s_mov_b64 s[40:41], 0
.LBB22_1068:
	s_andn2_b64 vcc, exec, s[40:41]
	s_cbranch_vccnz .LBB22_1076
; %bb.1069:
	v_cvt_f32_f16_e32 v8, v6
	s_mov_b32 s15, 0x43800000
	v_mov_b32_e32 v10, 0x80
	v_and_b32_e32 v9, 0x7fffffff, v8
	v_cmp_gt_u32_e32 vcc, s15, v9
	s_and_saveexec_b64 s[40:41], vcc
	s_cbranch_execz .LBB22_1075
; %bb.1070:
	s_mov_b32 s15, 0x3bffffff
	v_cmp_lt_u32_e32 vcc, s15, v9
	s_mov_b64 s[42:43], 0
                                        ; implicit-def: $vgpr9
	s_and_saveexec_b64 s[44:45], vcc
	s_xor_b64 s[44:45], exec, s[44:45]
	s_cbranch_execz .LBB22_1177
; %bb.1071:
	v_bfe_u32 v9, v8, 20, 1
	s_mov_b32 s15, 0x487ffff
	v_add3_u32 v9, v8, v9, s15
	s_mov_b64 s[42:43], exec
	v_lshrrev_b32_e32 v9, 20, v9
	s_or_saveexec_b64 s[44:45], s[44:45]
                                        ; implicit-def: $sgpr15
	s_xor_b64 exec, exec, s[44:45]
	s_cbranch_execnz .LBB22_1178
.LBB22_1072:
	s_or_b64 exec, exec, s[44:45]
	v_mov_b32_e32 v10, s15
	s_and_saveexec_b64 s[44:45], s[42:43]
.LBB22_1073:
	v_lshrrev_b32_e32 v8, 24, v8
	s_movk_i32 s15, 0x80
	v_and_or_b32 v10, v8, s15, v9
.LBB22_1074:
	s_or_b64 exec, exec, s[44:45]
.LBB22_1075:
	s_or_b64 exec, exec, s[40:41]
	global_store_byte v[0:1], v10, off
.LBB22_1076:
	s_mov_b64 s[40:41], -1
.LBB22_1077:
	s_mov_b64 s[42:43], 0
.LBB22_1078:
	s_and_b64 vcc, exec, s[42:43]
	s_cbranch_vccz .LBB22_1119
; %bb.1079:
	v_mov_b32_e32 v8, 22
	v_cmp_gt_i16_sdwa s[44:45], v2, v8 src0_sel:BYTE_0 src1_sel:DWORD
	s_mov_b64 s[42:43], -1
	s_and_b64 vcc, exec, s[44:45]
	s_cbranch_vccz .LBB22_1111
; %bb.1080:
	v_mov_b32_e32 v8, 24
	v_cmp_lt_i16_sdwa s[42:43], v2, v8 src0_sel:BYTE_0 src1_sel:DWORD
	s_mov_b64 s[40:41], -1
	s_and_b64 vcc, exec, s[42:43]
	s_cbranch_vccnz .LBB22_1100
; %bb.1081:
	v_cmp_gt_i16_sdwa s[42:43], v2, v8 src0_sel:BYTE_0 src1_sel:DWORD
	s_and_b64 vcc, exec, s[42:43]
	s_cbranch_vccz .LBB22_1089
; %bb.1082:
	v_cvt_f32_f16_e32 v8, v6
	s_mov_b32 s15, 0x47800000
	v_mov_b32_e32 v10, 0x80
	v_and_b32_e32 v9, 0x7fffffff, v8
	v_cmp_gt_u32_e32 vcc, s15, v9
	s_and_saveexec_b64 s[40:41], vcc
	s_cbranch_execz .LBB22_1088
; %bb.1083:
	s_mov_b32 s15, 0x37ffffff
	v_cmp_lt_u32_e32 vcc, s15, v9
	s_mov_b64 s[42:43], 0
                                        ; implicit-def: $vgpr9
	s_and_saveexec_b64 s[44:45], vcc
	s_xor_b64 s[44:45], exec, s[44:45]
	s_cbranch_execz .LBB22_2200
; %bb.1084:
	v_bfe_u32 v9, v8, 21, 1
	s_mov_b32 s15, 0x88fffff
	v_add3_u32 v9, v8, v9, s15
	s_mov_b64 s[42:43], exec
	v_lshrrev_b32_e32 v9, 21, v9
	s_or_saveexec_b64 s[44:45], s[44:45]
                                        ; implicit-def: $sgpr15
	s_xor_b64 exec, exec, s[44:45]
	s_cbranch_execnz .LBB22_2201
.LBB22_1085:
	s_or_b64 exec, exec, s[44:45]
	v_mov_b32_e32 v10, s15
	s_and_saveexec_b64 s[44:45], s[42:43]
.LBB22_1086:
	v_lshrrev_b32_e32 v8, 24, v8
	s_movk_i32 s15, 0x80
	v_and_or_b32 v10, v8, s15, v9
.LBB22_1087:
	s_or_b64 exec, exec, s[44:45]
.LBB22_1088:
	s_or_b64 exec, exec, s[40:41]
	s_mov_b64 s[40:41], 0
	global_store_byte v[0:1], v10, off
.LBB22_1089:
	s_and_b64 vcc, exec, s[40:41]
	s_cbranch_vccz .LBB22_1099
; %bb.1090:
	v_cvt_f32_f16_e32 v8, v6
	s_mov_b32 s15, 0x43f00000
                                        ; implicit-def: $vgpr9
	v_and_b32_e32 v10, 0x7fffffff, v8
	v_cmp_gt_u32_e32 vcc, s15, v10
	s_and_saveexec_b64 s[40:41], vcc
	s_xor_b64 s[40:41], exec, s[40:41]
	s_cbranch_execz .LBB22_1096
; %bb.1091:
	s_mov_b32 s15, 0x3c7fffff
	v_cmp_lt_u32_e32 vcc, s15, v10
                                        ; implicit-def: $vgpr9
	s_and_saveexec_b64 s[42:43], vcc
	s_xor_b64 s[42:43], exec, s[42:43]
; %bb.1092:
	v_bfe_u32 v9, v8, 20, 1
	s_mov_b32 s15, 0x407ffff
	v_add3_u32 v9, v8, v9, s15
	v_lshrrev_b32_e32 v10, 20, v9
	v_and_b32_e32 v9, 0xff00000, v9
	s_mov_b32 s15, 0x7f00000
	v_mov_b32_e32 v11, 0x7e
	v_cmp_ne_u32_e32 vcc, s15, v9
	v_cndmask_b32_e32 v9, v11, v10, vcc
; %bb.1093:
	s_andn2_saveexec_b64 s[42:43], s[42:43]
; %bb.1094:
	s_mov_b32 s15, 0x46800000
	v_add_f32_e64 v9, |v8|, s15
; %bb.1095:
	s_or_b64 exec, exec, s[42:43]
                                        ; implicit-def: $vgpr10
.LBB22_1096:
	s_andn2_saveexec_b64 s[40:41], s[40:41]
; %bb.1097:
	s_mov_b32 s15, 0x7f800000
	v_mov_b32_e32 v9, 0x7e
	v_mov_b32_e32 v11, 0x7f
	v_cmp_lt_u32_e32 vcc, s15, v10
	v_cndmask_b32_e32 v9, v9, v11, vcc
; %bb.1098:
	s_or_b64 exec, exec, s[40:41]
	v_lshrrev_b32_e32 v8, 24, v8
	s_movk_i32 s15, 0x80
	v_and_or_b32 v8, v8, s15, v9
	global_store_byte v[0:1], v8, off
.LBB22_1099:
	s_mov_b64 s[40:41], 0
.LBB22_1100:
	s_andn2_b64 vcc, exec, s[40:41]
	s_cbranch_vccnz .LBB22_1110
; %bb.1101:
	v_cvt_f32_f16_e32 v8, v6
	s_mov_b32 s15, 0x47800000
                                        ; implicit-def: $vgpr9
	v_and_b32_e32 v10, 0x7fffffff, v8
	v_cmp_gt_u32_e32 vcc, s15, v10
	s_and_saveexec_b64 s[40:41], vcc
	s_xor_b64 s[40:41], exec, s[40:41]
	s_cbranch_execz .LBB22_1107
; %bb.1102:
	s_mov_b32 s15, 0x387fffff
	v_cmp_lt_u32_e32 vcc, s15, v10
                                        ; implicit-def: $vgpr9
	s_and_saveexec_b64 s[42:43], vcc
	s_xor_b64 s[42:43], exec, s[42:43]
; %bb.1103:
	v_bfe_u32 v9, v8, 21, 1
	s_mov_b32 s15, 0x80fffff
	v_add3_u32 v9, v8, v9, s15
	v_lshrrev_b32_e32 v9, 21, v9
; %bb.1104:
	s_andn2_saveexec_b64 s[42:43], s[42:43]
; %bb.1105:
	s_mov_b32 s15, 0x43000000
	v_add_f32_e64 v9, |v8|, s15
; %bb.1106:
	s_or_b64 exec, exec, s[42:43]
                                        ; implicit-def: $vgpr10
.LBB22_1107:
	s_andn2_saveexec_b64 s[40:41], s[40:41]
; %bb.1108:
	s_mov_b32 s15, 0x7f800000
	v_mov_b32_e32 v9, 0x7c
	v_mov_b32_e32 v11, 0x7f
	v_cmp_lt_u32_e32 vcc, s15, v10
	v_cndmask_b32_e32 v9, v9, v11, vcc
; %bb.1109:
	s_or_b64 exec, exec, s[40:41]
	v_lshrrev_b32_e32 v8, 24, v8
	s_movk_i32 s15, 0x80
	v_and_or_b32 v8, v8, s15, v9
	global_store_byte v[0:1], v8, off
.LBB22_1110:
	s_mov_b64 s[42:43], 0
	s_mov_b64 s[40:41], -1
.LBB22_1111:
	s_andn2_b64 vcc, exec, s[42:43]
	s_cbranch_vccnz .LBB22_1119
; %bb.1112:
	v_mov_b32_e32 v8, 14
	v_cmp_gt_i16_sdwa s[44:45], v2, v8 src0_sel:BYTE_0 src1_sel:DWORD
	s_mov_b64 s[42:43], -1
	s_and_b64 vcc, exec, s[44:45]
	s_cbranch_vccz .LBB22_1116
; %bb.1113:
	v_mov_b32_e32 v8, 15
	v_cmp_eq_u16_sdwa s[42:43], v2, v8 src0_sel:BYTE_0 src1_sel:DWORD
	s_mov_b64 s[0:1], -1
	s_and_b64 vcc, exec, s[42:43]
	s_cbranch_vccz .LBB22_1115
; %bb.1114:
	v_cvt_f32_f16_e32 v8, v6
	s_movk_i32 s0, 0x7fff
	v_mov_b32_e32 v9, 0x7fc0
	v_cmp_o_f16_e32 vcc, v6, v6
	v_bfe_u32 v10, v8, 16, 1
	v_add3_u32 v8, v8, v10, s0
	v_lshrrev_b32_e32 v8, 16, v8
	v_cndmask_b32_e32 v8, v9, v8, vcc
	global_store_short v[0:1], v8, off
	s_mov_b64 s[40:41], -1
	s_mov_b64 s[0:1], 0
.LBB22_1115:
	s_mov_b64 s[42:43], 0
.LBB22_1116:
	s_and_b64 vcc, exec, s[42:43]
	s_cbranch_vccz .LBB22_1119
; %bb.1117:
	v_mov_b32_e32 v8, 11
	v_cmp_eq_u16_sdwa s[42:43], v2, v8 src0_sel:BYTE_0 src1_sel:DWORD
	s_mov_b64 s[0:1], -1
	s_and_b64 vcc, exec, s[42:43]
	s_cbranch_vccz .LBB22_1119
; %bb.1118:
	v_cmp_ne_u16_e32 vcc, 0, v7
	v_cndmask_b32_e64 v7, 0, 1, vcc
	s_mov_b64 s[40:41], -1
	s_mov_b64 s[0:1], 0
	global_store_byte v[0:1], v7, off
.LBB22_1119:
	s_mov_b64 s[42:43], 0
.LBB22_1120:
	s_and_b64 vcc, exec, s[42:43]
	s_cbranch_vccz .LBB22_1159
; %bb.1121:
	v_mov_b32_e32 v7, 5
	v_cmp_lt_i16_sdwa s[42:43], v2, v7 src0_sel:BYTE_0 src1_sel:DWORD
	s_mov_b64 s[40:41], -1
	s_and_b64 vcc, exec, s[42:43]
	s_cbranch_vccnz .LBB22_1142
; %bb.1122:
	v_mov_b32_e32 v7, 8
	v_cmp_lt_i16_sdwa s[42:43], v2, v7 src0_sel:BYTE_0 src1_sel:DWORD
	s_and_b64 vcc, exec, s[42:43]
	s_cbranch_vccnz .LBB22_1132
; %bb.1123:
	v_mov_b32_e32 v7, 9
	v_cmp_lt_i16_sdwa s[42:43], v2, v7 src0_sel:BYTE_0 src1_sel:DWORD
	s_and_b64 vcc, exec, s[42:43]
	s_cbranch_vccnz .LBB22_1129
; %bb.1124:
	v_cmp_gt_i16_sdwa s[42:43], v2, v7 src0_sel:BYTE_0 src1_sel:DWORD
	s_and_b64 vcc, exec, s[42:43]
	s_cbranch_vccz .LBB22_1126
; %bb.1125:
	v_cvt_f32_f16_e32 v7, v6
	v_mov_b32_e32 v10, 0
	v_mov_b32_e32 v11, v10
	s_mov_b64 s[40:41], 0
	v_cvt_f64_f32_e32 v[8:9], v7
	global_store_dwordx4 v[0:1], v[8:11], off
.LBB22_1126:
	s_andn2_b64 vcc, exec, s[40:41]
	s_cbranch_vccnz .LBB22_1128
; %bb.1127:
	v_cvt_f32_f16_e32 v8, v6
	v_mov_b32_e32 v9, 0
	global_store_dwordx2 v[0:1], v[8:9], off
.LBB22_1128:
	s_mov_b64 s[40:41], 0
.LBB22_1129:
	s_andn2_b64 vcc, exec, s[40:41]
	s_cbranch_vccnz .LBB22_1131
; %bb.1130:
	v_and_b32_e32 v7, 0xffff, v6
	global_store_dword v[0:1], v7, off
.LBB22_1131:
	s_mov_b64 s[40:41], 0
.LBB22_1132:
	s_andn2_b64 vcc, exec, s[40:41]
	s_cbranch_vccnz .LBB22_1141
; %bb.1133:
	v_mov_b32_e32 v7, 6
	v_cmp_lt_i16_sdwa s[42:43], v2, v7 src0_sel:BYTE_0 src1_sel:DWORD
	s_mov_b64 s[40:41], -1
	s_and_b64 vcc, exec, s[42:43]
	s_cbranch_vccnz .LBB22_1139
; %bb.1134:
	v_cmp_gt_i16_sdwa s[42:43], v2, v7 src0_sel:BYTE_0 src1_sel:DWORD
	s_and_b64 vcc, exec, s[42:43]
	s_cbranch_vccz .LBB22_1136
; %bb.1135:
	v_cvt_f32_f16_e32 v7, v6
	s_mov_b64 s[40:41], 0
	v_cvt_f64_f32_e32 v[8:9], v7
	global_store_dwordx2 v[0:1], v[8:9], off
.LBB22_1136:
	s_andn2_b64 vcc, exec, s[40:41]
	s_cbranch_vccnz .LBB22_1138
; %bb.1137:
	v_cvt_f32_f16_e32 v7, v6
	global_store_dword v[0:1], v7, off
.LBB22_1138:
	s_mov_b64 s[40:41], 0
.LBB22_1139:
	s_andn2_b64 vcc, exec, s[40:41]
	s_cbranch_vccnz .LBB22_1141
; %bb.1140:
	global_store_short v[0:1], v6, off
.LBB22_1141:
	s_mov_b64 s[40:41], 0
.LBB22_1142:
	s_andn2_b64 vcc, exec, s[40:41]
	s_cbranch_vccnz .LBB22_1158
; %bb.1143:
	v_mov_b32_e32 v7, 2
	v_cmp_lt_i16_sdwa s[42:43], v2, v7 src0_sel:BYTE_0 src1_sel:DWORD
	s_mov_b64 s[40:41], -1
	s_and_b64 vcc, exec, s[42:43]
	s_cbranch_vccnz .LBB22_1153
; %bb.1144:
	v_mov_b32_e32 v7, 3
	v_cmp_lt_i16_sdwa s[42:43], v2, v7 src0_sel:BYTE_0 src1_sel:DWORD
	s_and_b64 vcc, exec, s[42:43]
	s_cbranch_vccnz .LBB22_1150
; %bb.1145:
	v_cmp_gt_i16_sdwa s[42:43], v2, v7 src0_sel:BYTE_0 src1_sel:DWORD
	s_and_b64 vcc, exec, s[42:43]
	s_cbranch_vccz .LBB22_1147
; %bb.1146:
	v_cvt_f32_f16_e32 v7, v6
	s_mov_b64 s[40:41], 0
	v_cvt_i32_f32_e32 v8, v7
	v_ashrrev_i32_e32 v9, 31, v8
	global_store_dwordx2 v[0:1], v[8:9], off
.LBB22_1147:
	s_andn2_b64 vcc, exec, s[40:41]
	s_cbranch_vccnz .LBB22_1149
; %bb.1148:
	v_cvt_f32_f16_e32 v7, v6
	v_cvt_i32_f32_e32 v7, v7
	global_store_dword v[0:1], v7, off
.LBB22_1149:
	s_mov_b64 s[40:41], 0
.LBB22_1150:
	s_andn2_b64 vcc, exec, s[40:41]
	s_cbranch_vccnz .LBB22_1152
; %bb.1151:
	v_cvt_i16_f16_e32 v7, v6
	global_store_short v[0:1], v7, off
.LBB22_1152:
	s_mov_b64 s[40:41], 0
.LBB22_1153:
	s_andn2_b64 vcc, exec, s[40:41]
	s_cbranch_vccnz .LBB22_1158
; %bb.1154:
	v_mov_b32_e32 v7, 0
	v_cmp_gt_i16_sdwa s[42:43], v2, v7 src0_sel:BYTE_0 src1_sel:DWORD
	s_mov_b64 s[40:41], -1
	s_and_b64 vcc, exec, s[42:43]
	s_cbranch_vccz .LBB22_1156
; %bb.1155:
	v_cvt_i16_f16_e32 v7, v6
	s_mov_b64 s[40:41], 0
	global_store_byte v[0:1], v7, off
.LBB22_1156:
	s_andn2_b64 vcc, exec, s[40:41]
	s_cbranch_vccnz .LBB22_1158
; %bb.1157:
	v_cvt_f32_f16_e32 v6, v6
	v_cvt_i32_f32_e32 v6, v6
	global_store_byte v[0:1], v6, off
.LBB22_1158:
	s_mov_b64 s[40:41], -1
.LBB22_1159:
	s_andn2_b64 vcc, exec, s[40:41]
	s_cbranch_vccnz .LBB22_1172
; %bb.1160:
	v_add_u32_e32 v3, 0x80, v3
	s_mov_b64 s[42:43], -1
.LBB22_1161:
	s_andn2_b64 s[40:41], s[28:29], exec
	s_and_b64 s[0:1], s[0:1], exec
	s_or_b64 s[40:41], s[40:41], s[0:1]
	s_andn2_b64 s[0:1], s[26:27], exec
	s_and_b64 s[38:39], s[38:39], exec
	s_or_b64 s[38:39], s[0:1], s[38:39]
	;; [unrolled: 3-line block ×3, first 2 shown]
	s_orn2_b64 s[46:47], s[42:43], exec
.LBB22_1162:
	s_or_b64 exec, exec, s[34:35]
	s_mov_b64 s[42:43], 0
	s_mov_b64 s[36:37], 0
	;; [unrolled: 1-line block ×3, first 2 shown]
                                        ; implicit-def: $vgpr7
                                        ; implicit-def: $vgpr0_vgpr1
                                        ; implicit-def: $vgpr6
	s_and_saveexec_b64 s[34:35], s[46:47]
	s_cbranch_execz .LBB22_1246
; %bb.1163:
	v_cmp_gt_i32_e32 vcc, s33, v3
	s_mov_b64 s[46:47], 0
	s_mov_b64 s[48:49], s[0:1]
	;; [unrolled: 1-line block ×4, first 2 shown]
                                        ; implicit-def: $vgpr7
                                        ; implicit-def: $vgpr0_vgpr1
                                        ; implicit-def: $vgpr6
	s_and_saveexec_b64 s[36:37], vcc
	s_cbranch_execz .LBB22_1245
; %bb.1164:
	v_mul_lo_u32 v0, v3, s13
	v_ashrrev_i32_e32 v1, 31, v0
	s_waitcnt vmcnt(0)
	v_mov_b32_e32 v6, s11
	v_add_co_u32_e32 v0, vcc, s10, v0
	v_addc_co_u32_e32 v1, vcc, v6, v1, vcc
	v_and_b32_e32 v7, 0xff, v5
	v_cmp_gt_i16_e32 vcc, 11, v7
	s_cbranch_vccnz .LBB22_1171
; %bb.1165:
	v_cmp_lt_i16_e32 vcc, 25, v7
	s_cbranch_vccz .LBB22_1173
; %bb.1166:
	v_cmp_lt_i16_e32 vcc, 28, v7
	s_cbranch_vccz .LBB22_1174
	;; [unrolled: 3-line block ×4, first 2 shown]
; %bb.1169:
	v_cmp_eq_u16_e32 vcc, 46, v7
	s_mov_b64 s[48:49], 0
	s_cbranch_vccz .LBB22_1179
; %bb.1170:
	global_load_dword v5, v[0:1], off
	s_mov_b64 s[46:47], -1
	s_waitcnt vmcnt(0)
	v_lshlrev_b32_e32 v5, 16, v5
	v_cvt_f16_f32_e32 v6, v5
	s_branch .LBB22_1181
.LBB22_1171:
	s_mov_b64 s[48:49], -1
                                        ; implicit-def: $vgpr6
	s_mov_b64 s[42:43], s[0:1]
	s_branch .LBB22_1244
.LBB22_1172:
	s_mov_b64 s[42:43], 0
	s_branch .LBB22_914
.LBB22_1173:
	s_mov_b64 s[48:49], -1
	s_mov_b64 s[42:43], s[0:1]
                                        ; implicit-def: $vgpr6
	s_branch .LBB22_1210
.LBB22_1174:
	s_mov_b64 s[48:49], -1
	s_mov_b64 s[42:43], s[0:1]
                                        ; implicit-def: $vgpr6
	s_branch .LBB22_1191
.LBB22_1175:
	s_mov_b64 s[48:49], -1
	s_mov_b64 s[42:43], s[0:1]
                                        ; implicit-def: $vgpr6
	s_branch .LBB22_1186
.LBB22_1176:
	s_mov_b64 s[48:49], -1
	s_mov_b64 s[42:43], s[0:1]
	s_branch .LBB22_1180
.LBB22_1177:
	s_or_saveexec_b64 s[44:45], s[44:45]
                                        ; implicit-def: $sgpr15
	s_xor_b64 exec, exec, s[44:45]
	s_cbranch_execz .LBB22_1072
.LBB22_1178:
	s_mov_b32 s15, 0x46000000
	v_add_f32_e64 v9, |v8|, s15
	v_and_b32_e32 v9, 0xff, v9
	v_cmp_ne_u32_e32 vcc, 0, v9
	s_andn2_b64 s[42:43], s[42:43], exec
	s_and_b64 s[46:47], vcc, exec
	s_mov_b32 s15, 0
	s_or_b64 s[42:43], s[42:43], s[46:47]
	s_or_b64 exec, exec, s[44:45]
	v_mov_b32_e32 v10, s15
	s_and_saveexec_b64 s[44:45], s[42:43]
	s_cbranch_execnz .LBB22_1073
	s_branch .LBB22_1074
.LBB22_1179:
	s_mov_b64 s[42:43], -1
.LBB22_1180:
                                        ; implicit-def: $vgpr6
.LBB22_1181:
	s_and_b64 vcc, exec, s[48:49]
	s_cbranch_vccz .LBB22_1185
; %bb.1182:
	v_cmp_eq_u16_e32 vcc, 44, v7
	s_cbranch_vccz .LBB22_1184
; %bb.1183:
	global_load_ubyte v5, v[0:1], off
	s_movk_i32 s15, 0xff
	v_mov_b32_e32 v8, 0x7e00
	s_mov_b64 s[42:43], 0
	s_mov_b64 s[46:47], -1
	s_waitcnt vmcnt(0)
	v_lshlrev_b32_e32 v6, 23, v5
	v_cvt_f16_f32_e32 v6, v6
	v_cmp_ne_u32_e32 vcc, s15, v5
	v_cndmask_b32_e32 v6, v8, v6, vcc
	v_cmp_ne_u32_e32 vcc, 0, v5
	v_cndmask_b32_e32 v6, 0, v6, vcc
	s_branch .LBB22_1185
.LBB22_1184:
	s_mov_b64 s[42:43], -1
                                        ; implicit-def: $vgpr6
.LBB22_1185:
	s_mov_b64 s[48:49], 0
.LBB22_1186:
	s_and_b64 vcc, exec, s[48:49]
	s_cbranch_vccz .LBB22_1190
; %bb.1187:
	v_cmp_eq_u16_e32 vcc, 29, v7
	s_cbranch_vccz .LBB22_1189
; %bb.1188:
	global_load_dwordx2 v[8:9], v[0:1], off
	s_mov_b64 s[42:43], 0
	s_mov_b64 s[46:47], -1
	s_mov_b64 s[48:49], 0
	s_waitcnt vmcnt(0)
	v_ffbh_u32_e32 v5, v9
	v_min_u32_e32 v5, 32, v5
	v_lshlrev_b64 v[8:9], v5, v[8:9]
	v_min_u32_e32 v6, 1, v8
	v_or_b32_e32 v6, v9, v6
	v_cvt_f32_u32_e32 v6, v6
	v_sub_u32_e32 v5, 32, v5
	v_ldexp_f32 v5, v6, v5
	v_cvt_f16_f32_e32 v6, v5
	s_branch .LBB22_1191
.LBB22_1189:
	s_mov_b64 s[42:43], -1
                                        ; implicit-def: $vgpr6
.LBB22_1190:
	s_mov_b64 s[48:49], 0
.LBB22_1191:
	s_and_b64 vcc, exec, s[48:49]
	s_cbranch_vccz .LBB22_1209
; %bb.1192:
	v_cmp_gt_i16_e32 vcc, 27, v7
	s_cbranch_vccnz .LBB22_1195
; %bb.1193:
	v_cmp_lt_i16_e32 vcc, 27, v7
	s_cbranch_vccz .LBB22_1196
; %bb.1194:
	global_load_dword v5, v[0:1], off
	s_mov_b64 s[46:47], 0
	s_waitcnt vmcnt(0)
	v_cvt_f32_u32_e32 v5, v5
	v_cvt_f16_f32_e32 v6, v5
	s_branch .LBB22_1197
.LBB22_1195:
	s_mov_b64 s[46:47], -1
                                        ; implicit-def: $vgpr6
	s_branch .LBB22_1200
.LBB22_1196:
	s_mov_b64 s[46:47], -1
                                        ; implicit-def: $vgpr6
.LBB22_1197:
	s_andn2_b64 vcc, exec, s[46:47]
	s_cbranch_vccnz .LBB22_1199
; %bb.1198:
	global_load_ushort v5, v[0:1], off
	s_waitcnt vmcnt(0)
	v_cvt_f16_u16_e32 v6, v5
.LBB22_1199:
	s_mov_b64 s[46:47], 0
.LBB22_1200:
	s_andn2_b64 vcc, exec, s[46:47]
	s_cbranch_vccnz .LBB22_1208
; %bb.1201:
	global_load_ubyte v5, v[0:1], off
	s_movk_i32 s15, 0x7f
	s_mov_b64 s[46:47], 0
	s_waitcnt vmcnt(0)
	v_cmp_lt_i16_e32 vcc, s15, v5
                                        ; implicit-def: $sgpr15
	s_and_saveexec_b64 s[48:49], vcc
	s_xor_b64 s[48:49], exec, s[48:49]
	s_cbranch_execz .LBB22_1222
; %bb.1202:
	s_movk_i32 s15, 0x80
	v_cmp_eq_u16_e32 vcc, s15, v5
	s_mov_b64 s[46:47], -1
                                        ; implicit-def: $sgpr15
	s_and_saveexec_b64 s[50:51], vcc
; %bb.1203:
	s_movk_i32 s15, 0x7e00
	s_xor_b64 s[46:47], exec, -1
; %bb.1204:
	s_or_b64 exec, exec, s[50:51]
	s_and_b64 s[46:47], s[46:47], exec
	s_or_saveexec_b64 s[48:49], s[48:49]
	v_mov_b32_e32 v6, s15
	s_xor_b64 exec, exec, s[48:49]
	s_cbranch_execnz .LBB22_1223
.LBB22_1205:
	s_or_b64 exec, exec, s[48:49]
	s_and_saveexec_b64 s[48:49], s[46:47]
	s_cbranch_execz .LBB22_1207
.LBB22_1206:
	v_lshlrev_b32_e32 v6, 24, v5
	v_and_b32_e32 v5, 0xffff, v5
	v_and_b32_e32 v8, 7, v5
	v_ffbh_u32_e32 v10, v8
	v_min_u32_e32 v10, 32, v10
	v_subrev_u32_e32 v11, 28, v10
	v_bfe_u32 v9, v5, 3, 4
	v_lshlrev_b32_e32 v5, v11, v5
	v_sub_u32_e32 v10, 29, v10
	v_and_b32_e32 v5, 7, v5
	v_cmp_eq_u32_e32 vcc, 0, v9
	v_cndmask_b32_e32 v9, v9, v10, vcc
	v_cndmask_b32_e32 v5, v8, v5, vcc
	v_mov_b32_e32 v8, 0x3b800000
	v_lshlrev_b32_e32 v5, 20, v5
	v_and_b32_e32 v6, 0x80000000, v6
	v_lshl_add_u32 v8, v9, 23, v8
	v_or3_b32 v5, v6, v8, v5
	v_cvt_f16_f32_e32 v6, v5
.LBB22_1207:
	s_or_b64 exec, exec, s[48:49]
.LBB22_1208:
	s_mov_b64 s[46:47], -1
.LBB22_1209:
	s_mov_b64 s[48:49], 0
.LBB22_1210:
	s_and_b64 vcc, exec, s[48:49]
	s_cbranch_vccz .LBB22_1243
; %bb.1211:
	v_cmp_lt_i16_e32 vcc, 22, v7
	s_cbranch_vccz .LBB22_1221
; %bb.1212:
	v_cmp_gt_i16_e32 vcc, 24, v7
	s_cbranch_vccnz .LBB22_1224
; %bb.1213:
	v_cmp_lt_i16_e32 vcc, 24, v7
	s_cbranch_vccz .LBB22_1225
; %bb.1214:
	global_load_ubyte v5, v[0:1], off
	s_movk_i32 s15, 0x7f
	s_waitcnt vmcnt(0)
	v_cmp_lt_i16_e32 vcc, s15, v5
                                        ; implicit-def: $sgpr15
	s_and_saveexec_b64 s[46:47], vcc
	s_xor_b64 s[46:47], exec, s[46:47]
	s_cbranch_execz .LBB22_1237
; %bb.1215:
	s_movk_i32 s15, 0x80
	v_cmp_eq_u16_e32 vcc, s15, v5
	s_mov_b64 s[44:45], -1
                                        ; implicit-def: $sgpr15
	s_and_saveexec_b64 s[48:49], vcc
; %bb.1216:
	s_movk_i32 s15, 0x7e00
	s_xor_b64 s[44:45], exec, -1
; %bb.1217:
	s_or_b64 exec, exec, s[48:49]
	s_and_b64 s[44:45], s[44:45], exec
	s_or_saveexec_b64 s[46:47], s[46:47]
	v_mov_b32_e32 v6, s15
	s_xor_b64 exec, exec, s[46:47]
	s_cbranch_execnz .LBB22_1238
.LBB22_1218:
	s_or_b64 exec, exec, s[46:47]
	s_and_saveexec_b64 s[46:47], s[44:45]
	s_cbranch_execz .LBB22_1220
.LBB22_1219:
	v_lshlrev_b32_e32 v6, 24, v5
	v_and_b32_e32 v5, 0xffff, v5
	v_and_b32_e32 v8, 3, v5
	v_ffbh_u32_e32 v10, v8
	v_min_u32_e32 v10, 32, v10
	v_subrev_u32_e32 v11, 29, v10
	v_bfe_u32 v9, v5, 2, 5
	v_lshlrev_b32_e32 v5, v11, v5
	v_sub_u32_e32 v10, 30, v10
	v_and_b32_e32 v5, 3, v5
	v_cmp_eq_u32_e32 vcc, 0, v9
	v_cndmask_b32_e32 v9, v9, v10, vcc
	v_cndmask_b32_e32 v5, v8, v5, vcc
	v_mov_b32_e32 v8, 0x37800000
	v_lshlrev_b32_e32 v5, 21, v5
	v_and_b32_e32 v6, 0x80000000, v6
	v_lshl_add_u32 v8, v9, 23, v8
	v_or3_b32 v5, v6, v8, v5
	v_cvt_f16_f32_e32 v6, v5
.LBB22_1220:
	s_or_b64 exec, exec, s[46:47]
	s_mov_b64 s[44:45], 0
	s_branch .LBB22_1226
.LBB22_1221:
	s_mov_b64 s[44:45], -1
                                        ; implicit-def: $vgpr6
	s_branch .LBB22_1232
.LBB22_1222:
	s_or_saveexec_b64 s[48:49], s[48:49]
	v_mov_b32_e32 v6, s15
	s_xor_b64 exec, exec, s[48:49]
	s_cbranch_execz .LBB22_1205
.LBB22_1223:
	v_cmp_ne_u16_e32 vcc, 0, v5
	s_andn2_b64 s[46:47], s[46:47], exec
	s_and_b64 s[50:51], vcc, exec
	s_or_b64 s[46:47], s[46:47], s[50:51]
	v_mov_b32_e32 v6, v5
	s_or_b64 exec, exec, s[48:49]
	s_and_saveexec_b64 s[48:49], s[46:47]
	s_cbranch_execnz .LBB22_1206
	s_branch .LBB22_1207
.LBB22_1224:
	s_mov_b64 s[44:45], -1
                                        ; implicit-def: $vgpr6
	s_branch .LBB22_1229
.LBB22_1225:
	s_mov_b64 s[44:45], -1
                                        ; implicit-def: $vgpr6
.LBB22_1226:
	s_and_b64 vcc, exec, s[44:45]
	s_cbranch_vccz .LBB22_1228
; %bb.1227:
	global_load_ubyte v5, v[0:1], off
	s_mov_b32 s15, 0x7f800000
	s_waitcnt vmcnt(0)
	v_lshlrev_b32_e32 v5, 24, v5
	v_and_b32_e32 v6, 0x7f000000, v5
	v_ffbh_u32_e32 v8, v6
	v_min_u32_e32 v8, 32, v8
	v_sub_u32_e64 v8, v8, 4 clamp
	v_lshlrev_b32_e32 v10, v8, v6
	v_lshlrev_b32_e32 v8, 23, v8
	v_lshrrev_b32_e32 v10, 4, v10
	v_add_u32_e32 v9, 0x1000000, v6
	v_sub_u32_e32 v8, v10, v8
	v_ashrrev_i32_e32 v9, 8, v9
	v_add_u32_e32 v8, 0x3c000000, v8
	v_and_or_b32 v8, v9, s15, v8
	v_cmp_ne_u32_e32 vcc, 0, v6
	v_cndmask_b32_e32 v6, 0, v8, vcc
	s_brev_b32 s15, 1
	v_and_or_b32 v5, v5, s15, v6
	v_cvt_f16_f32_e32 v6, v5
.LBB22_1228:
	s_mov_b64 s[44:45], 0
.LBB22_1229:
	s_andn2_b64 vcc, exec, s[44:45]
	s_cbranch_vccnz .LBB22_1231
; %bb.1230:
	global_load_ubyte v5, v[0:1], off
	s_movk_i32 s15, 0x7f00
	s_brev_b32 s33, 16
	s_waitcnt vmcnt(0)
	v_lshlrev_b16_e32 v6, 8, v5
	v_lshlrev_b32_e32 v5, 25, v5
	v_lshrrev_b32_e32 v8, 4, v5
	v_and_or_b32 v9, v6, s15, 0.5
	v_or_b32_e32 v8, 0x70000000, v8
	v_add_f32_e32 v9, -0.5, v9
	v_mul_f32_e32 v8, 0x7800000, v8
	v_cmp_gt_u32_e32 vcc, s33, v5
	v_bfe_i32 v6, v6, 0, 16
	v_cndmask_b32_e32 v5, v8, v9, vcc
	s_brev_b32 s15, 1
	v_and_or_b32 v5, v6, s15, v5
	v_cvt_f16_f32_e32 v6, v5
.LBB22_1231:
	s_mov_b64 s[44:45], 0
	s_mov_b64 s[46:47], -1
.LBB22_1232:
	s_andn2_b64 vcc, exec, s[44:45]
	s_mov_b64 s[44:45], 0
	s_cbranch_vccnz .LBB22_1243
; %bb.1233:
	v_cmp_lt_i16_e32 vcc, 14, v7
	s_cbranch_vccz .LBB22_1236
; %bb.1234:
	v_cmp_eq_u16_e32 vcc, 15, v7
	s_cbranch_vccz .LBB22_1239
; %bb.1235:
	global_load_ushort v5, v[0:1], off
	s_mov_b64 s[42:43], 0
	s_mov_b64 s[46:47], -1
	s_waitcnt vmcnt(0)
	v_lshlrev_b32_e32 v5, 16, v5
	v_cvt_f16_f32_e32 v6, v5
	s_branch .LBB22_1240
.LBB22_1236:
	s_mov_b64 s[48:49], -1
                                        ; implicit-def: $vgpr6
	s_branch .LBB22_1241
.LBB22_1237:
	s_or_saveexec_b64 s[46:47], s[46:47]
	v_mov_b32_e32 v6, s15
	s_xor_b64 exec, exec, s[46:47]
	s_cbranch_execz .LBB22_1218
.LBB22_1238:
	v_cmp_ne_u16_e32 vcc, 0, v5
	s_andn2_b64 s[44:45], s[44:45], exec
	s_and_b64 s[48:49], vcc, exec
	s_or_b64 s[44:45], s[44:45], s[48:49]
	v_mov_b32_e32 v6, v5
	s_or_b64 exec, exec, s[46:47]
	s_and_saveexec_b64 s[46:47], s[44:45]
	s_cbranch_execnz .LBB22_1219
	s_branch .LBB22_1220
.LBB22_1239:
	s_mov_b64 s[42:43], -1
                                        ; implicit-def: $vgpr6
.LBB22_1240:
	s_mov_b64 s[48:49], 0
.LBB22_1241:
	s_and_b64 vcc, exec, s[48:49]
	s_cbranch_vccz .LBB22_1243
; %bb.1242:
	v_cmp_ne_u16_e32 vcc, 11, v7
	s_andn2_b64 s[42:43], s[42:43], exec
	s_and_b64 s[48:49], vcc, exec
	s_mov_b64 s[44:45], -1
	s_or_b64 s[42:43], s[42:43], s[48:49]
                                        ; implicit-def: $vgpr6
.LBB22_1243:
	s_mov_b64 s[48:49], 0
.LBB22_1244:
	s_and_b64 s[52:53], s[46:47], exec
	s_and_b64 s[46:47], s[44:45], exec
	s_andn2_b64 s[44:45], s[0:1], exec
	s_and_b64 s[42:43], s[42:43], exec
	s_and_b64 s[50:51], s[48:49], exec
	s_or_b64 s[48:49], s[44:45], s[42:43]
.LBB22_1245:
	s_or_b64 exec, exec, s[36:37]
	s_and_b64 s[42:43], s[46:47], exec
	s_andn2_b64 s[0:1], s[0:1], exec
	s_and_b64 s[46:47], s[48:49], exec
	s_and_b64 s[44:45], s[52:53], exec
	;; [unrolled: 1-line block ×3, first 2 shown]
	s_or_b64 s[0:1], s[0:1], s[46:47]
.LBB22_1246:
	s_or_b64 exec, exec, s[34:35]
	s_andn2_b64 s[28:29], s[28:29], exec
	s_and_b64 s[34:35], s[40:41], exec
	s_or_b64 s[28:29], s[28:29], s[34:35]
	s_andn2_b64 s[26:27], s[26:27], exec
	s_and_b64 s[34:35], s[38:39], exec
	s_andn2_b64 s[24:25], s[24:25], exec
	s_and_b64 s[0:1], s[0:1], exec
	s_or_b64 s[26:27], s[26:27], s[34:35]
	s_and_b64 s[38:39], s[44:45], exec
	s_and_b64 s[36:37], s[36:37], exec
	;; [unrolled: 1-line block ×3, first 2 shown]
	s_or_b64 s[24:25], s[24:25], s[0:1]
.LBB22_1247:
	s_or_b64 exec, exec, s[30:31]
	s_andn2_b64 s[0:1], s[6:7], exec
	s_and_b64 s[6:7], s[28:29], exec
	s_or_b64 s[6:7], s[0:1], s[6:7]
	s_andn2_b64 s[0:1], s[18:19], exec
	s_and_b64 s[18:19], s[26:27], exec
	s_or_b64 s[18:19], s[0:1], s[18:19]
	s_andn2_b64 s[0:1], s[20:21], exec
	s_and_b64 s[20:21], s[24:25], exec
	s_and_b64 s[28:29], s[38:39], exec
	;; [unrolled: 1-line block ×4, first 2 shown]
	s_or_b64 s[20:21], s[0:1], s[20:21]
	s_or_b64 exec, exec, s[22:23]
	s_mov_b64 s[22:23], 0
	s_and_saveexec_b64 s[0:1], s[20:21]
	s_cbranch_execz .LBB22_393
.LBB22_1248:
	s_mov_b64 s[22:23], exec
	s_andn2_b64 s[26:27], s[26:27], exec
	s_trap 2
                                        ; implicit-def: $vgpr6
	s_or_b64 exec, exec, s[0:1]
	s_and_saveexec_b64 s[0:1], s[26:27]
	s_xor_b64 s[0:1], exec, s[0:1]
	s_cbranch_execnz .LBB22_394
.LBB22_1249:
	s_or_b64 exec, exec, s[0:1]
	s_and_saveexec_b64 s[0:1], s[30:31]
	s_cbranch_execz .LBB22_1295
.LBB22_1250:
	v_cmp_gt_i16_e32 vcc, 5, v7
	s_cbranch_vccnz .LBB22_1255
; %bb.1251:
	v_cmp_gt_i16_e32 vcc, 8, v7
	s_cbranch_vccnz .LBB22_1256
; %bb.1252:
	;; [unrolled: 3-line block ×3, first 2 shown]
	v_cmp_lt_i16_e32 vcc, 9, v7
	s_cbranch_vccz .LBB22_1258
; %bb.1254:
	global_load_dwordx2 v[8:9], v[0:1], off
	s_mov_b64 s[20:21], 0
	s_waitcnt vmcnt(0)
	v_cvt_f32_f64_e32 v5, v[8:9]
	v_cvt_f16_f32_e32 v6, v5
	s_branch .LBB22_1259
.LBB22_1255:
                                        ; implicit-def: $vgpr6
	s_branch .LBB22_1276
.LBB22_1256:
                                        ; implicit-def: $vgpr6
	s_branch .LBB22_1265
.LBB22_1257:
	s_mov_b64 s[20:21], -1
                                        ; implicit-def: $vgpr6
	s_branch .LBB22_1262
.LBB22_1258:
	s_mov_b64 s[20:21], -1
                                        ; implicit-def: $vgpr6
.LBB22_1259:
	s_andn2_b64 vcc, exec, s[20:21]
	s_cbranch_vccnz .LBB22_1261
; %bb.1260:
	global_load_dword v5, v[0:1], off
	s_waitcnt vmcnt(0)
	v_cvt_f16_f32_e32 v6, v5
.LBB22_1261:
	s_mov_b64 s[20:21], 0
.LBB22_1262:
	s_andn2_b64 vcc, exec, s[20:21]
	s_cbranch_vccnz .LBB22_1264
; %bb.1263:
	global_load_dword v6, v[0:1], off
.LBB22_1264:
	s_cbranch_execnz .LBB22_1275
.LBB22_1265:
	v_cmp_gt_i16_e32 vcc, 6, v7
	s_cbranch_vccnz .LBB22_1268
; %bb.1266:
	v_cmp_lt_i16_e32 vcc, 6, v7
	s_cbranch_vccz .LBB22_1269
; %bb.1267:
	global_load_dwordx2 v[8:9], v[0:1], off
	s_mov_b64 s[20:21], 0
	s_waitcnt vmcnt(0)
	v_cvt_f32_f64_e32 v5, v[8:9]
	v_cvt_f16_f32_e32 v6, v5
	s_branch .LBB22_1270
.LBB22_1268:
	s_mov_b64 s[20:21], -1
                                        ; implicit-def: $vgpr6
	s_branch .LBB22_1273
.LBB22_1269:
	s_mov_b64 s[20:21], -1
                                        ; implicit-def: $vgpr6
.LBB22_1270:
	s_andn2_b64 vcc, exec, s[20:21]
	s_cbranch_vccnz .LBB22_1272
; %bb.1271:
	global_load_dword v5, v[0:1], off
	s_waitcnt vmcnt(0)
	v_cvt_f16_f32_e32 v6, v5
.LBB22_1272:
	s_mov_b64 s[20:21], 0
.LBB22_1273:
	s_andn2_b64 vcc, exec, s[20:21]
	s_cbranch_vccnz .LBB22_1275
; %bb.1274:
	global_load_ushort v6, v[0:1], off
.LBB22_1275:
	s_cbranch_execnz .LBB22_1294
.LBB22_1276:
	v_cmp_gt_i16_e32 vcc, 2, v7
	s_cbranch_vccnz .LBB22_1280
; %bb.1277:
	v_cmp_gt_i16_e32 vcc, 3, v7
	s_cbranch_vccnz .LBB22_1281
; %bb.1278:
	v_cmp_lt_i16_e32 vcc, 3, v7
	s_cbranch_vccz .LBB22_1282
; %bb.1279:
	global_load_dwordx2 v[8:9], v[0:1], off
	s_mov_b64 s[20:21], 0
	s_waitcnt vmcnt(0)
	v_xor_b32_e32 v6, v8, v9
	v_ffbh_i32_e32 v5, v9
	v_ashrrev_i32_e32 v6, 31, v6
	v_add_u32_e32 v5, -1, v5
	v_add_u32_e32 v6, 32, v6
	v_min_u32_e32 v5, v5, v6
	v_lshlrev_b64 v[8:9], v5, v[8:9]
	v_min_u32_e32 v6, 1, v8
	v_or_b32_e32 v6, v9, v6
	v_cvt_f32_i32_e32 v6, v6
	v_sub_u32_e32 v5, 32, v5
	v_ldexp_f32 v5, v6, v5
	v_cvt_f16_f32_e32 v6, v5
	s_branch .LBB22_1283
.LBB22_1280:
                                        ; implicit-def: $vgpr6
	s_branch .LBB22_1289
.LBB22_1281:
	s_mov_b64 s[20:21], -1
                                        ; implicit-def: $vgpr6
	s_branch .LBB22_1286
.LBB22_1282:
	s_mov_b64 s[20:21], -1
                                        ; implicit-def: $vgpr6
.LBB22_1283:
	s_andn2_b64 vcc, exec, s[20:21]
	s_cbranch_vccnz .LBB22_1285
; %bb.1284:
	global_load_dword v5, v[0:1], off
	s_waitcnt vmcnt(0)
	v_cvt_f32_i32_e32 v5, v5
	v_cvt_f16_f32_e32 v6, v5
.LBB22_1285:
	s_mov_b64 s[20:21], 0
.LBB22_1286:
	s_andn2_b64 vcc, exec, s[20:21]
	s_cbranch_vccnz .LBB22_1288
; %bb.1287:
	global_load_ushort v5, v[0:1], off
	s_waitcnt vmcnt(0)
	v_cvt_f16_i16_e32 v6, v5
.LBB22_1288:
	s_cbranch_execnz .LBB22_1294
.LBB22_1289:
	v_cmp_lt_i16_e32 vcc, 0, v7
	s_cbranch_vccz .LBB22_1291
; %bb.1290:
	global_load_sbyte v5, v[0:1], off
	s_mov_b64 s[20:21], 0
	s_waitcnt vmcnt(0)
	v_cvt_f16_i16_e32 v6, v5
	s_branch .LBB22_1292
.LBB22_1291:
	s_mov_b64 s[20:21], -1
                                        ; implicit-def: $vgpr6
.LBB22_1292:
	s_andn2_b64 vcc, exec, s[20:21]
	s_cbranch_vccnz .LBB22_1294
; %bb.1293:
	global_load_ubyte v0, v[0:1], off
	s_waitcnt vmcnt(0)
	v_cvt_f16_u16_e32 v6, v0
.LBB22_1294:
	s_or_b64 s[28:29], s[28:29], exec
.LBB22_1295:
	s_or_b64 exec, exec, s[0:1]
	s_mov_b64 s[24:25], 0
	s_mov_b64 s[30:31], 0
	;; [unrolled: 1-line block ×3, first 2 shown]
                                        ; implicit-def: $vgpr5
                                        ; implicit-def: $vgpr0_vgpr1
                                        ; implicit-def: $vgpr8
	s_and_saveexec_b64 s[0:1], s[28:29]
	s_cbranch_execz .LBB22_1303
; %bb.1296:
	v_mul_lo_u32 v0, v3, s14
	v_ashrrev_i32_e32 v1, 31, v0
	v_mov_b32_e32 v5, s3
	v_add_co_u32_e32 v0, vcc, s2, v0
	v_addc_co_u32_e32 v1, vcc, v5, v1, vcc
	s_waitcnt vmcnt(0)
	v_and_b32_e32 v5, 0xff, v4
	v_cmp_gt_i16_e32 vcc, 11, v5
	s_cbranch_vccnz .LBB22_1306
; %bb.1297:
	v_cmp_lt_i16_e32 vcc, 25, v5
	s_cbranch_vccz .LBB22_1307
; %bb.1298:
	v_cmp_lt_i16_e32 vcc, 28, v5
	s_cbranch_vccz .LBB22_1308
; %bb.1299:
	v_cmp_lt_i16_e32 vcc, 43, v5
	s_cbranch_vccz .LBB22_1309
; %bb.1300:
	v_cmp_lt_i16_e32 vcc, 45, v5
	s_cbranch_vccz .LBB22_1310
; %bb.1301:
	v_cmp_eq_u16_e32 vcc, 46, v5
	s_mov_b64 s[28:29], 0
	s_cbranch_vccz .LBB22_1311
; %bb.1302:
	global_load_dword v4, v[0:1], off
	s_mov_b64 s[20:21], 0
	s_mov_b64 s[26:27], -1
	s_waitcnt vmcnt(0)
	v_lshlrev_b32_e32 v4, 16, v4
	v_cvt_f16_f32_e32 v8, v4
	s_branch .LBB22_1313
.LBB22_1303:
	s_or_b64 exec, exec, s[0:1]
	s_and_saveexec_b64 s[0:1], s[18:19]
	s_cbranch_execnz .LBB22_1376
.LBB22_1304:
	s_or_b64 exec, exec, s[0:1]
	s_and_saveexec_b64 s[0:1], s[24:25]
	s_xor_b64 s[0:1], exec, s[0:1]
	s_cbranch_execz .LBB22_1377
.LBB22_1305:
	global_load_ubyte v4, v[0:1], off
	v_mov_b32_e32 v7, 0x3c00
	s_or_b64 s[26:27], s[26:27], exec
	s_waitcnt vmcnt(0)
	v_cmp_ne_u16_e32 vcc, 0, v4
	v_cndmask_b32_e32 v8, 0, v7, vcc
	s_or_b64 exec, exec, s[0:1]
	s_and_saveexec_b64 s[0:1], s[30:31]
	s_cbranch_execz .LBB22_1423
	s_branch .LBB22_1378
.LBB22_1306:
	s_mov_b64 s[28:29], -1
                                        ; implicit-def: $vgpr8
	s_mov_b64 s[20:21], s[18:19]
	s_branch .LBB22_1375
.LBB22_1307:
	s_mov_b64 s[20:21], s[18:19]
                                        ; implicit-def: $vgpr8
	s_cbranch_execnz .LBB22_1342
	s_branch .LBB22_1374
.LBB22_1308:
	s_mov_b64 s[28:29], -1
	s_mov_b64 s[20:21], s[18:19]
                                        ; implicit-def: $vgpr8
	s_branch .LBB22_1323
.LBB22_1309:
	s_mov_b64 s[28:29], -1
	s_mov_b64 s[20:21], s[18:19]
                                        ; implicit-def: $vgpr8
	s_branch .LBB22_1318
.LBB22_1310:
	s_mov_b64 s[28:29], -1
	s_mov_b64 s[20:21], s[18:19]
	s_branch .LBB22_1312
.LBB22_1311:
	s_mov_b64 s[20:21], -1
.LBB22_1312:
                                        ; implicit-def: $vgpr8
.LBB22_1313:
	s_and_b64 vcc, exec, s[28:29]
	s_cbranch_vccz .LBB22_1317
; %bb.1314:
	v_cmp_eq_u16_e32 vcc, 44, v5
	s_cbranch_vccz .LBB22_1316
; %bb.1315:
	global_load_ubyte v4, v[0:1], off
	s_movk_i32 s15, 0xff
	v_mov_b32_e32 v8, 0x7e00
	s_mov_b64 s[20:21], 0
	s_mov_b64 s[26:27], -1
	s_waitcnt vmcnt(0)
	v_lshlrev_b32_e32 v7, 23, v4
	v_cvt_f16_f32_e32 v7, v7
	v_cmp_ne_u32_e32 vcc, s15, v4
	v_cndmask_b32_e32 v7, v8, v7, vcc
	v_cmp_ne_u32_e32 vcc, 0, v4
	v_cndmask_b32_e32 v8, 0, v7, vcc
	s_branch .LBB22_1317
.LBB22_1316:
	s_mov_b64 s[20:21], -1
                                        ; implicit-def: $vgpr8
.LBB22_1317:
	s_mov_b64 s[28:29], 0
.LBB22_1318:
	s_and_b64 vcc, exec, s[28:29]
	s_cbranch_vccz .LBB22_1322
; %bb.1319:
	v_cmp_eq_u16_e32 vcc, 29, v5
	s_cbranch_vccz .LBB22_1321
; %bb.1320:
	global_load_dwordx2 v[8:9], v[0:1], off
	s_mov_b64 s[20:21], 0
	s_mov_b64 s[26:27], -1
	s_mov_b64 s[28:29], 0
	s_waitcnt vmcnt(0)
	v_ffbh_u32_e32 v4, v9
	v_min_u32_e32 v4, 32, v4
	v_lshlrev_b64 v[8:9], v4, v[8:9]
	v_min_u32_e32 v7, 1, v8
	v_or_b32_e32 v7, v9, v7
	v_cvt_f32_u32_e32 v7, v7
	v_sub_u32_e32 v4, 32, v4
	v_ldexp_f32 v4, v7, v4
	v_cvt_f16_f32_e32 v8, v4
	s_branch .LBB22_1323
.LBB22_1321:
	s_mov_b64 s[20:21], -1
                                        ; implicit-def: $vgpr8
.LBB22_1322:
	s_mov_b64 s[28:29], 0
.LBB22_1323:
	s_and_b64 vcc, exec, s[28:29]
	s_cbranch_vccz .LBB22_1341
; %bb.1324:
	v_cmp_gt_i16_e32 vcc, 27, v5
	s_cbranch_vccnz .LBB22_1327
; %bb.1325:
	v_cmp_lt_i16_e32 vcc, 27, v5
	s_cbranch_vccz .LBB22_1328
; %bb.1326:
	global_load_dword v4, v[0:1], off
	s_mov_b64 s[26:27], 0
	s_waitcnt vmcnt(0)
	v_cvt_f32_u32_e32 v4, v4
	v_cvt_f16_f32_e32 v8, v4
	s_branch .LBB22_1329
.LBB22_1327:
	s_mov_b64 s[26:27], -1
                                        ; implicit-def: $vgpr8
	s_branch .LBB22_1332
.LBB22_1328:
	s_mov_b64 s[26:27], -1
                                        ; implicit-def: $vgpr8
.LBB22_1329:
	s_andn2_b64 vcc, exec, s[26:27]
	s_cbranch_vccnz .LBB22_1331
; %bb.1330:
	global_load_ushort v4, v[0:1], off
	s_waitcnt vmcnt(0)
	v_cvt_f16_u16_e32 v8, v4
.LBB22_1331:
	s_mov_b64 s[26:27], 0
.LBB22_1332:
	s_andn2_b64 vcc, exec, s[26:27]
	s_cbranch_vccnz .LBB22_1340
; %bb.1333:
	global_load_ubyte v4, v[0:1], off
	s_movk_i32 s15, 0x7f
	s_mov_b64 s[26:27], 0
	s_waitcnt vmcnt(0)
	v_cmp_lt_i16_e32 vcc, s15, v4
                                        ; implicit-def: $sgpr15
	s_and_saveexec_b64 s[28:29], vcc
	s_xor_b64 s[28:29], exec, s[28:29]
	s_cbranch_execz .LBB22_1353
; %bb.1334:
	s_movk_i32 s15, 0x80
	v_cmp_eq_u16_e32 vcc, s15, v4
	s_mov_b64 s[26:27], -1
                                        ; implicit-def: $sgpr15
	s_and_saveexec_b64 s[30:31], vcc
; %bb.1335:
	s_movk_i32 s15, 0x7e00
	s_xor_b64 s[26:27], exec, -1
; %bb.1336:
	s_or_b64 exec, exec, s[30:31]
	s_and_b64 s[26:27], s[26:27], exec
	s_or_saveexec_b64 s[28:29], s[28:29]
	v_mov_b32_e32 v8, s15
	s_xor_b64 exec, exec, s[28:29]
	s_cbranch_execnz .LBB22_1354
.LBB22_1337:
	s_or_b64 exec, exec, s[28:29]
	s_and_saveexec_b64 s[28:29], s[26:27]
	s_cbranch_execz .LBB22_1339
.LBB22_1338:
	v_lshlrev_b32_e32 v7, 24, v4
	v_and_b32_e32 v4, 0xffff, v4
	v_and_b32_e32 v8, 7, v4
	v_ffbh_u32_e32 v10, v8
	v_min_u32_e32 v10, 32, v10
	v_subrev_u32_e32 v11, 28, v10
	v_bfe_u32 v9, v4, 3, 4
	v_lshlrev_b32_e32 v4, v11, v4
	v_sub_u32_e32 v10, 29, v10
	v_and_b32_e32 v4, 7, v4
	v_cmp_eq_u32_e32 vcc, 0, v9
	v_cndmask_b32_e32 v9, v9, v10, vcc
	v_cndmask_b32_e32 v4, v8, v4, vcc
	v_mov_b32_e32 v8, 0x3b800000
	v_lshlrev_b32_e32 v4, 20, v4
	v_and_b32_e32 v7, 0x80000000, v7
	v_lshl_add_u32 v8, v9, 23, v8
	v_or3_b32 v4, v7, v8, v4
	v_cvt_f16_f32_e32 v8, v4
.LBB22_1339:
	s_or_b64 exec, exec, s[28:29]
.LBB22_1340:
	s_mov_b64 s[26:27], -1
.LBB22_1341:
	s_branch .LBB22_1374
.LBB22_1342:
	v_cmp_lt_i16_e32 vcc, 22, v5
	s_cbranch_vccz .LBB22_1352
; %bb.1343:
	v_cmp_gt_i16_e32 vcc, 24, v5
	s_cbranch_vccnz .LBB22_1355
; %bb.1344:
	v_cmp_lt_i16_e32 vcc, 24, v5
	s_cbranch_vccz .LBB22_1356
; %bb.1345:
	global_load_ubyte v4, v[0:1], off
	s_movk_i32 s15, 0x7f
	s_waitcnt vmcnt(0)
	v_cmp_lt_i16_e32 vcc, s15, v4
                                        ; implicit-def: $sgpr15
	s_and_saveexec_b64 s[26:27], vcc
	s_xor_b64 s[26:27], exec, s[26:27]
	s_cbranch_execz .LBB22_1368
; %bb.1346:
	s_movk_i32 s15, 0x80
	v_cmp_eq_u16_e32 vcc, s15, v4
	s_mov_b64 s[24:25], -1
                                        ; implicit-def: $sgpr15
	s_and_saveexec_b64 s[28:29], vcc
; %bb.1347:
	s_movk_i32 s15, 0x7e00
	s_xor_b64 s[24:25], exec, -1
; %bb.1348:
	s_or_b64 exec, exec, s[28:29]
	s_and_b64 s[24:25], s[24:25], exec
	s_or_saveexec_b64 s[26:27], s[26:27]
	v_mov_b32_e32 v8, s15
	s_xor_b64 exec, exec, s[26:27]
	s_cbranch_execnz .LBB22_1369
.LBB22_1349:
	s_or_b64 exec, exec, s[26:27]
	s_and_saveexec_b64 s[26:27], s[24:25]
	s_cbranch_execz .LBB22_1351
.LBB22_1350:
	v_lshlrev_b32_e32 v7, 24, v4
	v_and_b32_e32 v4, 0xffff, v4
	v_and_b32_e32 v8, 3, v4
	v_ffbh_u32_e32 v10, v8
	v_min_u32_e32 v10, 32, v10
	v_subrev_u32_e32 v11, 29, v10
	v_bfe_u32 v9, v4, 2, 5
	v_lshlrev_b32_e32 v4, v11, v4
	v_sub_u32_e32 v10, 30, v10
	v_and_b32_e32 v4, 3, v4
	v_cmp_eq_u32_e32 vcc, 0, v9
	v_cndmask_b32_e32 v9, v9, v10, vcc
	v_cndmask_b32_e32 v4, v8, v4, vcc
	v_mov_b32_e32 v8, 0x37800000
	v_lshlrev_b32_e32 v4, 21, v4
	v_and_b32_e32 v7, 0x80000000, v7
	v_lshl_add_u32 v8, v9, 23, v8
	v_or3_b32 v4, v7, v8, v4
	v_cvt_f16_f32_e32 v8, v4
.LBB22_1351:
	s_or_b64 exec, exec, s[26:27]
	s_mov_b64 s[24:25], 0
	s_branch .LBB22_1357
.LBB22_1352:
	s_mov_b64 s[24:25], -1
                                        ; implicit-def: $vgpr8
	s_branch .LBB22_1363
.LBB22_1353:
	s_or_saveexec_b64 s[28:29], s[28:29]
	v_mov_b32_e32 v8, s15
	s_xor_b64 exec, exec, s[28:29]
	s_cbranch_execz .LBB22_1337
.LBB22_1354:
	v_cmp_ne_u16_e32 vcc, 0, v4
	s_andn2_b64 s[26:27], s[26:27], exec
	s_and_b64 s[30:31], vcc, exec
	s_or_b64 s[26:27], s[26:27], s[30:31]
	v_mov_b32_e32 v8, v4
	s_or_b64 exec, exec, s[28:29]
	s_and_saveexec_b64 s[28:29], s[26:27]
	s_cbranch_execnz .LBB22_1338
	s_branch .LBB22_1339
.LBB22_1355:
	s_mov_b64 s[24:25], -1
                                        ; implicit-def: $vgpr8
	s_branch .LBB22_1360
.LBB22_1356:
	s_mov_b64 s[24:25], -1
                                        ; implicit-def: $vgpr8
.LBB22_1357:
	s_and_b64 vcc, exec, s[24:25]
	s_cbranch_vccz .LBB22_1359
; %bb.1358:
	global_load_ubyte v4, v[0:1], off
	s_mov_b32 s15, 0x7f800000
	s_waitcnt vmcnt(0)
	v_lshlrev_b32_e32 v4, 24, v4
	v_and_b32_e32 v7, 0x7f000000, v4
	v_ffbh_u32_e32 v8, v7
	v_min_u32_e32 v8, 32, v8
	v_sub_u32_e64 v8, v8, 4 clamp
	v_lshlrev_b32_e32 v10, v8, v7
	v_lshlrev_b32_e32 v8, 23, v8
	v_lshrrev_b32_e32 v10, 4, v10
	v_add_u32_e32 v9, 0x1000000, v7
	v_sub_u32_e32 v8, v10, v8
	v_ashrrev_i32_e32 v9, 8, v9
	v_add_u32_e32 v8, 0x3c000000, v8
	v_and_or_b32 v8, v9, s15, v8
	v_cmp_ne_u32_e32 vcc, 0, v7
	v_cndmask_b32_e32 v7, 0, v8, vcc
	s_brev_b32 s15, 1
	v_and_or_b32 v4, v4, s15, v7
	v_cvt_f16_f32_e32 v8, v4
.LBB22_1359:
	s_mov_b64 s[24:25], 0
.LBB22_1360:
	s_andn2_b64 vcc, exec, s[24:25]
	s_cbranch_vccnz .LBB22_1362
; %bb.1361:
	global_load_ubyte v4, v[0:1], off
	s_movk_i32 s15, 0x7f00
	s_brev_b32 s24, 16
	s_waitcnt vmcnt(0)
	v_lshlrev_b16_e32 v7, 8, v4
	v_lshlrev_b32_e32 v4, 25, v4
	v_lshrrev_b32_e32 v8, 4, v4
	v_and_or_b32 v9, v7, s15, 0.5
	v_or_b32_e32 v8, 0x70000000, v8
	v_add_f32_e32 v9, -0.5, v9
	v_mul_f32_e32 v8, 0x7800000, v8
	v_cmp_gt_u32_e32 vcc, s24, v4
	v_bfe_i32 v7, v7, 0, 16
	v_cndmask_b32_e32 v4, v8, v9, vcc
	s_brev_b32 s15, 1
	v_and_or_b32 v4, v7, s15, v4
	v_cvt_f16_f32_e32 v8, v4
.LBB22_1362:
	s_mov_b64 s[24:25], 0
	s_mov_b64 s[26:27], -1
.LBB22_1363:
	s_andn2_b64 vcc, exec, s[24:25]
	s_mov_b64 s[24:25], 0
	s_cbranch_vccnz .LBB22_1374
; %bb.1364:
	v_cmp_lt_i16_e32 vcc, 14, v5
	s_cbranch_vccz .LBB22_1367
; %bb.1365:
	v_cmp_eq_u16_e32 vcc, 15, v5
	s_cbranch_vccz .LBB22_1370
; %bb.1366:
	global_load_ushort v4, v[0:1], off
	s_mov_b64 s[20:21], 0
	s_mov_b64 s[26:27], -1
	s_waitcnt vmcnt(0)
	v_lshlrev_b32_e32 v4, 16, v4
	v_cvt_f16_f32_e32 v8, v4
	s_branch .LBB22_1371
.LBB22_1367:
	s_mov_b64 s[28:29], -1
                                        ; implicit-def: $vgpr8
	s_branch .LBB22_1372
.LBB22_1368:
	s_or_saveexec_b64 s[26:27], s[26:27]
	v_mov_b32_e32 v8, s15
	s_xor_b64 exec, exec, s[26:27]
	s_cbranch_execz .LBB22_1349
.LBB22_1369:
	v_cmp_ne_u16_e32 vcc, 0, v4
	s_andn2_b64 s[24:25], s[24:25], exec
	s_and_b64 s[28:29], vcc, exec
	s_or_b64 s[24:25], s[24:25], s[28:29]
	v_mov_b32_e32 v8, v4
	s_or_b64 exec, exec, s[26:27]
	s_and_saveexec_b64 s[26:27], s[24:25]
	s_cbranch_execnz .LBB22_1350
	s_branch .LBB22_1351
.LBB22_1370:
	s_mov_b64 s[20:21], -1
                                        ; implicit-def: $vgpr8
.LBB22_1371:
	s_mov_b64 s[28:29], 0
.LBB22_1372:
	s_and_b64 vcc, exec, s[28:29]
	s_cbranch_vccz .LBB22_1374
; %bb.1373:
	v_cmp_ne_u16_e32 vcc, 11, v5
	s_andn2_b64 s[20:21], s[20:21], exec
	s_and_b64 s[28:29], vcc, exec
	s_mov_b64 s[24:25], -1
	s_or_b64 s[20:21], s[20:21], s[28:29]
                                        ; implicit-def: $vgpr8
.LBB22_1374:
	s_mov_b64 s[28:29], 0
.LBB22_1375:
	s_andn2_b64 s[18:19], s[18:19], exec
	s_and_b64 s[20:21], s[20:21], exec
	s_and_b64 s[26:27], s[26:27], exec
	;; [unrolled: 1-line block ×4, first 2 shown]
	s_or_b64 s[18:19], s[18:19], s[20:21]
	s_or_b64 exec, exec, s[0:1]
	s_and_saveexec_b64 s[0:1], s[18:19]
	s_cbranch_execz .LBB22_1304
.LBB22_1376:
	s_or_b64 s[22:23], s[22:23], exec
	s_andn2_b64 s[24:25], s[24:25], exec
	s_trap 2
                                        ; implicit-def: $vgpr8
	s_or_b64 exec, exec, s[0:1]
	s_and_saveexec_b64 s[0:1], s[24:25]
	s_xor_b64 s[0:1], exec, s[0:1]
	s_cbranch_execnz .LBB22_1305
.LBB22_1377:
	s_or_b64 exec, exec, s[0:1]
	s_and_saveexec_b64 s[0:1], s[30:31]
	s_cbranch_execz .LBB22_1423
.LBB22_1378:
	v_cmp_gt_i16_e32 vcc, 5, v5
	s_cbranch_vccnz .LBB22_1383
; %bb.1379:
	v_cmp_gt_i16_e32 vcc, 8, v5
	s_cbranch_vccnz .LBB22_1384
; %bb.1380:
	;; [unrolled: 3-line block ×3, first 2 shown]
	v_cmp_lt_i16_e32 vcc, 9, v5
	s_cbranch_vccz .LBB22_1386
; %bb.1382:
	global_load_dwordx2 v[8:9], v[0:1], off
	s_mov_b64 s[18:19], 0
	s_waitcnt vmcnt(0)
	v_cvt_f32_f64_e32 v4, v[8:9]
	v_cvt_f16_f32_e32 v8, v4
	s_branch .LBB22_1387
.LBB22_1383:
                                        ; implicit-def: $vgpr8
	s_branch .LBB22_1404
.LBB22_1384:
                                        ; implicit-def: $vgpr8
	s_branch .LBB22_1393
.LBB22_1385:
	s_mov_b64 s[18:19], -1
                                        ; implicit-def: $vgpr8
	s_branch .LBB22_1390
.LBB22_1386:
	s_mov_b64 s[18:19], -1
                                        ; implicit-def: $vgpr8
.LBB22_1387:
	s_andn2_b64 vcc, exec, s[18:19]
	s_cbranch_vccnz .LBB22_1389
; %bb.1388:
	global_load_dword v4, v[0:1], off
	s_waitcnt vmcnt(0)
	v_cvt_f16_f32_e32 v8, v4
.LBB22_1389:
	s_mov_b64 s[18:19], 0
.LBB22_1390:
	s_andn2_b64 vcc, exec, s[18:19]
	s_cbranch_vccnz .LBB22_1392
; %bb.1391:
	global_load_dword v8, v[0:1], off
.LBB22_1392:
	s_cbranch_execnz .LBB22_1403
.LBB22_1393:
	v_cmp_gt_i16_e32 vcc, 6, v5
	s_cbranch_vccnz .LBB22_1396
; %bb.1394:
	v_cmp_lt_i16_e32 vcc, 6, v5
	s_cbranch_vccz .LBB22_1397
; %bb.1395:
	global_load_dwordx2 v[8:9], v[0:1], off
	s_mov_b64 s[18:19], 0
	s_waitcnt vmcnt(0)
	v_cvt_f32_f64_e32 v4, v[8:9]
	v_cvt_f16_f32_e32 v8, v4
	s_branch .LBB22_1398
.LBB22_1396:
	s_mov_b64 s[18:19], -1
                                        ; implicit-def: $vgpr8
	s_branch .LBB22_1401
.LBB22_1397:
	s_mov_b64 s[18:19], -1
                                        ; implicit-def: $vgpr8
.LBB22_1398:
	s_andn2_b64 vcc, exec, s[18:19]
	s_cbranch_vccnz .LBB22_1400
; %bb.1399:
	global_load_dword v4, v[0:1], off
	s_waitcnt vmcnt(0)
	v_cvt_f16_f32_e32 v8, v4
.LBB22_1400:
	s_mov_b64 s[18:19], 0
.LBB22_1401:
	s_andn2_b64 vcc, exec, s[18:19]
	s_cbranch_vccnz .LBB22_1403
; %bb.1402:
	global_load_ushort v8, v[0:1], off
.LBB22_1403:
	s_cbranch_execnz .LBB22_1422
.LBB22_1404:
	v_cmp_gt_i16_e32 vcc, 2, v5
	s_cbranch_vccnz .LBB22_1408
; %bb.1405:
	v_cmp_gt_i16_e32 vcc, 3, v5
	s_cbranch_vccnz .LBB22_1409
; %bb.1406:
	v_cmp_lt_i16_e32 vcc, 3, v5
	s_cbranch_vccz .LBB22_1410
; %bb.1407:
	global_load_dwordx2 v[8:9], v[0:1], off
	s_mov_b64 s[18:19], 0
	s_waitcnt vmcnt(0)
	v_xor_b32_e32 v7, v8, v9
	v_ffbh_i32_e32 v4, v9
	v_ashrrev_i32_e32 v7, 31, v7
	v_add_u32_e32 v4, -1, v4
	v_add_u32_e32 v7, 32, v7
	v_min_u32_e32 v4, v4, v7
	v_lshlrev_b64 v[8:9], v4, v[8:9]
	v_min_u32_e32 v7, 1, v8
	v_or_b32_e32 v7, v9, v7
	v_cvt_f32_i32_e32 v7, v7
	v_sub_u32_e32 v4, 32, v4
	v_ldexp_f32 v4, v7, v4
	v_cvt_f16_f32_e32 v8, v4
	s_branch .LBB22_1411
.LBB22_1408:
                                        ; implicit-def: $vgpr8
	s_branch .LBB22_1417
.LBB22_1409:
	s_mov_b64 s[18:19], -1
                                        ; implicit-def: $vgpr8
	s_branch .LBB22_1414
.LBB22_1410:
	s_mov_b64 s[18:19], -1
                                        ; implicit-def: $vgpr8
.LBB22_1411:
	s_andn2_b64 vcc, exec, s[18:19]
	s_cbranch_vccnz .LBB22_1413
; %bb.1412:
	global_load_dword v4, v[0:1], off
	s_waitcnt vmcnt(0)
	v_cvt_f32_i32_e32 v4, v4
	v_cvt_f16_f32_e32 v8, v4
.LBB22_1413:
	s_mov_b64 s[18:19], 0
.LBB22_1414:
	s_andn2_b64 vcc, exec, s[18:19]
	s_cbranch_vccnz .LBB22_1416
; %bb.1415:
	global_load_ushort v4, v[0:1], off
	s_waitcnt vmcnt(0)
	v_cvt_f16_i16_e32 v8, v4
.LBB22_1416:
	s_cbranch_execnz .LBB22_1422
.LBB22_1417:
	v_cmp_lt_i16_e32 vcc, 0, v5
	s_cbranch_vccz .LBB22_1419
; %bb.1418:
	global_load_sbyte v4, v[0:1], off
	s_mov_b64 s[18:19], 0
	s_waitcnt vmcnt(0)
	v_cvt_f16_i16_e32 v8, v4
	s_branch .LBB22_1420
.LBB22_1419:
	s_mov_b64 s[18:19], -1
                                        ; implicit-def: $vgpr8
.LBB22_1420:
	s_andn2_b64 vcc, exec, s[18:19]
	s_cbranch_vccnz .LBB22_1422
; %bb.1421:
	global_load_ubyte v0, v[0:1], off
	s_waitcnt vmcnt(0)
	v_cvt_f16_u16_e32 v8, v0
.LBB22_1422:
	s_or_b64 s[26:27], s[26:27], exec
.LBB22_1423:
	s_or_b64 exec, exec, s[0:1]
	s_mov_b64 s[24:25], 0
	s_mov_b64 s[20:21], 0
                                        ; implicit-def: $vgpr5
                                        ; implicit-def: $vgpr0_vgpr1
                                        ; implicit-def: $vgpr4
                                        ; implicit-def: $vgpr7
	s_and_saveexec_b64 s[18:19], s[26:27]
	s_cbranch_execz .LBB22_1441
; %bb.1424:
	s_waitcnt vmcnt(0)
	v_and_b32_e32 v7, 0x7fff, v6
	v_and_b32_e32 v0, 0xffff8000, v8
	v_or_b32_e32 v4, v0, v7
	v_mul_lo_u32 v0, v3, s12
	v_ashrrev_i32_e32 v1, 31, v0
	v_mov_b32_e32 v3, s9
	v_add_co_u32_e32 v0, vcc, s8, v0
	v_addc_co_u32_e32 v1, vcc, v3, v1, vcc
	v_and_b32_e32 v5, 0xff, v2
	v_cmp_gt_i16_e32 vcc, 11, v5
	s_cbranch_vccnz .LBB22_1444
; %bb.1425:
	v_cmp_lt_i16_e32 vcc, 25, v5
	s_mov_b64 s[24:25], -1
	s_mov_b64 s[0:1], s[6:7]
	s_cbranch_vccz .LBB22_1462
; %bb.1426:
	v_cmp_lt_i16_e32 vcc, 28, v5
	s_mov_b64 s[20:21], -1
	s_mov_b64 s[0:1], s[6:7]
	s_cbranch_vccz .LBB22_1446
; %bb.1427:
	v_cmp_lt_i16_e32 vcc, 43, v5
	s_mov_b64 s[0:1], s[6:7]
	s_cbranch_vccz .LBB22_1438
; %bb.1428:
	v_cmp_lt_i16_e32 vcc, 45, v5
	s_mov_b64 s[0:1], s[6:7]
	s_cbranch_vccz .LBB22_1432
; %bb.1429:
	v_cmp_eq_u16_e32 vcc, 46, v5
	s_mov_b64 s[0:1], -1
	s_cbranch_vccz .LBB22_1431
; %bb.1430:
	v_cvt_f32_f16_e32 v2, v4
	s_movk_i32 s0, 0x7fff
	v_mov_b32_e32 v3, 0x7fc0
	v_cmp_o_f16_e32 vcc, v4, v4
	v_bfe_u32 v6, v2, 16, 1
	v_add3_u32 v2, v2, v6, s0
	v_lshrrev_b32_e32 v2, 16, v2
	v_cndmask_b32_e32 v2, v3, v2, vcc
	global_store_dword v[0:1], v2, off
	s_mov_b64 s[0:1], 0
.LBB22_1431:
	s_mov_b64 s[20:21], 0
.LBB22_1432:
	s_and_b64 vcc, exec, s[20:21]
	s_cbranch_vccz .LBB22_1437
; %bb.1433:
	v_cmp_eq_u16_e32 vcc, 44, v5
	s_mov_b64 s[0:1], -1
	s_cbranch_vccz .LBB22_1437
; %bb.1434:
	v_cvt_f32_f16_e32 v2, v4
	s_movk_i32 s0, 0xff
	v_mov_b32_e32 v6, 0xff
	v_bfe_u32 v3, v2, 23, 8
	v_cmp_ne_u32_e32 vcc, s0, v3
	s_and_saveexec_b64 s[20:21], vcc
; %bb.1435:
	s_mov_b32 s0, 0x3fffff
	v_lshrrev_b32_e32 v6, 23, v2
	v_and_b32_e32 v8, 0x400000, v2
	v_and_or_b32 v2, v2, s0, v3
	v_cmp_ne_u32_e32 vcc, 0, v8
	v_cmp_ne_u32_e64 s[0:1], 0, v2
	s_and_b64 s[0:1], vcc, s[0:1]
	v_cndmask_b32_e64 v2, 0, 1, s[0:1]
	v_add_u32_e32 v6, v6, v2
; %bb.1436:
	s_or_b64 exec, exec, s[20:21]
	s_mov_b64 s[0:1], 0
	global_store_byte v[0:1], v6, off
.LBB22_1437:
	s_mov_b64 s[20:21], 0
.LBB22_1438:
	s_and_b64 vcc, exec, s[20:21]
	s_cbranch_vccz .LBB22_1445
; %bb.1439:
	v_cmp_eq_u16_e32 vcc, 29, v5
	s_mov_b64 s[0:1], -1
	s_cbranch_vccz .LBB22_1445
; %bb.1440:
	v_cvt_f32_f16_e32 v2, v4
	v_mov_b32_e32 v3, 0
	s_mov_b64 s[0:1], 0
	s_mov_b64 s[20:21], 0
	v_cvt_u32_f32_e32 v2, v2
	global_store_dwordx2 v[0:1], v[2:3], off
	s_branch .LBB22_1446
.LBB22_1441:
	s_or_b64 exec, exec, s[18:19]
	s_and_saveexec_b64 s[0:1], s[6:7]
	s_cbranch_execnz .LBB22_1504
.LBB22_1442:
	s_or_b64 exec, exec, s[0:1]
	s_and_saveexec_b64 s[0:1], s[24:25]
	s_xor_b64 s[0:1], exec, s[0:1]
	s_cbranch_execz .LBB22_1505
.LBB22_1443:
	v_cmp_ne_u16_e32 vcc, 0, v7
	v_cndmask_b32_e64 v2, 0, 1, vcc
	global_store_byte v[0:1], v2, off
	s_or_b64 exec, exec, s[0:1]
	s_and_saveexec_b64 s[0:1], s[20:21]
	s_xor_b64 s[0:1], exec, s[0:1]
	s_cbranch_execz .LBB22_1543
	s_branch .LBB22_1506
.LBB22_1444:
	s_mov_b64 s[20:21], -1
	s_mov_b64 s[0:1], s[6:7]
	s_branch .LBB22_1503
.LBB22_1445:
	s_mov_b64 s[20:21], 0
.LBB22_1446:
	s_and_b64 vcc, exec, s[20:21]
	s_cbranch_vccz .LBB22_1461
; %bb.1447:
	v_cmp_gt_i16_e32 vcc, 27, v5
	s_mov_b64 s[20:21], -1
	s_cbranch_vccnz .LBB22_1453
; %bb.1448:
	v_cmp_lt_i16_e32 vcc, 27, v5
	s_cbranch_vccz .LBB22_1450
; %bb.1449:
	v_cvt_f32_f16_e32 v2, v4
	s_mov_b64 s[20:21], 0
	v_cvt_u32_f32_e32 v2, v2
	global_store_dword v[0:1], v2, off
.LBB22_1450:
	s_andn2_b64 vcc, exec, s[20:21]
	s_cbranch_vccnz .LBB22_1452
; %bb.1451:
	v_cvt_u16_f16_e32 v2, v4
	global_store_short v[0:1], v2, off
.LBB22_1452:
	s_mov_b64 s[20:21], 0
.LBB22_1453:
	s_andn2_b64 vcc, exec, s[20:21]
	s_cbranch_vccnz .LBB22_1461
; %bb.1454:
	v_cvt_f32_f16_e32 v2, v4
	s_mov_b32 s15, 0x43800000
	v_mov_b32_e32 v6, 0x80
	v_and_b32_e32 v3, 0x7fffffff, v2
	v_cmp_gt_u32_e32 vcc, s15, v3
	s_and_saveexec_b64 s[20:21], vcc
	s_cbranch_execz .LBB22_1460
; %bb.1455:
	s_mov_b32 s15, 0x3bffffff
	v_cmp_lt_u32_e32 vcc, s15, v3
	s_mov_b64 s[24:25], 0
                                        ; implicit-def: $vgpr3
	s_and_saveexec_b64 s[26:27], vcc
	s_xor_b64 s[26:27], exec, s[26:27]
	s_cbranch_execz .LBB22_1558
; %bb.1456:
	v_bfe_u32 v3, v2, 20, 1
	s_mov_b32 s15, 0x487ffff
	v_add3_u32 v3, v2, v3, s15
	s_mov_b64 s[24:25], exec
	v_lshrrev_b32_e32 v3, 20, v3
	s_or_saveexec_b64 s[26:27], s[26:27]
                                        ; implicit-def: $sgpr15
	s_xor_b64 exec, exec, s[26:27]
	s_cbranch_execnz .LBB22_1559
.LBB22_1457:
	s_or_b64 exec, exec, s[26:27]
	v_mov_b32_e32 v6, s15
	s_and_saveexec_b64 s[26:27], s[24:25]
.LBB22_1458:
	v_lshrrev_b32_e32 v2, 24, v2
	s_movk_i32 s15, 0x80
	v_and_or_b32 v6, v2, s15, v3
.LBB22_1459:
	s_or_b64 exec, exec, s[26:27]
.LBB22_1460:
	s_or_b64 exec, exec, s[20:21]
	global_store_byte v[0:1], v6, off
.LBB22_1461:
	s_mov_b64 s[24:25], 0
.LBB22_1462:
	s_mov_b64 s[20:21], 0
	s_and_b64 vcc, exec, s[24:25]
	s_cbranch_vccz .LBB22_1502
; %bb.1463:
	v_cmp_lt_i16_e32 vcc, 22, v5
	s_mov_b64 s[24:25], -1
	s_cbranch_vccz .LBB22_1495
; %bb.1464:
	v_cmp_gt_i16_e32 vcc, 24, v5
	s_cbranch_vccnz .LBB22_1484
; %bb.1465:
	v_cmp_lt_i16_e32 vcc, 24, v5
	s_cbranch_vccz .LBB22_1473
; %bb.1466:
	v_cvt_f32_f16_e32 v2, v4
	s_mov_b32 s15, 0x47800000
	v_mov_b32_e32 v6, 0x80
	v_and_b32_e32 v3, 0x7fffffff, v2
	v_cmp_gt_u32_e32 vcc, s15, v3
	s_and_saveexec_b64 s[24:25], vcc
	s_cbranch_execz .LBB22_1472
; %bb.1467:
	s_mov_b32 s15, 0x37ffffff
	v_cmp_lt_u32_e32 vcc, s15, v3
	s_mov_b64 s[26:27], 0
                                        ; implicit-def: $vgpr3
	s_and_saveexec_b64 s[28:29], vcc
	s_xor_b64 s[28:29], exec, s[28:29]
	s_cbranch_execz .LBB22_1683
; %bb.1468:
	v_bfe_u32 v3, v2, 21, 1
	s_mov_b32 s15, 0x88fffff
	v_add3_u32 v3, v2, v3, s15
	s_mov_b64 s[26:27], exec
	v_lshrrev_b32_e32 v3, 21, v3
	s_or_saveexec_b64 s[28:29], s[28:29]
                                        ; implicit-def: $sgpr15
	s_xor_b64 exec, exec, s[28:29]
	s_cbranch_execnz .LBB22_1684
.LBB22_1469:
	s_or_b64 exec, exec, s[28:29]
	v_mov_b32_e32 v6, s15
	s_and_saveexec_b64 s[28:29], s[26:27]
.LBB22_1470:
	v_lshrrev_b32_e32 v2, 24, v2
	s_movk_i32 s15, 0x80
	v_and_or_b32 v6, v2, s15, v3
.LBB22_1471:
	s_or_b64 exec, exec, s[28:29]
.LBB22_1472:
	s_or_b64 exec, exec, s[24:25]
	s_mov_b64 s[24:25], 0
	global_store_byte v[0:1], v6, off
.LBB22_1473:
	s_and_b64 vcc, exec, s[24:25]
	s_cbranch_vccz .LBB22_1483
; %bb.1474:
	v_cvt_f32_f16_e32 v2, v4
	s_mov_b32 s15, 0x43f00000
                                        ; implicit-def: $vgpr3
	v_and_b32_e32 v6, 0x7fffffff, v2
	v_cmp_gt_u32_e32 vcc, s15, v6
	s_and_saveexec_b64 s[24:25], vcc
	s_xor_b64 s[24:25], exec, s[24:25]
	s_cbranch_execz .LBB22_1480
; %bb.1475:
	s_mov_b32 s15, 0x3c7fffff
	v_cmp_lt_u32_e32 vcc, s15, v6
                                        ; implicit-def: $vgpr3
	s_and_saveexec_b64 s[26:27], vcc
	s_xor_b64 s[26:27], exec, s[26:27]
; %bb.1476:
	v_bfe_u32 v3, v2, 20, 1
	s_mov_b32 s15, 0x407ffff
	v_add3_u32 v3, v2, v3, s15
	v_lshrrev_b32_e32 v6, 20, v3
	v_and_b32_e32 v3, 0xff00000, v3
	s_mov_b32 s15, 0x7f00000
	v_mov_b32_e32 v8, 0x7e
	v_cmp_ne_u32_e32 vcc, s15, v3
	v_cndmask_b32_e32 v3, v8, v6, vcc
; %bb.1477:
	s_andn2_saveexec_b64 s[26:27], s[26:27]
; %bb.1478:
	s_mov_b32 s15, 0x46800000
	v_add_f32_e64 v3, |v2|, s15
; %bb.1479:
	s_or_b64 exec, exec, s[26:27]
                                        ; implicit-def: $vgpr6
.LBB22_1480:
	s_andn2_saveexec_b64 s[24:25], s[24:25]
; %bb.1481:
	s_mov_b32 s15, 0x7f800000
	v_mov_b32_e32 v3, 0x7e
	v_mov_b32_e32 v8, 0x7f
	v_cmp_lt_u32_e32 vcc, s15, v6
	v_cndmask_b32_e32 v3, v3, v8, vcc
; %bb.1482:
	s_or_b64 exec, exec, s[24:25]
	v_lshrrev_b32_e32 v2, 24, v2
	s_movk_i32 s15, 0x80
	v_and_or_b32 v2, v2, s15, v3
	global_store_byte v[0:1], v2, off
.LBB22_1483:
	s_mov_b64 s[24:25], 0
.LBB22_1484:
	s_andn2_b64 vcc, exec, s[24:25]
	s_cbranch_vccnz .LBB22_1494
; %bb.1485:
	v_cvt_f32_f16_e32 v2, v4
	s_mov_b32 s15, 0x47800000
                                        ; implicit-def: $vgpr3
	v_and_b32_e32 v6, 0x7fffffff, v2
	v_cmp_gt_u32_e32 vcc, s15, v6
	s_and_saveexec_b64 s[24:25], vcc
	s_xor_b64 s[24:25], exec, s[24:25]
	s_cbranch_execz .LBB22_1491
; %bb.1486:
	s_mov_b32 s15, 0x387fffff
	v_cmp_lt_u32_e32 vcc, s15, v6
                                        ; implicit-def: $vgpr3
	s_and_saveexec_b64 s[26:27], vcc
	s_xor_b64 s[26:27], exec, s[26:27]
; %bb.1487:
	v_bfe_u32 v3, v2, 21, 1
	s_mov_b32 s15, 0x80fffff
	v_add3_u32 v3, v2, v3, s15
	v_lshrrev_b32_e32 v3, 21, v3
; %bb.1488:
	s_andn2_saveexec_b64 s[26:27], s[26:27]
; %bb.1489:
	s_mov_b32 s15, 0x43000000
	v_add_f32_e64 v3, |v2|, s15
; %bb.1490:
	s_or_b64 exec, exec, s[26:27]
                                        ; implicit-def: $vgpr6
.LBB22_1491:
	s_andn2_saveexec_b64 s[24:25], s[24:25]
; %bb.1492:
	s_mov_b32 s15, 0x7f800000
	v_mov_b32_e32 v3, 0x7c
	v_mov_b32_e32 v8, 0x7f
	v_cmp_lt_u32_e32 vcc, s15, v6
	v_cndmask_b32_e32 v3, v3, v8, vcc
; %bb.1493:
	s_or_b64 exec, exec, s[24:25]
	v_lshrrev_b32_e32 v2, 24, v2
	s_movk_i32 s15, 0x80
	v_and_or_b32 v2, v2, s15, v3
	global_store_byte v[0:1], v2, off
.LBB22_1494:
	s_mov_b64 s[24:25], 0
.LBB22_1495:
	s_andn2_b64 vcc, exec, s[24:25]
	s_mov_b64 s[24:25], 0
	s_cbranch_vccnz .LBB22_1503
; %bb.1496:
	v_cmp_lt_i16_e32 vcc, 14, v5
	s_mov_b64 s[26:27], -1
	s_cbranch_vccz .LBB22_1500
; %bb.1497:
	v_cmp_eq_u16_e32 vcc, 15, v5
	s_mov_b64 s[0:1], -1
	s_cbranch_vccz .LBB22_1499
; %bb.1498:
	v_cvt_f32_f16_e32 v2, v4
	s_movk_i32 s0, 0x7fff
	v_mov_b32_e32 v3, 0x7fc0
	v_cmp_o_f16_e32 vcc, v4, v4
	v_bfe_u32 v6, v2, 16, 1
	v_add3_u32 v2, v2, v6, s0
	v_lshrrev_b32_e32 v2, 16, v2
	v_cndmask_b32_e32 v2, v3, v2, vcc
	global_store_short v[0:1], v2, off
	s_mov_b64 s[0:1], 0
.LBB22_1499:
	s_mov_b64 s[26:27], 0
.LBB22_1500:
	s_and_b64 vcc, exec, s[26:27]
	s_cbranch_vccz .LBB22_1503
; %bb.1501:
	v_cmp_ne_u16_e32 vcc, 11, v5
	s_andn2_b64 s[0:1], s[0:1], exec
	s_and_b64 s[26:27], vcc, exec
	s_mov_b64 s[24:25], -1
	s_or_b64 s[0:1], s[0:1], s[26:27]
	s_branch .LBB22_1503
.LBB22_1502:
	s_mov_b64 s[24:25], 0
.LBB22_1503:
	s_andn2_b64 s[6:7], s[6:7], exec
	s_and_b64 s[0:1], s[0:1], exec
	s_and_b64 s[20:21], s[20:21], exec
	;; [unrolled: 1-line block ×3, first 2 shown]
	s_or_b64 s[6:7], s[6:7], s[0:1]
	s_or_b64 exec, exec, s[18:19]
	s_and_saveexec_b64 s[0:1], s[6:7]
	s_cbranch_execz .LBB22_1442
.LBB22_1504:
	s_or_b64 s[22:23], s[22:23], exec
	s_andn2_b64 s[24:25], s[24:25], exec
	s_trap 2
	s_or_b64 exec, exec, s[0:1]
	s_and_saveexec_b64 s[0:1], s[24:25]
	s_xor_b64 s[0:1], exec, s[0:1]
	s_cbranch_execnz .LBB22_1443
.LBB22_1505:
	s_or_b64 exec, exec, s[0:1]
	s_and_saveexec_b64 s[0:1], s[20:21]
	s_xor_b64 s[0:1], exec, s[0:1]
	s_cbranch_execz .LBB22_1543
.LBB22_1506:
	v_cmp_gt_i16_e32 vcc, 5, v5
	s_mov_b64 s[6:7], -1
	s_cbranch_vccnz .LBB22_1527
; %bb.1507:
	v_cmp_gt_i16_e32 vcc, 8, v5
	s_cbranch_vccnz .LBB22_1517
; %bb.1508:
	v_cmp_gt_i16_e32 vcc, 9, v5
	s_cbranch_vccnz .LBB22_1514
; %bb.1509:
	v_cmp_lt_i16_e32 vcc, 9, v5
	s_cbranch_vccz .LBB22_1511
; %bb.1510:
	s_waitcnt vmcnt(0)
	v_cvt_f32_f16_e32 v2, v4
	v_mov_b32_e32 v8, 0
	v_mov_b32_e32 v9, v8
	s_mov_b64 s[6:7], 0
	v_cvt_f64_f32_e32 v[6:7], v2
	global_store_dwordx4 v[0:1], v[6:9], off
.LBB22_1511:
	s_andn2_b64 vcc, exec, s[6:7]
	s_cbranch_vccnz .LBB22_1513
; %bb.1512:
	s_waitcnt vmcnt(0)
	v_cvt_f32_f16_e32 v2, v4
	v_mov_b32_e32 v3, 0
	global_store_dwordx2 v[0:1], v[2:3], off
.LBB22_1513:
	s_mov_b64 s[6:7], 0
.LBB22_1514:
	s_andn2_b64 vcc, exec, s[6:7]
	s_cbranch_vccnz .LBB22_1516
; %bb.1515:
	s_waitcnt vmcnt(0)
	v_and_b32_e32 v2, 0xffff, v4
	global_store_dword v[0:1], v2, off
.LBB22_1516:
	s_mov_b64 s[6:7], 0
.LBB22_1517:
	s_andn2_b64 vcc, exec, s[6:7]
	s_cbranch_vccnz .LBB22_1526
; %bb.1518:
	v_cmp_gt_i16_e32 vcc, 6, v5
	s_mov_b64 s[6:7], -1
	s_cbranch_vccnz .LBB22_1524
; %bb.1519:
	v_cmp_lt_i16_e32 vcc, 6, v5
	s_cbranch_vccz .LBB22_1521
; %bb.1520:
	s_waitcnt vmcnt(0)
	v_cvt_f32_f16_e32 v2, v4
	s_mov_b64 s[6:7], 0
	v_cvt_f64_f32_e32 v[2:3], v2
	global_store_dwordx2 v[0:1], v[2:3], off
.LBB22_1521:
	s_andn2_b64 vcc, exec, s[6:7]
	s_cbranch_vccnz .LBB22_1523
; %bb.1522:
	s_waitcnt vmcnt(0)
	v_cvt_f32_f16_e32 v2, v4
	global_store_dword v[0:1], v2, off
.LBB22_1523:
	s_mov_b64 s[6:7], 0
.LBB22_1524:
	s_andn2_b64 vcc, exec, s[6:7]
	s_cbranch_vccnz .LBB22_1526
; %bb.1525:
	s_waitcnt vmcnt(0)
	global_store_short v[0:1], v4, off
.LBB22_1526:
	s_mov_b64 s[6:7], 0
.LBB22_1527:
	s_andn2_b64 vcc, exec, s[6:7]
	s_cbranch_vccnz .LBB22_1543
; %bb.1528:
	v_cmp_gt_i16_e32 vcc, 2, v5
	s_mov_b64 s[6:7], -1
	s_cbranch_vccnz .LBB22_1538
; %bb.1529:
	v_cmp_gt_i16_e32 vcc, 3, v5
	s_cbranch_vccnz .LBB22_1535
; %bb.1530:
	v_cmp_lt_i16_e32 vcc, 3, v5
	s_cbranch_vccz .LBB22_1532
; %bb.1531:
	s_waitcnt vmcnt(0)
	v_cvt_f32_f16_e32 v2, v4
	s_mov_b64 s[6:7], 0
	v_cvt_i32_f32_e32 v2, v2
	v_ashrrev_i32_e32 v3, 31, v2
	global_store_dwordx2 v[0:1], v[2:3], off
.LBB22_1532:
	s_andn2_b64 vcc, exec, s[6:7]
	s_cbranch_vccnz .LBB22_1534
; %bb.1533:
	s_waitcnt vmcnt(0)
	v_cvt_f32_f16_e32 v2, v4
	v_cvt_i32_f32_e32 v2, v2
	global_store_dword v[0:1], v2, off
.LBB22_1534:
	s_mov_b64 s[6:7], 0
.LBB22_1535:
	s_andn2_b64 vcc, exec, s[6:7]
	s_cbranch_vccnz .LBB22_1537
; %bb.1536:
	s_waitcnt vmcnt(0)
	v_cvt_i16_f16_e32 v2, v4
	global_store_short v[0:1], v2, off
.LBB22_1537:
	s_mov_b64 s[6:7], 0
.LBB22_1538:
	s_andn2_b64 vcc, exec, s[6:7]
	s_cbranch_vccnz .LBB22_1543
; %bb.1539:
	v_cmp_lt_i16_e32 vcc, 0, v5
	s_mov_b64 s[6:7], -1
	s_cbranch_vccz .LBB22_1541
; %bb.1540:
	s_waitcnt vmcnt(0)
	v_cvt_i16_f16_e32 v2, v4
	s_mov_b64 s[6:7], 0
	global_store_byte v[0:1], v2, off
.LBB22_1541:
	s_andn2_b64 vcc, exec, s[6:7]
	s_cbranch_vccnz .LBB22_1543
; %bb.1542:
	s_waitcnt vmcnt(0)
	v_cvt_f32_f16_e32 v2, v4
	v_cvt_i32_f32_e32 v2, v2
	global_store_byte v[0:1], v2, off
.LBB22_1543:
	s_or_b64 exec, exec, s[0:1]
	s_and_b64 s[6:7], s[22:23], exec
                                        ; implicit-def: $vgpr3
                                        ; implicit-def: $vgpr5
                                        ; implicit-def: $vgpr4
                                        ; implicit-def: $vgpr2
.LBB22_1544:
	s_or_saveexec_b64 s[4:5], s[4:5]
	s_mov_b64 s[0:1], 0
                                        ; implicit-def: $vgpr7
                                        ; implicit-def: $vgpr0_vgpr1
                                        ; implicit-def: $vgpr6
                                        ; implicit-def: $vgpr8
	s_xor_b64 exec, exec, s[4:5]
	s_cbranch_execz .LBB22_3034
; %bb.1545:
	s_waitcnt vmcnt(0)
	v_mul_lo_u32 v8, s13, v3
	v_ashrrev_i32_e32 v1, 31, v8
	v_mov_b32_e32 v6, s11
	v_add_co_u32_e32 v0, vcc, s10, v8
	v_addc_co_u32_e32 v1, vcc, v6, v1, vcc
	v_mov_b32_e32 v6, 11
	v_cmp_lt_i16_sdwa s[0:1], v5, v6 src0_sel:BYTE_0 src1_sel:DWORD
	s_and_b64 vcc, exec, s[0:1]
	s_cbranch_vccnz .LBB22_1552
; %bb.1546:
	v_mov_b32_e32 v6, 25
	v_cmp_gt_i16_sdwa s[0:1], v5, v6 src0_sel:BYTE_0 src1_sel:DWORD
	s_and_b64 vcc, exec, s[0:1]
	s_cbranch_vccz .LBB22_1554
; %bb.1547:
	v_mov_b32_e32 v6, 28
	v_cmp_gt_i16_sdwa s[0:1], v5, v6 src0_sel:BYTE_0 src1_sel:DWORD
	s_and_b64 vcc, exec, s[0:1]
	s_cbranch_vccz .LBB22_1555
	;; [unrolled: 5-line block ×4, first 2 shown]
; %bb.1550:
	v_mov_b32_e32 v6, 46
	v_cmp_eq_u16_sdwa s[0:1], v5, v6 src0_sel:BYTE_0 src1_sel:DWORD
	s_mov_b64 s[18:19], 0
	s_and_b64 vcc, exec, s[0:1]
	s_cbranch_vccz .LBB22_1560
; %bb.1551:
	global_load_dword v6, v[0:1], off
	s_mov_b64 s[0:1], 0
	s_mov_b64 s[20:21], -1
	s_waitcnt vmcnt(0)
	v_lshlrev_b32_e32 v6, 16, v6
	v_cvt_f16_f32_e32 v6, v6
	s_branch .LBB22_1561
.LBB22_1552:
	s_mov_b64 s[20:21], 0
                                        ; implicit-def: $vgpr6
	s_mov_b64 s[18:19], s[6:7]
	s_cbranch_execnz .LBB22_1624
.LBB22_1553:
	s_andn2_b64 vcc, exec, s[20:21]
	s_cbranch_vccz .LBB22_1669
	s_branch .LBB22_3032
.LBB22_1554:
	s_mov_b64 s[20:21], 0
	s_mov_b64 s[0:1], 0
                                        ; implicit-def: $vgpr6
	s_cbranch_execnz .LBB22_1589
	s_branch .LBB22_1620
.LBB22_1555:
	s_mov_b64 s[18:19], -1
	s_mov_b64 s[20:21], 0
	s_mov_b64 s[0:1], 0
                                        ; implicit-def: $vgpr6
	s_branch .LBB22_1570
.LBB22_1556:
	s_mov_b64 s[20:21], 0
	s_mov_b64 s[0:1], 0
                                        ; implicit-def: $vgpr6
	s_cbranch_execnz .LBB22_1566
	s_branch .LBB22_1569
.LBB22_1557:
	s_mov_b64 s[18:19], -1
	s_mov_b64 s[20:21], 0
	s_mov_b64 s[0:1], 0
                                        ; implicit-def: $vgpr6
	s_branch .LBB22_1561
.LBB22_1558:
	s_or_saveexec_b64 s[26:27], s[26:27]
                                        ; implicit-def: $sgpr15
	s_xor_b64 exec, exec, s[26:27]
	s_cbranch_execz .LBB22_1457
.LBB22_1559:
	s_mov_b32 s15, 0x46000000
	v_add_f32_e64 v3, |v2|, s15
	v_and_b32_e32 v3, 0xff, v3
	v_cmp_ne_u32_e32 vcc, 0, v3
	s_andn2_b64 s[24:25], s[24:25], exec
	s_and_b64 s[28:29], vcc, exec
	s_mov_b32 s15, 0
	s_or_b64 s[24:25], s[24:25], s[28:29]
	s_or_b64 exec, exec, s[26:27]
	v_mov_b32_e32 v6, s15
	s_and_saveexec_b64 s[26:27], s[24:25]
	s_cbranch_execnz .LBB22_1458
	s_branch .LBB22_1459
.LBB22_1560:
	s_mov_b64 s[0:1], -1
                                        ; implicit-def: $vgpr6
	s_mov_b64 s[20:21], 0
.LBB22_1561:
	s_and_b64 vcc, exec, s[18:19]
	s_cbranch_vccz .LBB22_1564
; %bb.1562:
	v_mov_b32_e32 v6, 44
	v_cmp_eq_u16_sdwa s[0:1], v5, v6 src0_sel:BYTE_0 src1_sel:DWORD
	s_and_b64 vcc, exec, s[0:1]
	s_cbranch_vccz .LBB22_1565
; %bb.1563:
	global_load_ubyte v6, v[0:1], off
	s_movk_i32 s15, 0xff
	v_mov_b32_e32 v9, 0x7e00
	s_mov_b64 s[0:1], 0
	s_mov_b64 s[20:21], -1
	s_waitcnt vmcnt(0)
	v_lshlrev_b32_e32 v7, 23, v6
	v_cvt_f16_f32_e32 v7, v7
	v_cmp_ne_u32_e32 vcc, s15, v6
	v_cndmask_b32_e32 v7, v9, v7, vcc
	v_cmp_ne_u32_e32 vcc, 0, v6
	v_cndmask_b32_e32 v6, 0, v7, vcc
.LBB22_1564:
	s_branch .LBB22_1569
.LBB22_1565:
	s_mov_b64 s[0:1], -1
                                        ; implicit-def: $vgpr6
	s_branch .LBB22_1569
.LBB22_1566:
	v_mov_b32_e32 v6, 29
	v_cmp_eq_u16_sdwa s[0:1], v5, v6 src0_sel:BYTE_0 src1_sel:DWORD
	s_and_b64 vcc, exec, s[0:1]
	s_cbranch_vccz .LBB22_1568
; %bb.1567:
	global_load_dwordx2 v[6:7], v[0:1], off
	s_mov_b64 s[0:1], 0
	s_mov_b64 s[20:21], -1
	s_mov_b64 s[18:19], 0
	s_waitcnt vmcnt(0)
	v_ffbh_u32_e32 v9, v7
	v_min_u32_e32 v9, 32, v9
	v_lshlrev_b64 v[6:7], v9, v[6:7]
	v_min_u32_e32 v6, 1, v6
	v_or_b32_e32 v6, v7, v6
	v_cvt_f32_u32_e32 v6, v6
	v_sub_u32_e32 v7, 32, v9
	v_ldexp_f32 v6, v6, v7
	v_cvt_f16_f32_e32 v6, v6
	s_branch .LBB22_1570
.LBB22_1568:
	s_mov_b64 s[0:1], -1
                                        ; implicit-def: $vgpr6
.LBB22_1569:
	s_mov_b64 s[18:19], 0
.LBB22_1570:
	s_and_b64 vcc, exec, s[18:19]
	s_cbranch_vccz .LBB22_1588
; %bb.1571:
	v_mov_b32_e32 v6, 27
	v_cmp_lt_i16_sdwa s[18:19], v5, v6 src0_sel:BYTE_0 src1_sel:DWORD
	s_and_b64 vcc, exec, s[18:19]
	s_cbranch_vccnz .LBB22_1574
; %bb.1572:
	v_cmp_gt_i16_sdwa s[18:19], v5, v6 src0_sel:BYTE_0 src1_sel:DWORD
	s_and_b64 vcc, exec, s[18:19]
	s_cbranch_vccz .LBB22_1575
; %bb.1573:
	global_load_dword v6, v[0:1], off
	s_mov_b64 s[18:19], 0
	s_waitcnt vmcnt(0)
	v_cvt_f32_u32_e32 v6, v6
	v_cvt_f16_f32_e32 v6, v6
	s_branch .LBB22_1576
.LBB22_1574:
	s_mov_b64 s[18:19], -1
                                        ; implicit-def: $vgpr6
	s_branch .LBB22_1579
.LBB22_1575:
	s_mov_b64 s[18:19], -1
                                        ; implicit-def: $vgpr6
.LBB22_1576:
	s_andn2_b64 vcc, exec, s[18:19]
	s_cbranch_vccnz .LBB22_1578
; %bb.1577:
	global_load_ushort v6, v[0:1], off
	s_waitcnt vmcnt(0)
	v_cvt_f16_u16_e32 v6, v6
.LBB22_1578:
	s_mov_b64 s[18:19], 0
.LBB22_1579:
	s_andn2_b64 vcc, exec, s[18:19]
	s_cbranch_vccnz .LBB22_1587
; %bb.1580:
	global_load_ubyte v7, v[0:1], off
	s_movk_i32 s15, 0x7f
	s_mov_b64 s[18:19], 0
	s_waitcnt vmcnt(0)
	v_cmp_lt_i16_e32 vcc, s15, v7
                                        ; implicit-def: $sgpr15
	s_and_saveexec_b64 s[20:21], vcc
	s_xor_b64 s[20:21], exec, s[20:21]
	s_cbranch_execz .LBB22_1600
; %bb.1581:
	s_movk_i32 s15, 0x80
	v_cmp_eq_u16_e32 vcc, s15, v7
	s_mov_b64 s[18:19], -1
                                        ; implicit-def: $sgpr15
	s_and_saveexec_b64 s[22:23], vcc
; %bb.1582:
	s_movk_i32 s15, 0x7e00
	s_xor_b64 s[18:19], exec, -1
; %bb.1583:
	s_or_b64 exec, exec, s[22:23]
	s_and_b64 s[18:19], s[18:19], exec
	s_or_saveexec_b64 s[20:21], s[20:21]
	v_mov_b32_e32 v6, s15
	s_xor_b64 exec, exec, s[20:21]
	s_cbranch_execnz .LBB22_1601
.LBB22_1584:
	s_or_b64 exec, exec, s[20:21]
	s_and_saveexec_b64 s[20:21], s[18:19]
	s_cbranch_execz .LBB22_1586
.LBB22_1585:
	v_lshlrev_b32_e32 v6, 24, v7
	v_and_b32_e32 v7, 0xffff, v7
	v_and_b32_e32 v9, 7, v7
	v_ffbh_u32_e32 v11, v9
	v_min_u32_e32 v11, 32, v11
	v_subrev_u32_e32 v12, 28, v11
	v_bfe_u32 v10, v7, 3, 4
	v_lshlrev_b32_e32 v7, v12, v7
	v_sub_u32_e32 v11, 29, v11
	v_and_b32_e32 v7, 7, v7
	v_cmp_eq_u32_e32 vcc, 0, v10
	v_cndmask_b32_e32 v10, v10, v11, vcc
	v_cndmask_b32_e32 v7, v9, v7, vcc
	v_mov_b32_e32 v9, 0x3b800000
	v_lshlrev_b32_e32 v7, 20, v7
	v_and_b32_e32 v6, 0x80000000, v6
	v_lshl_add_u32 v9, v10, 23, v9
	v_or3_b32 v6, v6, v9, v7
	v_cvt_f16_f32_e32 v6, v6
.LBB22_1586:
	s_or_b64 exec, exec, s[20:21]
.LBB22_1587:
	s_mov_b64 s[20:21], -1
.LBB22_1588:
	s_branch .LBB22_1620
.LBB22_1589:
	v_mov_b32_e32 v6, 22
	v_cmp_gt_i16_sdwa s[16:17], v5, v6 src0_sel:BYTE_0 src1_sel:DWORD
	s_and_b64 vcc, exec, s[16:17]
	s_cbranch_vccz .LBB22_1599
; %bb.1590:
	v_mov_b32_e32 v6, 24
	v_cmp_lt_i16_sdwa s[16:17], v5, v6 src0_sel:BYTE_0 src1_sel:DWORD
	s_and_b64 vcc, exec, s[16:17]
	s_cbranch_vccnz .LBB22_1602
; %bb.1591:
	v_cmp_gt_i16_sdwa s[16:17], v5, v6 src0_sel:BYTE_0 src1_sel:DWORD
	s_and_b64 vcc, exec, s[16:17]
	s_cbranch_vccz .LBB22_1603
; %bb.1592:
	global_load_ubyte v7, v[0:1], off
	s_movk_i32 s15, 0x7f
	s_mov_b64 s[16:17], 0
	s_waitcnt vmcnt(0)
	v_cmp_lt_i16_e32 vcc, s15, v7
                                        ; implicit-def: $sgpr15
	s_and_saveexec_b64 s[18:19], vcc
	s_xor_b64 s[18:19], exec, s[18:19]
	s_cbranch_execz .LBB22_1614
; %bb.1593:
	s_movk_i32 s15, 0x80
	v_cmp_eq_u16_e32 vcc, s15, v7
	s_mov_b64 s[16:17], -1
                                        ; implicit-def: $sgpr15
	s_and_saveexec_b64 s[20:21], vcc
; %bb.1594:
	s_movk_i32 s15, 0x7e00
	s_xor_b64 s[16:17], exec, -1
; %bb.1595:
	s_or_b64 exec, exec, s[20:21]
	s_and_b64 s[16:17], s[16:17], exec
	s_or_saveexec_b64 s[18:19], s[18:19]
	v_mov_b32_e32 v6, s15
	s_xor_b64 exec, exec, s[18:19]
	s_cbranch_execnz .LBB22_1615
.LBB22_1596:
	s_or_b64 exec, exec, s[18:19]
	s_and_saveexec_b64 s[18:19], s[16:17]
	s_cbranch_execz .LBB22_1598
.LBB22_1597:
	v_lshlrev_b32_e32 v6, 24, v7
	v_and_b32_e32 v7, 0xffff, v7
	v_and_b32_e32 v9, 3, v7
	v_ffbh_u32_e32 v11, v9
	v_min_u32_e32 v11, 32, v11
	v_subrev_u32_e32 v12, 29, v11
	v_bfe_u32 v10, v7, 2, 5
	v_lshlrev_b32_e32 v7, v12, v7
	v_sub_u32_e32 v11, 30, v11
	v_and_b32_e32 v7, 3, v7
	v_cmp_eq_u32_e32 vcc, 0, v10
	v_cndmask_b32_e32 v10, v10, v11, vcc
	v_cndmask_b32_e32 v7, v9, v7, vcc
	v_mov_b32_e32 v9, 0x37800000
	v_lshlrev_b32_e32 v7, 21, v7
	v_and_b32_e32 v6, 0x80000000, v6
	v_lshl_add_u32 v9, v10, 23, v9
	v_or3_b32 v6, v6, v9, v7
	v_cvt_f16_f32_e32 v6, v6
.LBB22_1598:
	s_or_b64 exec, exec, s[18:19]
	s_mov_b64 s[16:17], 0
	s_branch .LBB22_1604
.LBB22_1599:
                                        ; implicit-def: $vgpr6
	s_mov_b64 s[16:17], 0
	s_branch .LBB22_1610
.LBB22_1600:
	s_or_saveexec_b64 s[20:21], s[20:21]
	v_mov_b32_e32 v6, s15
	s_xor_b64 exec, exec, s[20:21]
	s_cbranch_execz .LBB22_1584
.LBB22_1601:
	v_cmp_ne_u16_e32 vcc, 0, v7
	s_andn2_b64 s[18:19], s[18:19], exec
	s_and_b64 s[22:23], vcc, exec
	s_or_b64 s[18:19], s[18:19], s[22:23]
	v_mov_b32_e32 v6, v7
	s_or_b64 exec, exec, s[20:21]
	s_and_saveexec_b64 s[20:21], s[18:19]
	s_cbranch_execnz .LBB22_1585
	s_branch .LBB22_1586
.LBB22_1602:
	s_mov_b64 s[16:17], -1
                                        ; implicit-def: $vgpr6
	s_branch .LBB22_1607
.LBB22_1603:
	s_mov_b64 s[16:17], -1
                                        ; implicit-def: $vgpr6
.LBB22_1604:
	s_and_b64 vcc, exec, s[16:17]
	s_cbranch_vccz .LBB22_1606
; %bb.1605:
	global_load_ubyte v6, v[0:1], off
	s_mov_b32 s15, 0x7f800000
	s_waitcnt vmcnt(0)
	v_lshlrev_b32_e32 v6, 24, v6
	v_and_b32_e32 v7, 0x7f000000, v6
	v_ffbh_u32_e32 v9, v7
	v_min_u32_e32 v9, 32, v9
	v_sub_u32_e64 v9, v9, 4 clamp
	v_lshlrev_b32_e32 v11, v9, v7
	v_lshlrev_b32_e32 v9, 23, v9
	v_lshrrev_b32_e32 v11, 4, v11
	v_add_u32_e32 v10, 0x1000000, v7
	v_sub_u32_e32 v9, v11, v9
	v_ashrrev_i32_e32 v10, 8, v10
	v_add_u32_e32 v9, 0x3c000000, v9
	v_and_or_b32 v9, v10, s15, v9
	v_cmp_ne_u32_e32 vcc, 0, v7
	v_cndmask_b32_e32 v7, 0, v9, vcc
	s_brev_b32 s15, 1
	v_and_or_b32 v6, v6, s15, v7
	v_cvt_f16_f32_e32 v6, v6
.LBB22_1606:
	s_mov_b64 s[16:17], 0
.LBB22_1607:
	s_andn2_b64 vcc, exec, s[16:17]
	s_cbranch_vccnz .LBB22_1609
; %bb.1608:
	global_load_ubyte v6, v[0:1], off
	s_movk_i32 s15, 0x7f00
	s_brev_b32 s16, 16
	s_waitcnt vmcnt(0)
	v_lshlrev_b16_e32 v7, 8, v6
	v_lshlrev_b32_e32 v6, 25, v6
	v_lshrrev_b32_e32 v9, 4, v6
	v_and_or_b32 v10, v7, s15, 0.5
	v_or_b32_e32 v9, 0x70000000, v9
	v_add_f32_e32 v10, -0.5, v10
	v_mul_f32_e32 v9, 0x7800000, v9
	v_cmp_gt_u32_e32 vcc, s16, v6
	v_bfe_i32 v7, v7, 0, 16
	v_cndmask_b32_e32 v6, v9, v10, vcc
	s_brev_b32 s15, 1
	v_and_or_b32 v6, v7, s15, v6
	v_cvt_f16_f32_e32 v6, v6
.LBB22_1609:
	s_mov_b64 s[20:21], -1
	s_mov_b64 s[16:17], 0
	s_cbranch_execnz .LBB22_1620
.LBB22_1610:
	v_mov_b32_e32 v6, 14
	v_cmp_gt_i16_sdwa s[16:17], v5, v6 src0_sel:BYTE_0 src1_sel:DWORD
	s_and_b64 vcc, exec, s[16:17]
	s_cbranch_vccz .LBB22_1613
; %bb.1611:
	v_mov_b32_e32 v6, 15
	v_cmp_eq_u16_sdwa s[0:1], v5, v6 src0_sel:BYTE_0 src1_sel:DWORD
	s_and_b64 vcc, exec, s[0:1]
	s_cbranch_vccz .LBB22_1616
; %bb.1612:
	global_load_ushort v6, v[0:1], off
	s_mov_b64 s[0:1], 0
	s_mov_b64 s[20:21], -1
	s_waitcnt vmcnt(0)
	v_lshlrev_b32_e32 v6, 16, v6
	v_cvt_f16_f32_e32 v6, v6
	s_branch .LBB22_1617
.LBB22_1613:
	s_mov_b64 s[18:19], -1
                                        ; implicit-def: $vgpr6
	s_branch .LBB22_1618
.LBB22_1614:
	s_or_saveexec_b64 s[18:19], s[18:19]
	v_mov_b32_e32 v6, s15
	s_xor_b64 exec, exec, s[18:19]
	s_cbranch_execz .LBB22_1596
.LBB22_1615:
	v_cmp_ne_u16_e32 vcc, 0, v7
	s_andn2_b64 s[16:17], s[16:17], exec
	s_and_b64 s[20:21], vcc, exec
	s_or_b64 s[16:17], s[16:17], s[20:21]
	v_mov_b32_e32 v6, v7
	s_or_b64 exec, exec, s[18:19]
	s_and_saveexec_b64 s[18:19], s[16:17]
	s_cbranch_execnz .LBB22_1597
	s_branch .LBB22_1598
.LBB22_1616:
	s_mov_b64 s[0:1], -1
                                        ; implicit-def: $vgpr6
.LBB22_1617:
	s_mov_b64 s[18:19], 0
.LBB22_1618:
	s_mov_b64 s[16:17], 0
	s_and_b64 vcc, exec, s[18:19]
	s_cbranch_vccz .LBB22_1620
; %bb.1619:
	v_mov_b32_e32 v6, 11
	v_cmp_ne_u16_sdwa s[0:1], v5, v6 src0_sel:BYTE_0 src1_sel:DWORD
	s_mov_b64 s[16:17], -1
                                        ; implicit-def: $vgpr6
.LBB22_1620:
	s_and_b64 vcc, exec, s[0:1]
	s_mov_b64 s[18:19], s[6:7]
	s_cbranch_vccnz .LBB22_1681
; %bb.1621:
	s_andn2_b64 vcc, exec, s[16:17]
	s_cbranch_vccnz .LBB22_1623
.LBB22_1622:
	global_load_ubyte v6, v[0:1], off
	v_mov_b32_e32 v7, 0x3c00
	s_mov_b64 s[20:21], -1
	s_waitcnt vmcnt(0)
	v_cmp_ne_u16_e32 vcc, 0, v6
	v_cndmask_b32_e32 v6, 0, v7, vcc
.LBB22_1623:
	s_branch .LBB22_1553
.LBB22_1624:
	v_mov_b32_e32 v6, 5
	v_cmp_lt_i16_sdwa s[0:1], v5, v6 src0_sel:BYTE_0 src1_sel:DWORD
	s_and_b64 vcc, exec, s[0:1]
	s_cbranch_vccnz .LBB22_1629
; %bb.1625:
	v_mov_b32_e32 v6, 8
	v_cmp_lt_i16_sdwa s[0:1], v5, v6 src0_sel:BYTE_0 src1_sel:DWORD
	s_and_b64 vcc, exec, s[0:1]
	s_cbranch_vccnz .LBB22_1630
; %bb.1626:
	;; [unrolled: 5-line block ×3, first 2 shown]
	v_cmp_gt_i16_sdwa s[0:1], v5, v6 src0_sel:BYTE_0 src1_sel:DWORD
	s_and_b64 vcc, exec, s[0:1]
	s_cbranch_vccz .LBB22_1632
; %bb.1628:
	global_load_dwordx2 v[6:7], v[0:1], off
	s_mov_b64 s[0:1], 0
	s_waitcnt vmcnt(0)
	v_cvt_f32_f64_e32 v6, v[6:7]
	v_cvt_f16_f32_e32 v6, v6
	s_branch .LBB22_1633
.LBB22_1629:
                                        ; implicit-def: $vgpr6
	s_branch .LBB22_1650
.LBB22_1630:
                                        ; implicit-def: $vgpr6
	s_branch .LBB22_1639
.LBB22_1631:
	s_mov_b64 s[0:1], -1
                                        ; implicit-def: $vgpr6
	s_branch .LBB22_1636
.LBB22_1632:
	s_mov_b64 s[0:1], -1
                                        ; implicit-def: $vgpr6
.LBB22_1633:
	s_andn2_b64 vcc, exec, s[0:1]
	s_cbranch_vccnz .LBB22_1635
; %bb.1634:
	global_load_dword v6, v[0:1], off
	s_waitcnt vmcnt(0)
	v_cvt_f16_f32_e32 v6, v6
.LBB22_1635:
	s_mov_b64 s[0:1], 0
.LBB22_1636:
	s_andn2_b64 vcc, exec, s[0:1]
	s_cbranch_vccnz .LBB22_1638
; %bb.1637:
	global_load_dword v6, v[0:1], off
.LBB22_1638:
	s_cbranch_execnz .LBB22_1649
.LBB22_1639:
	s_waitcnt vmcnt(0)
	v_mov_b32_e32 v6, 6
	v_cmp_lt_i16_sdwa s[0:1], v5, v6 src0_sel:BYTE_0 src1_sel:DWORD
	s_and_b64 vcc, exec, s[0:1]
	s_cbranch_vccnz .LBB22_1642
; %bb.1640:
	v_cmp_gt_i16_sdwa s[0:1], v5, v6 src0_sel:BYTE_0 src1_sel:DWORD
	s_and_b64 vcc, exec, s[0:1]
	s_cbranch_vccz .LBB22_1643
; %bb.1641:
	global_load_dwordx2 v[6:7], v[0:1], off
	s_mov_b64 s[0:1], 0
	s_waitcnt vmcnt(0)
	v_cvt_f32_f64_e32 v6, v[6:7]
	v_cvt_f16_f32_e32 v6, v6
	s_branch .LBB22_1644
.LBB22_1642:
	s_mov_b64 s[0:1], -1
                                        ; implicit-def: $vgpr6
	s_branch .LBB22_1647
.LBB22_1643:
	s_mov_b64 s[0:1], -1
                                        ; implicit-def: $vgpr6
.LBB22_1644:
	s_andn2_b64 vcc, exec, s[0:1]
	s_cbranch_vccnz .LBB22_1646
; %bb.1645:
	global_load_dword v6, v[0:1], off
	s_waitcnt vmcnt(0)
	v_cvt_f16_f32_e32 v6, v6
.LBB22_1646:
	s_mov_b64 s[0:1], 0
.LBB22_1647:
	s_andn2_b64 vcc, exec, s[0:1]
	s_cbranch_vccnz .LBB22_1649
; %bb.1648:
	global_load_ushort v6, v[0:1], off
.LBB22_1649:
	s_cbranch_execnz .LBB22_1668
.LBB22_1650:
	s_waitcnt vmcnt(0)
	v_mov_b32_e32 v6, 2
	v_cmp_lt_i16_sdwa s[0:1], v5, v6 src0_sel:BYTE_0 src1_sel:DWORD
	s_and_b64 vcc, exec, s[0:1]
	s_cbranch_vccnz .LBB22_1654
; %bb.1651:
	v_mov_b32_e32 v6, 3
	v_cmp_lt_i16_sdwa s[0:1], v5, v6 src0_sel:BYTE_0 src1_sel:DWORD
	s_and_b64 vcc, exec, s[0:1]
	s_cbranch_vccnz .LBB22_1655
; %bb.1652:
	v_cmp_gt_i16_sdwa s[0:1], v5, v6 src0_sel:BYTE_0 src1_sel:DWORD
	s_and_b64 vcc, exec, s[0:1]
	s_cbranch_vccz .LBB22_1656
; %bb.1653:
	global_load_dwordx2 v[6:7], v[0:1], off
	s_mov_b64 s[0:1], 0
	s_waitcnt vmcnt(0)
	v_xor_b32_e32 v10, v6, v7
	v_ffbh_i32_e32 v9, v7
	v_ashrrev_i32_e32 v10, 31, v10
	v_add_u32_e32 v9, -1, v9
	v_add_u32_e32 v10, 32, v10
	v_min_u32_e32 v9, v9, v10
	v_lshlrev_b64 v[6:7], v9, v[6:7]
	v_min_u32_e32 v6, 1, v6
	v_or_b32_e32 v6, v7, v6
	v_cvt_f32_i32_e32 v6, v6
	v_sub_u32_e32 v7, 32, v9
	v_ldexp_f32 v6, v6, v7
	v_cvt_f16_f32_e32 v6, v6
	s_branch .LBB22_1657
.LBB22_1654:
                                        ; implicit-def: $vgpr6
	s_branch .LBB22_1663
.LBB22_1655:
	s_mov_b64 s[0:1], -1
                                        ; implicit-def: $vgpr6
	s_branch .LBB22_1660
.LBB22_1656:
	s_mov_b64 s[0:1], -1
                                        ; implicit-def: $vgpr6
.LBB22_1657:
	s_andn2_b64 vcc, exec, s[0:1]
	s_cbranch_vccnz .LBB22_1659
; %bb.1658:
	global_load_dword v6, v[0:1], off
	s_waitcnt vmcnt(0)
	v_cvt_f32_i32_e32 v6, v6
	v_cvt_f16_f32_e32 v6, v6
.LBB22_1659:
	s_mov_b64 s[0:1], 0
.LBB22_1660:
	s_andn2_b64 vcc, exec, s[0:1]
	s_cbranch_vccnz .LBB22_1662
; %bb.1661:
	global_load_ushort v6, v[0:1], off
	s_waitcnt vmcnt(0)
	v_cvt_f16_i16_e32 v6, v6
.LBB22_1662:
	s_cbranch_execnz .LBB22_1668
.LBB22_1663:
	v_mov_b32_e32 v6, 0
	v_cmp_gt_i16_sdwa s[0:1], v5, v6 src0_sel:BYTE_0 src1_sel:DWORD
	s_and_b64 vcc, exec, s[0:1]
	s_cbranch_vccz .LBB22_1665
; %bb.1664:
	global_load_sbyte v6, v[0:1], off
	s_mov_b64 s[0:1], 0
	s_waitcnt vmcnt(0)
	v_cvt_f16_i16_e32 v6, v6
	s_branch .LBB22_1666
.LBB22_1665:
	s_mov_b64 s[0:1], -1
                                        ; implicit-def: $vgpr6
.LBB22_1666:
	s_andn2_b64 vcc, exec, s[0:1]
	s_cbranch_vccnz .LBB22_1668
; %bb.1667:
	global_load_ubyte v0, v[0:1], off
	s_waitcnt vmcnt(0)
	v_cvt_f16_u16_e32 v6, v0
.LBB22_1668:
.LBB22_1669:
	v_mul_lo_u32 v9, s14, v3
	v_ashrrev_i32_e32 v1, 31, v9
	v_mov_b32_e32 v7, s3
	v_add_co_u32_e32 v0, vcc, s2, v9
	v_addc_co_u32_e32 v1, vcc, v7, v1, vcc
	v_mov_b32_e32 v7, 11
	v_cmp_lt_i16_sdwa s[0:1], v4, v7 src0_sel:BYTE_0 src1_sel:DWORD
	s_and_b64 vcc, exec, s[0:1]
	s_cbranch_vccnz .LBB22_1676
; %bb.1670:
	v_mov_b32_e32 v7, 25
	v_cmp_gt_i16_sdwa s[0:1], v4, v7 src0_sel:BYTE_0 src1_sel:DWORD
	s_mov_b64 s[16:17], 0
	s_and_b64 vcc, exec, s[0:1]
	s_cbranch_vccz .LBB22_1678
; %bb.1671:
	v_mov_b32_e32 v7, 28
	v_cmp_gt_i16_sdwa s[0:1], v4, v7 src0_sel:BYTE_0 src1_sel:DWORD
	s_and_b64 vcc, exec, s[0:1]
	s_cbranch_vccz .LBB22_1679
; %bb.1672:
	v_mov_b32_e32 v7, 43
	v_cmp_gt_i16_sdwa s[0:1], v4, v7 src0_sel:BYTE_0 src1_sel:DWORD
	;; [unrolled: 5-line block ×3, first 2 shown]
	s_and_b64 vcc, exec, s[0:1]
	s_cbranch_vccz .LBB22_1682
; %bb.1674:
	v_mov_b32_e32 v7, 46
	v_cmp_eq_u16_sdwa s[0:1], v4, v7 src0_sel:BYTE_0 src1_sel:DWORD
	s_mov_b64 s[22:23], 0
	s_and_b64 vcc, exec, s[0:1]
	s_cbranch_vccz .LBB22_1685
; %bb.1675:
	global_load_dword v7, v[0:1], off
	s_mov_b64 s[0:1], 0
	s_mov_b64 s[20:21], -1
	s_waitcnt vmcnt(0)
	v_lshlrev_b32_e32 v7, 16, v7
	v_cvt_f16_f32_e32 v7, v7
	s_branch .LBB22_1686
.LBB22_1676:
	s_mov_b64 s[20:21], 0
                                        ; implicit-def: $vgpr7
	s_cbranch_execnz .LBB22_1751
.LBB22_1677:
	s_andn2_b64 vcc, exec, s[20:21]
	s_cbranch_vccnz .LBB22_3032
	s_branch .LBB22_1798
.LBB22_1678:
	s_mov_b64 s[20:21], 0
	s_mov_b64 s[0:1], 0
                                        ; implicit-def: $vgpr7
	s_cbranch_execnz .LBB22_1715
	s_branch .LBB22_1747
.LBB22_1679:
	s_mov_b64 s[22:23], -1
	s_mov_b64 s[20:21], 0
	s_mov_b64 s[0:1], 0
                                        ; implicit-def: $vgpr7
	s_branch .LBB22_1696
.LBB22_1680:
	s_mov_b64 s[22:23], -1
	s_mov_b64 s[20:21], 0
	s_mov_b64 s[0:1], 0
                                        ; implicit-def: $vgpr7
	s_branch .LBB22_1691
.LBB22_1681:
	s_or_b64 s[18:19], s[6:7], exec
	s_trap 2
                                        ; implicit-def: $vgpr6
	s_cbranch_execz .LBB22_1622
	s_branch .LBB22_1623
.LBB22_1682:
	s_mov_b64 s[22:23], -1
	s_mov_b64 s[20:21], 0
	s_mov_b64 s[0:1], 0
                                        ; implicit-def: $vgpr7
	s_branch .LBB22_1686
.LBB22_1683:
	s_or_saveexec_b64 s[28:29], s[28:29]
                                        ; implicit-def: $sgpr15
	s_xor_b64 exec, exec, s[28:29]
	s_cbranch_execz .LBB22_1469
.LBB22_1684:
	s_mov_b32 s15, 0x42800000
	v_add_f32_e64 v3, |v2|, s15
	v_and_b32_e32 v3, 0xff, v3
	v_cmp_ne_u32_e32 vcc, 0, v3
	s_andn2_b64 s[26:27], s[26:27], exec
	s_and_b64 s[30:31], vcc, exec
	s_mov_b32 s15, 0
	s_or_b64 s[26:27], s[26:27], s[30:31]
	s_or_b64 exec, exec, s[28:29]
	v_mov_b32_e32 v6, s15
	s_and_saveexec_b64 s[28:29], s[26:27]
	s_cbranch_execnz .LBB22_1470
	s_branch .LBB22_1471
.LBB22_1685:
	s_mov_b64 s[0:1], -1
                                        ; implicit-def: $vgpr7
	s_mov_b64 s[20:21], 0
.LBB22_1686:
	s_and_b64 vcc, exec, s[22:23]
	s_cbranch_vccz .LBB22_1690
; %bb.1687:
	v_mov_b32_e32 v7, 44
	v_cmp_eq_u16_sdwa s[0:1], v4, v7 src0_sel:BYTE_0 src1_sel:DWORD
	s_and_b64 vcc, exec, s[0:1]
	s_cbranch_vccz .LBB22_1689
; %bb.1688:
	global_load_ubyte v7, v[0:1], off
	s_movk_i32 s15, 0xff
	v_mov_b32_e32 v11, 0x7e00
	s_mov_b64 s[0:1], 0
	s_mov_b64 s[20:21], -1
	s_waitcnt vmcnt(0)
	v_lshlrev_b32_e32 v10, 23, v7
	v_cvt_f16_f32_e32 v10, v10
	v_cmp_ne_u32_e32 vcc, s15, v7
	v_cndmask_b32_e32 v10, v11, v10, vcc
	v_cmp_ne_u32_e32 vcc, 0, v7
	v_cndmask_b32_e32 v7, 0, v10, vcc
	s_branch .LBB22_1690
.LBB22_1689:
	s_mov_b64 s[0:1], -1
                                        ; implicit-def: $vgpr7
.LBB22_1690:
	s_mov_b64 s[22:23], 0
.LBB22_1691:
	s_and_b64 vcc, exec, s[22:23]
	s_cbranch_vccz .LBB22_1695
; %bb.1692:
	v_mov_b32_e32 v7, 29
	v_cmp_eq_u16_sdwa s[0:1], v4, v7 src0_sel:BYTE_0 src1_sel:DWORD
	s_and_b64 vcc, exec, s[0:1]
	s_cbranch_vccz .LBB22_1694
; %bb.1693:
	global_load_dwordx2 v[10:11], v[0:1], off
	s_mov_b64 s[0:1], 0
	s_mov_b64 s[20:21], -1
	s_mov_b64 s[22:23], 0
	s_waitcnt vmcnt(0)
	v_ffbh_u32_e32 v7, v11
	v_min_u32_e32 v7, 32, v7
	v_lshlrev_b64 v[10:11], v7, v[10:11]
	v_min_u32_e32 v10, 1, v10
	v_or_b32_e32 v10, v11, v10
	v_cvt_f32_u32_e32 v10, v10
	v_sub_u32_e32 v7, 32, v7
	v_ldexp_f32 v7, v10, v7
	v_cvt_f16_f32_e32 v7, v7
	s_branch .LBB22_1696
.LBB22_1694:
	s_mov_b64 s[0:1], -1
                                        ; implicit-def: $vgpr7
.LBB22_1695:
	s_mov_b64 s[22:23], 0
.LBB22_1696:
	s_and_b64 vcc, exec, s[22:23]
	s_cbranch_vccz .LBB22_1714
; %bb.1697:
	v_mov_b32_e32 v7, 27
	v_cmp_lt_i16_sdwa s[20:21], v4, v7 src0_sel:BYTE_0 src1_sel:DWORD
	s_and_b64 vcc, exec, s[20:21]
	s_cbranch_vccnz .LBB22_1700
; %bb.1698:
	v_cmp_gt_i16_sdwa s[20:21], v4, v7 src0_sel:BYTE_0 src1_sel:DWORD
	s_and_b64 vcc, exec, s[20:21]
	s_cbranch_vccz .LBB22_1701
; %bb.1699:
	global_load_dword v7, v[0:1], off
	s_mov_b64 s[20:21], 0
	s_waitcnt vmcnt(0)
	v_cvt_f32_u32_e32 v7, v7
	v_cvt_f16_f32_e32 v7, v7
	s_branch .LBB22_1702
.LBB22_1700:
	s_mov_b64 s[20:21], -1
                                        ; implicit-def: $vgpr7
	s_branch .LBB22_1705
.LBB22_1701:
	s_mov_b64 s[20:21], -1
                                        ; implicit-def: $vgpr7
.LBB22_1702:
	s_andn2_b64 vcc, exec, s[20:21]
	s_cbranch_vccnz .LBB22_1704
; %bb.1703:
	global_load_ushort v7, v[0:1], off
	s_waitcnt vmcnt(0)
	v_cvt_f16_u16_e32 v7, v7
.LBB22_1704:
	s_mov_b64 s[20:21], 0
.LBB22_1705:
	s_andn2_b64 vcc, exec, s[20:21]
	s_cbranch_vccnz .LBB22_1713
; %bb.1706:
	global_load_ubyte v10, v[0:1], off
	s_movk_i32 s15, 0x7f
	s_mov_b64 s[20:21], 0
	s_waitcnt vmcnt(0)
	v_cmp_lt_i16_e32 vcc, s15, v10
                                        ; implicit-def: $sgpr15
	s_and_saveexec_b64 s[22:23], vcc
	s_xor_b64 s[22:23], exec, s[22:23]
	s_cbranch_execz .LBB22_1726
; %bb.1707:
	s_movk_i32 s15, 0x80
	v_cmp_eq_u16_e32 vcc, s15, v10
	s_mov_b64 s[20:21], -1
                                        ; implicit-def: $sgpr15
	s_and_saveexec_b64 s[24:25], vcc
; %bb.1708:
	s_movk_i32 s15, 0x7e00
	s_xor_b64 s[20:21], exec, -1
; %bb.1709:
	s_or_b64 exec, exec, s[24:25]
	s_and_b64 s[20:21], s[20:21], exec
	s_or_saveexec_b64 s[22:23], s[22:23]
	v_mov_b32_e32 v7, s15
	s_xor_b64 exec, exec, s[22:23]
	s_cbranch_execnz .LBB22_1727
.LBB22_1710:
	s_or_b64 exec, exec, s[22:23]
	s_and_saveexec_b64 s[22:23], s[20:21]
	s_cbranch_execz .LBB22_1712
.LBB22_1711:
	v_lshlrev_b32_e32 v7, 24, v10
	v_and_b32_e32 v10, 0xffff, v10
	v_and_b32_e32 v11, 7, v10
	v_ffbh_u32_e32 v13, v11
	v_min_u32_e32 v13, 32, v13
	v_subrev_u32_e32 v14, 28, v13
	v_bfe_u32 v12, v10, 3, 4
	v_lshlrev_b32_e32 v10, v14, v10
	v_sub_u32_e32 v13, 29, v13
	v_and_b32_e32 v10, 7, v10
	v_cmp_eq_u32_e32 vcc, 0, v12
	v_cndmask_b32_e32 v12, v12, v13, vcc
	v_cndmask_b32_e32 v10, v11, v10, vcc
	v_mov_b32_e32 v11, 0x3b800000
	v_lshlrev_b32_e32 v10, 20, v10
	v_and_b32_e32 v7, 0x80000000, v7
	v_lshl_add_u32 v11, v12, 23, v11
	v_or3_b32 v7, v7, v11, v10
	v_cvt_f16_f32_e32 v7, v7
.LBB22_1712:
	s_or_b64 exec, exec, s[22:23]
.LBB22_1713:
	s_mov_b64 s[20:21], -1
.LBB22_1714:
	s_branch .LBB22_1747
.LBB22_1715:
	v_mov_b32_e32 v7, 22
	v_cmp_gt_i16_sdwa s[16:17], v4, v7 src0_sel:BYTE_0 src1_sel:DWORD
	s_and_b64 vcc, exec, s[16:17]
	s_cbranch_vccz .LBB22_1725
; %bb.1716:
	v_mov_b32_e32 v7, 24
	v_cmp_lt_i16_sdwa s[16:17], v4, v7 src0_sel:BYTE_0 src1_sel:DWORD
	s_and_b64 vcc, exec, s[16:17]
	s_cbranch_vccnz .LBB22_1728
; %bb.1717:
	v_cmp_gt_i16_sdwa s[16:17], v4, v7 src0_sel:BYTE_0 src1_sel:DWORD
	s_and_b64 vcc, exec, s[16:17]
	s_cbranch_vccz .LBB22_1729
; %bb.1718:
	global_load_ubyte v10, v[0:1], off
	s_movk_i32 s15, 0x7f
	s_mov_b64 s[16:17], 0
	s_waitcnt vmcnt(0)
	v_cmp_lt_i16_e32 vcc, s15, v10
                                        ; implicit-def: $sgpr15
	s_and_saveexec_b64 s[20:21], vcc
	s_xor_b64 s[20:21], exec, s[20:21]
	s_cbranch_execz .LBB22_1741
; %bb.1719:
	s_movk_i32 s15, 0x80
	v_cmp_eq_u16_e32 vcc, s15, v10
	s_mov_b64 s[16:17], -1
                                        ; implicit-def: $sgpr15
	s_and_saveexec_b64 s[22:23], vcc
; %bb.1720:
	s_movk_i32 s15, 0x7e00
	s_xor_b64 s[16:17], exec, -1
; %bb.1721:
	s_or_b64 exec, exec, s[22:23]
	s_and_b64 s[16:17], s[16:17], exec
	s_or_saveexec_b64 s[20:21], s[20:21]
	v_mov_b32_e32 v7, s15
	s_xor_b64 exec, exec, s[20:21]
	s_cbranch_execnz .LBB22_1742
.LBB22_1722:
	s_or_b64 exec, exec, s[20:21]
	s_and_saveexec_b64 s[20:21], s[16:17]
	s_cbranch_execz .LBB22_1724
.LBB22_1723:
	v_lshlrev_b32_e32 v7, 24, v10
	v_and_b32_e32 v10, 0xffff, v10
	v_and_b32_e32 v11, 3, v10
	v_ffbh_u32_e32 v13, v11
	v_min_u32_e32 v13, 32, v13
	v_subrev_u32_e32 v14, 29, v13
	v_bfe_u32 v12, v10, 2, 5
	v_lshlrev_b32_e32 v10, v14, v10
	v_sub_u32_e32 v13, 30, v13
	v_and_b32_e32 v10, 3, v10
	v_cmp_eq_u32_e32 vcc, 0, v12
	v_cndmask_b32_e32 v12, v12, v13, vcc
	v_cndmask_b32_e32 v10, v11, v10, vcc
	v_mov_b32_e32 v11, 0x37800000
	v_lshlrev_b32_e32 v10, 21, v10
	v_and_b32_e32 v7, 0x80000000, v7
	v_lshl_add_u32 v11, v12, 23, v11
	v_or3_b32 v7, v7, v11, v10
	v_cvt_f16_f32_e32 v7, v7
.LBB22_1724:
	s_or_b64 exec, exec, s[20:21]
	s_mov_b64 s[16:17], 0
	s_branch .LBB22_1730
.LBB22_1725:
	s_mov_b64 s[16:17], -1
                                        ; implicit-def: $vgpr7
	s_branch .LBB22_1736
.LBB22_1726:
	s_or_saveexec_b64 s[22:23], s[22:23]
	v_mov_b32_e32 v7, s15
	s_xor_b64 exec, exec, s[22:23]
	s_cbranch_execz .LBB22_1710
.LBB22_1727:
	v_cmp_ne_u16_e32 vcc, 0, v10
	s_andn2_b64 s[20:21], s[20:21], exec
	s_and_b64 s[24:25], vcc, exec
	s_or_b64 s[20:21], s[20:21], s[24:25]
	v_mov_b32_e32 v7, v10
	s_or_b64 exec, exec, s[22:23]
	s_and_saveexec_b64 s[22:23], s[20:21]
	s_cbranch_execnz .LBB22_1711
	s_branch .LBB22_1712
.LBB22_1728:
	s_mov_b64 s[16:17], -1
                                        ; implicit-def: $vgpr7
	s_branch .LBB22_1733
.LBB22_1729:
	s_mov_b64 s[16:17], -1
                                        ; implicit-def: $vgpr7
.LBB22_1730:
	s_and_b64 vcc, exec, s[16:17]
	s_cbranch_vccz .LBB22_1732
; %bb.1731:
	global_load_ubyte v7, v[0:1], off
	s_mov_b32 s15, 0x7f800000
	s_waitcnt vmcnt(0)
	v_lshlrev_b32_e32 v7, 24, v7
	v_and_b32_e32 v10, 0x7f000000, v7
	v_ffbh_u32_e32 v11, v10
	v_min_u32_e32 v11, 32, v11
	v_sub_u32_e64 v11, v11, 4 clamp
	v_lshlrev_b32_e32 v13, v11, v10
	v_lshlrev_b32_e32 v11, 23, v11
	v_lshrrev_b32_e32 v13, 4, v13
	v_add_u32_e32 v12, 0x1000000, v10
	v_sub_u32_e32 v11, v13, v11
	v_ashrrev_i32_e32 v12, 8, v12
	v_add_u32_e32 v11, 0x3c000000, v11
	v_and_or_b32 v11, v12, s15, v11
	v_cmp_ne_u32_e32 vcc, 0, v10
	v_cndmask_b32_e32 v10, 0, v11, vcc
	s_brev_b32 s15, 1
	v_and_or_b32 v7, v7, s15, v10
	v_cvt_f16_f32_e32 v7, v7
.LBB22_1732:
	s_mov_b64 s[16:17], 0
.LBB22_1733:
	s_andn2_b64 vcc, exec, s[16:17]
	s_cbranch_vccnz .LBB22_1735
; %bb.1734:
	global_load_ubyte v7, v[0:1], off
	s_movk_i32 s15, 0x7f00
	s_brev_b32 s16, 16
	s_waitcnt vmcnt(0)
	v_lshlrev_b16_e32 v10, 8, v7
	v_lshlrev_b32_e32 v7, 25, v7
	v_lshrrev_b32_e32 v11, 4, v7
	v_and_or_b32 v12, v10, s15, 0.5
	v_or_b32_e32 v11, 0x70000000, v11
	v_add_f32_e32 v12, -0.5, v12
	v_mul_f32_e32 v11, 0x7800000, v11
	v_cmp_gt_u32_e32 vcc, s16, v7
	v_bfe_i32 v10, v10, 0, 16
	v_cndmask_b32_e32 v7, v11, v12, vcc
	s_brev_b32 s15, 1
	v_and_or_b32 v7, v10, s15, v7
	v_cvt_f16_f32_e32 v7, v7
.LBB22_1735:
	s_mov_b64 s[16:17], 0
	s_mov_b64 s[20:21], -1
.LBB22_1736:
	s_andn2_b64 vcc, exec, s[16:17]
	s_mov_b64 s[16:17], 0
	s_cbranch_vccnz .LBB22_1747
; %bb.1737:
	v_mov_b32_e32 v7, 14
	v_cmp_gt_i16_sdwa s[16:17], v4, v7 src0_sel:BYTE_0 src1_sel:DWORD
	s_and_b64 vcc, exec, s[16:17]
	s_cbranch_vccz .LBB22_1740
; %bb.1738:
	v_mov_b32_e32 v7, 15
	v_cmp_eq_u16_sdwa s[0:1], v4, v7 src0_sel:BYTE_0 src1_sel:DWORD
	s_and_b64 vcc, exec, s[0:1]
	s_cbranch_vccz .LBB22_1743
; %bb.1739:
	global_load_ushort v7, v[0:1], off
	s_mov_b64 s[0:1], 0
	s_mov_b64 s[20:21], -1
	s_waitcnt vmcnt(0)
	v_lshlrev_b32_e32 v7, 16, v7
	v_cvt_f16_f32_e32 v7, v7
	s_branch .LBB22_1744
.LBB22_1740:
	s_mov_b64 s[22:23], -1
                                        ; implicit-def: $vgpr7
	s_branch .LBB22_1745
.LBB22_1741:
	s_or_saveexec_b64 s[20:21], s[20:21]
	v_mov_b32_e32 v7, s15
	s_xor_b64 exec, exec, s[20:21]
	s_cbranch_execz .LBB22_1722
.LBB22_1742:
	v_cmp_ne_u16_e32 vcc, 0, v10
	s_andn2_b64 s[16:17], s[16:17], exec
	s_and_b64 s[22:23], vcc, exec
	s_or_b64 s[16:17], s[16:17], s[22:23]
	v_mov_b32_e32 v7, v10
	s_or_b64 exec, exec, s[20:21]
	s_and_saveexec_b64 s[20:21], s[16:17]
	s_cbranch_execnz .LBB22_1723
	s_branch .LBB22_1724
.LBB22_1743:
	s_mov_b64 s[0:1], -1
                                        ; implicit-def: $vgpr7
.LBB22_1744:
	s_mov_b64 s[22:23], 0
.LBB22_1745:
	s_mov_b64 s[16:17], 0
	s_and_b64 vcc, exec, s[22:23]
	s_cbranch_vccz .LBB22_1747
; %bb.1746:
	v_mov_b32_e32 v7, 11
	v_cmp_ne_u16_sdwa s[0:1], v4, v7 src0_sel:BYTE_0 src1_sel:DWORD
	s_mov_b64 s[16:17], -1
                                        ; implicit-def: $vgpr7
.LBB22_1747:
	s_and_b64 vcc, exec, s[0:1]
	s_cbranch_vccnz .LBB22_1810
; %bb.1748:
	s_andn2_b64 vcc, exec, s[16:17]
	s_cbranch_vccnz .LBB22_1750
.LBB22_1749:
	global_load_ubyte v7, v[0:1], off
	v_mov_b32_e32 v10, 0x3c00
	s_mov_b64 s[20:21], -1
	s_waitcnt vmcnt(0)
	v_cmp_ne_u16_e32 vcc, 0, v7
	v_cndmask_b32_e32 v7, 0, v10, vcc
.LBB22_1750:
	s_branch .LBB22_1677
.LBB22_1751:
	v_mov_b32_e32 v7, 5
	v_cmp_lt_i16_sdwa s[0:1], v4, v7 src0_sel:BYTE_0 src1_sel:DWORD
	s_and_b64 vcc, exec, s[0:1]
	s_cbranch_vccnz .LBB22_1756
; %bb.1752:
	v_mov_b32_e32 v7, 8
	v_cmp_lt_i16_sdwa s[0:1], v4, v7 src0_sel:BYTE_0 src1_sel:DWORD
	s_and_b64 vcc, exec, s[0:1]
	s_cbranch_vccnz .LBB22_1757
; %bb.1753:
	;; [unrolled: 5-line block ×3, first 2 shown]
	v_cmp_gt_i16_sdwa s[0:1], v4, v7 src0_sel:BYTE_0 src1_sel:DWORD
	s_and_b64 vcc, exec, s[0:1]
	s_cbranch_vccz .LBB22_1759
; %bb.1755:
	global_load_dwordx2 v[10:11], v[0:1], off
	s_mov_b64 s[0:1], 0
	s_waitcnt vmcnt(0)
	v_cvt_f32_f64_e32 v7, v[10:11]
	v_cvt_f16_f32_e32 v7, v7
	s_branch .LBB22_1760
.LBB22_1756:
                                        ; implicit-def: $vgpr7
	s_branch .LBB22_1778
.LBB22_1757:
	s_mov_b64 s[0:1], -1
                                        ; implicit-def: $vgpr7
	s_branch .LBB22_1766
.LBB22_1758:
	s_mov_b64 s[0:1], -1
                                        ; implicit-def: $vgpr7
	s_branch .LBB22_1763
.LBB22_1759:
	s_mov_b64 s[0:1], -1
                                        ; implicit-def: $vgpr7
.LBB22_1760:
	s_andn2_b64 vcc, exec, s[0:1]
	s_cbranch_vccnz .LBB22_1762
; %bb.1761:
	global_load_dword v7, v[0:1], off
	s_waitcnt vmcnt(0)
	v_cvt_f16_f32_e32 v7, v7
.LBB22_1762:
	s_mov_b64 s[0:1], 0
.LBB22_1763:
	s_andn2_b64 vcc, exec, s[0:1]
	s_cbranch_vccnz .LBB22_1765
; %bb.1764:
	global_load_dword v7, v[0:1], off
.LBB22_1765:
	s_mov_b64 s[0:1], 0
.LBB22_1766:
	s_andn2_b64 vcc, exec, s[0:1]
	s_cbranch_vccnz .LBB22_1777
; %bb.1767:
	s_waitcnt vmcnt(0)
	v_mov_b32_e32 v7, 6
	v_cmp_lt_i16_sdwa s[0:1], v4, v7 src0_sel:BYTE_0 src1_sel:DWORD
	s_and_b64 vcc, exec, s[0:1]
	s_cbranch_vccnz .LBB22_1770
; %bb.1768:
	v_cmp_gt_i16_sdwa s[0:1], v4, v7 src0_sel:BYTE_0 src1_sel:DWORD
	s_and_b64 vcc, exec, s[0:1]
	s_cbranch_vccz .LBB22_1771
; %bb.1769:
	global_load_dwordx2 v[10:11], v[0:1], off
	s_mov_b64 s[0:1], 0
	s_waitcnt vmcnt(0)
	v_cvt_f32_f64_e32 v7, v[10:11]
	v_cvt_f16_f32_e32 v7, v7
	s_branch .LBB22_1772
.LBB22_1770:
	s_mov_b64 s[0:1], -1
                                        ; implicit-def: $vgpr7
	s_branch .LBB22_1775
.LBB22_1771:
	s_mov_b64 s[0:1], -1
                                        ; implicit-def: $vgpr7
.LBB22_1772:
	s_andn2_b64 vcc, exec, s[0:1]
	s_cbranch_vccnz .LBB22_1774
; %bb.1773:
	global_load_dword v7, v[0:1], off
	s_waitcnt vmcnt(0)
	v_cvt_f16_f32_e32 v7, v7
.LBB22_1774:
	s_mov_b64 s[0:1], 0
.LBB22_1775:
	s_andn2_b64 vcc, exec, s[0:1]
	s_cbranch_vccnz .LBB22_1777
; %bb.1776:
	global_load_ushort v7, v[0:1], off
.LBB22_1777:
	s_cbranch_execnz .LBB22_1797
.LBB22_1778:
	s_waitcnt vmcnt(0)
	v_mov_b32_e32 v7, 2
	v_cmp_lt_i16_sdwa s[0:1], v4, v7 src0_sel:BYTE_0 src1_sel:DWORD
	s_and_b64 vcc, exec, s[0:1]
	s_cbranch_vccnz .LBB22_1782
; %bb.1779:
	v_mov_b32_e32 v7, 3
	v_cmp_lt_i16_sdwa s[0:1], v4, v7 src0_sel:BYTE_0 src1_sel:DWORD
	s_and_b64 vcc, exec, s[0:1]
	s_cbranch_vccnz .LBB22_1783
; %bb.1780:
	v_cmp_gt_i16_sdwa s[0:1], v4, v7 src0_sel:BYTE_0 src1_sel:DWORD
	s_and_b64 vcc, exec, s[0:1]
	s_cbranch_vccz .LBB22_1784
; %bb.1781:
	global_load_dwordx2 v[10:11], v[0:1], off
	s_mov_b64 s[0:1], 0
	s_waitcnt vmcnt(0)
	v_xor_b32_e32 v12, v10, v11
	v_ffbh_i32_e32 v7, v11
	v_ashrrev_i32_e32 v12, 31, v12
	v_add_u32_e32 v7, -1, v7
	v_add_u32_e32 v12, 32, v12
	v_min_u32_e32 v7, v7, v12
	v_lshlrev_b64 v[10:11], v7, v[10:11]
	v_min_u32_e32 v10, 1, v10
	v_or_b32_e32 v10, v11, v10
	v_cvt_f32_i32_e32 v10, v10
	v_sub_u32_e32 v7, 32, v7
	v_ldexp_f32 v7, v10, v7
	v_cvt_f16_f32_e32 v7, v7
	s_branch .LBB22_1785
.LBB22_1782:
	s_mov_b64 s[0:1], -1
                                        ; implicit-def: $vgpr7
	s_branch .LBB22_1791
.LBB22_1783:
	s_mov_b64 s[0:1], -1
                                        ; implicit-def: $vgpr7
	s_branch .LBB22_1788
.LBB22_1784:
	s_mov_b64 s[0:1], -1
                                        ; implicit-def: $vgpr7
.LBB22_1785:
	s_andn2_b64 vcc, exec, s[0:1]
	s_cbranch_vccnz .LBB22_1787
; %bb.1786:
	global_load_dword v7, v[0:1], off
	s_waitcnt vmcnt(0)
	v_cvt_f32_i32_e32 v7, v7
	v_cvt_f16_f32_e32 v7, v7
.LBB22_1787:
	s_mov_b64 s[0:1], 0
.LBB22_1788:
	s_andn2_b64 vcc, exec, s[0:1]
	s_cbranch_vccnz .LBB22_1790
; %bb.1789:
	global_load_ushort v7, v[0:1], off
	s_waitcnt vmcnt(0)
	v_cvt_f16_i16_e32 v7, v7
.LBB22_1790:
	s_mov_b64 s[0:1], 0
.LBB22_1791:
	s_andn2_b64 vcc, exec, s[0:1]
	s_cbranch_vccnz .LBB22_1797
; %bb.1792:
	v_mov_b32_e32 v7, 0
	v_cmp_gt_i16_sdwa s[0:1], v4, v7 src0_sel:BYTE_0 src1_sel:DWORD
	s_and_b64 vcc, exec, s[0:1]
	s_cbranch_vccz .LBB22_1794
; %bb.1793:
	global_load_sbyte v7, v[0:1], off
	s_mov_b64 s[0:1], 0
	s_waitcnt vmcnt(0)
	v_cvt_f16_i16_e32 v7, v7
	s_branch .LBB22_1795
.LBB22_1794:
	s_mov_b64 s[0:1], -1
                                        ; implicit-def: $vgpr7
.LBB22_1795:
	s_andn2_b64 vcc, exec, s[0:1]
	s_cbranch_vccnz .LBB22_1797
; %bb.1796:
	global_load_ubyte v0, v[0:1], off
	s_waitcnt vmcnt(0)
	v_cvt_f16_u16_e32 v7, v0
.LBB22_1797:
.LBB22_1798:
	s_lshl_b32 s13, s13, 7
	v_add_u32_e32 v10, s13, v8
	v_ashrrev_i32_e32 v1, 31, v10
	v_mov_b32_e32 v8, s11
	v_add_co_u32_e32 v0, vcc, s10, v10
	v_addc_co_u32_e32 v1, vcc, v8, v1, vcc
	v_mov_b32_e32 v8, 11
	v_cmp_lt_i16_sdwa s[0:1], v5, v8 src0_sel:BYTE_0 src1_sel:DWORD
	s_and_b64 vcc, exec, s[0:1]
	s_cbranch_vccnz .LBB22_1805
; %bb.1799:
	v_mov_b32_e32 v8, 25
	v_cmp_gt_i16_sdwa s[0:1], v5, v8 src0_sel:BYTE_0 src1_sel:DWORD
	s_mov_b64 s[16:17], 0
	s_and_b64 vcc, exec, s[0:1]
	s_cbranch_vccz .LBB22_1807
; %bb.1800:
	v_mov_b32_e32 v8, 28
	v_cmp_gt_i16_sdwa s[0:1], v5, v8 src0_sel:BYTE_0 src1_sel:DWORD
	s_and_b64 vcc, exec, s[0:1]
	s_cbranch_vccz .LBB22_1808
; %bb.1801:
	v_mov_b32_e32 v8, 43
	v_cmp_gt_i16_sdwa s[0:1], v5, v8 src0_sel:BYTE_0 src1_sel:DWORD
	;; [unrolled: 5-line block ×3, first 2 shown]
	s_and_b64 vcc, exec, s[0:1]
	s_cbranch_vccz .LBB22_1811
; %bb.1803:
	v_mov_b32_e32 v8, 46
	v_cmp_eq_u16_sdwa s[0:1], v5, v8 src0_sel:BYTE_0 src1_sel:DWORD
	s_mov_b64 s[22:23], 0
	s_and_b64 vcc, exec, s[0:1]
	s_cbranch_vccz .LBB22_1812
; %bb.1804:
	global_load_dword v8, v[0:1], off
	s_mov_b64 s[0:1], 0
	s_mov_b64 s[20:21], -1
	s_waitcnt vmcnt(0)
	v_lshlrev_b32_e32 v8, 16, v8
	v_cvt_f16_f32_e32 v8, v8
	s_branch .LBB22_1813
.LBB22_1805:
	s_mov_b64 s[20:21], 0
                                        ; implicit-def: $vgpr8
	s_cbranch_execnz .LBB22_1879
.LBB22_1806:
	s_andn2_b64 vcc, exec, s[20:21]
	s_cbranch_vccnz .LBB22_3032
	s_branch .LBB22_1927
.LBB22_1807:
	s_mov_b64 s[22:23], -1
	s_mov_b64 s[20:21], 0
	s_mov_b64 s[0:1], 0
                                        ; implicit-def: $vgpr8
	s_branch .LBB22_1842
.LBB22_1808:
	s_mov_b64 s[22:23], -1
	s_mov_b64 s[20:21], 0
	s_mov_b64 s[0:1], 0
                                        ; implicit-def: $vgpr8
	s_branch .LBB22_1823
.LBB22_1809:
	s_mov_b64 s[22:23], -1
	s_mov_b64 s[20:21], 0
	s_mov_b64 s[0:1], 0
                                        ; implicit-def: $vgpr8
	s_branch .LBB22_1818
.LBB22_1810:
	s_trap 2
	s_or_b64 s[18:19], s[18:19], exec
                                        ; implicit-def: $vgpr7
	s_cbranch_execz .LBB22_1749
	s_branch .LBB22_1750
.LBB22_1811:
	s_mov_b64 s[22:23], -1
	s_mov_b64 s[20:21], 0
	s_mov_b64 s[0:1], 0
                                        ; implicit-def: $vgpr8
	s_branch .LBB22_1813
.LBB22_1812:
	s_mov_b64 s[0:1], -1
                                        ; implicit-def: $vgpr8
	s_mov_b64 s[20:21], 0
.LBB22_1813:
	s_and_b64 vcc, exec, s[22:23]
	s_cbranch_vccz .LBB22_1817
; %bb.1814:
	v_mov_b32_e32 v8, 44
	v_cmp_eq_u16_sdwa s[0:1], v5, v8 src0_sel:BYTE_0 src1_sel:DWORD
	s_and_b64 vcc, exec, s[0:1]
	s_cbranch_vccz .LBB22_1816
; %bb.1815:
	global_load_ubyte v8, v[0:1], off
	s_movk_i32 s15, 0xff
	v_mov_b32_e32 v12, 0x7e00
	s_mov_b64 s[0:1], 0
	s_mov_b64 s[20:21], -1
	s_waitcnt vmcnt(0)
	v_lshlrev_b32_e32 v11, 23, v8
	v_cvt_f16_f32_e32 v11, v11
	v_cmp_ne_u32_e32 vcc, s15, v8
	v_cndmask_b32_e32 v11, v12, v11, vcc
	v_cmp_ne_u32_e32 vcc, 0, v8
	v_cndmask_b32_e32 v8, 0, v11, vcc
	s_branch .LBB22_1817
.LBB22_1816:
	s_mov_b64 s[0:1], -1
                                        ; implicit-def: $vgpr8
.LBB22_1817:
	s_mov_b64 s[22:23], 0
.LBB22_1818:
	s_and_b64 vcc, exec, s[22:23]
	s_cbranch_vccz .LBB22_1822
; %bb.1819:
	v_mov_b32_e32 v8, 29
	v_cmp_eq_u16_sdwa s[0:1], v5, v8 src0_sel:BYTE_0 src1_sel:DWORD
	s_and_b64 vcc, exec, s[0:1]
	s_cbranch_vccz .LBB22_1821
; %bb.1820:
	global_load_dwordx2 v[12:13], v[0:1], off
	s_mov_b64 s[0:1], 0
	s_mov_b64 s[20:21], -1
	s_mov_b64 s[22:23], 0
	s_waitcnt vmcnt(0)
	v_ffbh_u32_e32 v8, v13
	v_min_u32_e32 v8, 32, v8
	v_lshlrev_b64 v[12:13], v8, v[12:13]
	v_min_u32_e32 v11, 1, v12
	v_or_b32_e32 v11, v13, v11
	v_cvt_f32_u32_e32 v11, v11
	v_sub_u32_e32 v8, 32, v8
	v_ldexp_f32 v8, v11, v8
	v_cvt_f16_f32_e32 v8, v8
	s_branch .LBB22_1823
.LBB22_1821:
	s_mov_b64 s[0:1], -1
                                        ; implicit-def: $vgpr8
.LBB22_1822:
	s_mov_b64 s[22:23], 0
.LBB22_1823:
	s_and_b64 vcc, exec, s[22:23]
	s_cbranch_vccz .LBB22_1841
; %bb.1824:
	v_mov_b32_e32 v8, 27
	v_cmp_lt_i16_sdwa s[20:21], v5, v8 src0_sel:BYTE_0 src1_sel:DWORD
	s_and_b64 vcc, exec, s[20:21]
	s_cbranch_vccnz .LBB22_1827
; %bb.1825:
	v_cmp_gt_i16_sdwa s[20:21], v5, v8 src0_sel:BYTE_0 src1_sel:DWORD
	s_and_b64 vcc, exec, s[20:21]
	s_cbranch_vccz .LBB22_1828
; %bb.1826:
	global_load_dword v8, v[0:1], off
	s_mov_b64 s[20:21], 0
	s_waitcnt vmcnt(0)
	v_cvt_f32_u32_e32 v8, v8
	v_cvt_f16_f32_e32 v8, v8
	s_branch .LBB22_1829
.LBB22_1827:
	s_mov_b64 s[20:21], -1
                                        ; implicit-def: $vgpr8
	s_branch .LBB22_1832
.LBB22_1828:
	s_mov_b64 s[20:21], -1
                                        ; implicit-def: $vgpr8
.LBB22_1829:
	s_andn2_b64 vcc, exec, s[20:21]
	s_cbranch_vccnz .LBB22_1831
; %bb.1830:
	global_load_ushort v8, v[0:1], off
	s_waitcnt vmcnt(0)
	v_cvt_f16_u16_e32 v8, v8
.LBB22_1831:
	s_mov_b64 s[20:21], 0
.LBB22_1832:
	s_andn2_b64 vcc, exec, s[20:21]
	s_cbranch_vccnz .LBB22_1840
; %bb.1833:
	global_load_ubyte v11, v[0:1], off
	s_movk_i32 s15, 0x7f
	s_mov_b64 s[20:21], 0
	s_waitcnt vmcnt(0)
	v_cmp_lt_i16_e32 vcc, s15, v11
                                        ; implicit-def: $sgpr15
	s_and_saveexec_b64 s[22:23], vcc
	s_xor_b64 s[22:23], exec, s[22:23]
	s_cbranch_execz .LBB22_1854
; %bb.1834:
	s_movk_i32 s15, 0x80
	v_cmp_eq_u16_e32 vcc, s15, v11
	s_mov_b64 s[20:21], -1
                                        ; implicit-def: $sgpr15
	s_and_saveexec_b64 s[24:25], vcc
; %bb.1835:
	s_movk_i32 s15, 0x7e00
	s_xor_b64 s[20:21], exec, -1
; %bb.1836:
	s_or_b64 exec, exec, s[24:25]
	s_and_b64 s[20:21], s[20:21], exec
	s_or_saveexec_b64 s[22:23], s[22:23]
	v_mov_b32_e32 v8, s15
	s_xor_b64 exec, exec, s[22:23]
	s_cbranch_execnz .LBB22_1855
.LBB22_1837:
	s_or_b64 exec, exec, s[22:23]
	s_and_saveexec_b64 s[22:23], s[20:21]
	s_cbranch_execz .LBB22_1839
.LBB22_1838:
	v_lshlrev_b32_e32 v8, 24, v11
	v_and_b32_e32 v11, 0xffff, v11
	v_and_b32_e32 v12, 7, v11
	v_ffbh_u32_e32 v14, v12
	v_min_u32_e32 v14, 32, v14
	v_subrev_u32_e32 v15, 28, v14
	v_bfe_u32 v13, v11, 3, 4
	v_lshlrev_b32_e32 v11, v15, v11
	v_sub_u32_e32 v14, 29, v14
	v_and_b32_e32 v11, 7, v11
	v_cmp_eq_u32_e32 vcc, 0, v13
	v_cndmask_b32_e32 v13, v13, v14, vcc
	v_cndmask_b32_e32 v11, v12, v11, vcc
	v_mov_b32_e32 v12, 0x3b800000
	v_lshlrev_b32_e32 v11, 20, v11
	v_and_b32_e32 v8, 0x80000000, v8
	v_lshl_add_u32 v12, v13, 23, v12
	v_or3_b32 v8, v8, v12, v11
	v_cvt_f16_f32_e32 v8, v8
.LBB22_1839:
	s_or_b64 exec, exec, s[22:23]
.LBB22_1840:
	s_mov_b64 s[20:21], -1
.LBB22_1841:
	s_mov_b64 s[22:23], 0
.LBB22_1842:
	s_and_b64 vcc, exec, s[22:23]
	s_cbranch_vccz .LBB22_1875
; %bb.1843:
	v_mov_b32_e32 v8, 22
	v_cmp_gt_i16_sdwa s[16:17], v5, v8 src0_sel:BYTE_0 src1_sel:DWORD
	s_and_b64 vcc, exec, s[16:17]
	s_cbranch_vccz .LBB22_1853
; %bb.1844:
	v_mov_b32_e32 v8, 24
	v_cmp_lt_i16_sdwa s[16:17], v5, v8 src0_sel:BYTE_0 src1_sel:DWORD
	s_and_b64 vcc, exec, s[16:17]
	s_cbranch_vccnz .LBB22_1856
; %bb.1845:
	v_cmp_gt_i16_sdwa s[16:17], v5, v8 src0_sel:BYTE_0 src1_sel:DWORD
	s_and_b64 vcc, exec, s[16:17]
	s_cbranch_vccz .LBB22_1857
; %bb.1846:
	global_load_ubyte v11, v[0:1], off
	s_movk_i32 s15, 0x7f
	s_mov_b64 s[16:17], 0
	s_waitcnt vmcnt(0)
	v_cmp_lt_i16_e32 vcc, s15, v11
                                        ; implicit-def: $sgpr15
	s_and_saveexec_b64 s[20:21], vcc
	s_xor_b64 s[20:21], exec, s[20:21]
	s_cbranch_execz .LBB22_1869
; %bb.1847:
	s_movk_i32 s15, 0x80
	v_cmp_eq_u16_e32 vcc, s15, v11
	s_mov_b64 s[16:17], -1
                                        ; implicit-def: $sgpr15
	s_and_saveexec_b64 s[22:23], vcc
; %bb.1848:
	s_movk_i32 s15, 0x7e00
	s_xor_b64 s[16:17], exec, -1
; %bb.1849:
	s_or_b64 exec, exec, s[22:23]
	s_and_b64 s[16:17], s[16:17], exec
	s_or_saveexec_b64 s[20:21], s[20:21]
	v_mov_b32_e32 v8, s15
	s_xor_b64 exec, exec, s[20:21]
	s_cbranch_execnz .LBB22_1870
.LBB22_1850:
	s_or_b64 exec, exec, s[20:21]
	s_and_saveexec_b64 s[20:21], s[16:17]
	s_cbranch_execz .LBB22_1852
.LBB22_1851:
	v_lshlrev_b32_e32 v8, 24, v11
	v_and_b32_e32 v11, 0xffff, v11
	v_and_b32_e32 v12, 3, v11
	v_ffbh_u32_e32 v14, v12
	v_min_u32_e32 v14, 32, v14
	v_subrev_u32_e32 v15, 29, v14
	v_bfe_u32 v13, v11, 2, 5
	v_lshlrev_b32_e32 v11, v15, v11
	v_sub_u32_e32 v14, 30, v14
	v_and_b32_e32 v11, 3, v11
	v_cmp_eq_u32_e32 vcc, 0, v13
	v_cndmask_b32_e32 v13, v13, v14, vcc
	v_cndmask_b32_e32 v11, v12, v11, vcc
	v_mov_b32_e32 v12, 0x37800000
	v_lshlrev_b32_e32 v11, 21, v11
	v_and_b32_e32 v8, 0x80000000, v8
	v_lshl_add_u32 v12, v13, 23, v12
	v_or3_b32 v8, v8, v12, v11
	v_cvt_f16_f32_e32 v8, v8
.LBB22_1852:
	s_or_b64 exec, exec, s[20:21]
	s_mov_b64 s[16:17], 0
	s_branch .LBB22_1858
.LBB22_1853:
	s_mov_b64 s[16:17], -1
                                        ; implicit-def: $vgpr8
	s_branch .LBB22_1864
.LBB22_1854:
	s_or_saveexec_b64 s[22:23], s[22:23]
	v_mov_b32_e32 v8, s15
	s_xor_b64 exec, exec, s[22:23]
	s_cbranch_execz .LBB22_1837
.LBB22_1855:
	v_cmp_ne_u16_e32 vcc, 0, v11
	s_andn2_b64 s[20:21], s[20:21], exec
	s_and_b64 s[24:25], vcc, exec
	s_or_b64 s[20:21], s[20:21], s[24:25]
	v_mov_b32_e32 v8, v11
	s_or_b64 exec, exec, s[22:23]
	s_and_saveexec_b64 s[22:23], s[20:21]
	s_cbranch_execnz .LBB22_1838
	s_branch .LBB22_1839
.LBB22_1856:
	s_mov_b64 s[16:17], -1
                                        ; implicit-def: $vgpr8
	s_branch .LBB22_1861
.LBB22_1857:
	s_mov_b64 s[16:17], -1
                                        ; implicit-def: $vgpr8
.LBB22_1858:
	s_and_b64 vcc, exec, s[16:17]
	s_cbranch_vccz .LBB22_1860
; %bb.1859:
	global_load_ubyte v8, v[0:1], off
	s_mov_b32 s15, 0x7f800000
	s_waitcnt vmcnt(0)
	v_lshlrev_b32_e32 v8, 24, v8
	v_and_b32_e32 v11, 0x7f000000, v8
	v_ffbh_u32_e32 v12, v11
	v_min_u32_e32 v12, 32, v12
	v_sub_u32_e64 v12, v12, 4 clamp
	v_lshlrev_b32_e32 v14, v12, v11
	v_lshlrev_b32_e32 v12, 23, v12
	v_lshrrev_b32_e32 v14, 4, v14
	v_add_u32_e32 v13, 0x1000000, v11
	v_sub_u32_e32 v12, v14, v12
	v_ashrrev_i32_e32 v13, 8, v13
	v_add_u32_e32 v12, 0x3c000000, v12
	v_and_or_b32 v12, v13, s15, v12
	v_cmp_ne_u32_e32 vcc, 0, v11
	v_cndmask_b32_e32 v11, 0, v12, vcc
	s_brev_b32 s15, 1
	v_and_or_b32 v8, v8, s15, v11
	v_cvt_f16_f32_e32 v8, v8
.LBB22_1860:
	s_mov_b64 s[16:17], 0
.LBB22_1861:
	s_andn2_b64 vcc, exec, s[16:17]
	s_cbranch_vccnz .LBB22_1863
; %bb.1862:
	global_load_ubyte v8, v[0:1], off
	s_movk_i32 s15, 0x7f00
	s_brev_b32 s16, 16
	s_waitcnt vmcnt(0)
	v_lshlrev_b16_e32 v11, 8, v8
	v_lshlrev_b32_e32 v8, 25, v8
	v_lshrrev_b32_e32 v12, 4, v8
	v_and_or_b32 v13, v11, s15, 0.5
	v_or_b32_e32 v12, 0x70000000, v12
	v_add_f32_e32 v13, -0.5, v13
	v_mul_f32_e32 v12, 0x7800000, v12
	v_cmp_gt_u32_e32 vcc, s16, v8
	v_bfe_i32 v11, v11, 0, 16
	v_cndmask_b32_e32 v8, v12, v13, vcc
	s_brev_b32 s15, 1
	v_and_or_b32 v8, v11, s15, v8
	v_cvt_f16_f32_e32 v8, v8
.LBB22_1863:
	s_mov_b64 s[16:17], 0
	s_mov_b64 s[20:21], -1
.LBB22_1864:
	s_andn2_b64 vcc, exec, s[16:17]
	s_mov_b64 s[16:17], 0
	s_cbranch_vccnz .LBB22_1875
; %bb.1865:
	v_mov_b32_e32 v8, 14
	v_cmp_gt_i16_sdwa s[16:17], v5, v8 src0_sel:BYTE_0 src1_sel:DWORD
	s_and_b64 vcc, exec, s[16:17]
	s_cbranch_vccz .LBB22_1868
; %bb.1866:
	v_mov_b32_e32 v8, 15
	v_cmp_eq_u16_sdwa s[0:1], v5, v8 src0_sel:BYTE_0 src1_sel:DWORD
	s_and_b64 vcc, exec, s[0:1]
	s_cbranch_vccz .LBB22_1871
; %bb.1867:
	global_load_ushort v8, v[0:1], off
	s_mov_b64 s[0:1], 0
	s_mov_b64 s[20:21], -1
	s_waitcnt vmcnt(0)
	v_lshlrev_b32_e32 v8, 16, v8
	v_cvt_f16_f32_e32 v8, v8
	s_branch .LBB22_1872
.LBB22_1868:
	s_mov_b64 s[22:23], -1
                                        ; implicit-def: $vgpr8
	s_branch .LBB22_1873
.LBB22_1869:
	s_or_saveexec_b64 s[20:21], s[20:21]
	v_mov_b32_e32 v8, s15
	s_xor_b64 exec, exec, s[20:21]
	s_cbranch_execz .LBB22_1850
.LBB22_1870:
	v_cmp_ne_u16_e32 vcc, 0, v11
	s_andn2_b64 s[16:17], s[16:17], exec
	s_and_b64 s[22:23], vcc, exec
	s_or_b64 s[16:17], s[16:17], s[22:23]
	v_mov_b32_e32 v8, v11
	s_or_b64 exec, exec, s[20:21]
	s_and_saveexec_b64 s[20:21], s[16:17]
	s_cbranch_execnz .LBB22_1851
	s_branch .LBB22_1852
.LBB22_1871:
	s_mov_b64 s[0:1], -1
                                        ; implicit-def: $vgpr8
.LBB22_1872:
	s_mov_b64 s[22:23], 0
.LBB22_1873:
	s_mov_b64 s[16:17], 0
	s_and_b64 vcc, exec, s[22:23]
	s_cbranch_vccz .LBB22_1875
; %bb.1874:
	v_mov_b32_e32 v8, 11
	v_cmp_ne_u16_sdwa s[0:1], v5, v8 src0_sel:BYTE_0 src1_sel:DWORD
	s_mov_b64 s[16:17], -1
                                        ; implicit-def: $vgpr8
.LBB22_1875:
	s_and_b64 vcc, exec, s[0:1]
	s_cbranch_vccnz .LBB22_1938
; %bb.1876:
	s_andn2_b64 vcc, exec, s[16:17]
	s_cbranch_vccnz .LBB22_1878
.LBB22_1877:
	global_load_ubyte v8, v[0:1], off
	v_mov_b32_e32 v11, 0x3c00
	s_mov_b64 s[20:21], -1
	s_waitcnt vmcnt(0)
	v_cmp_ne_u16_e32 vcc, 0, v8
	v_cndmask_b32_e32 v8, 0, v11, vcc
.LBB22_1878:
	s_branch .LBB22_1806
.LBB22_1879:
	v_mov_b32_e32 v8, 5
	v_cmp_lt_i16_sdwa s[0:1], v5, v8 src0_sel:BYTE_0 src1_sel:DWORD
	s_and_b64 vcc, exec, s[0:1]
	s_cbranch_vccnz .LBB22_1884
; %bb.1880:
	v_mov_b32_e32 v8, 8
	v_cmp_lt_i16_sdwa s[0:1], v5, v8 src0_sel:BYTE_0 src1_sel:DWORD
	s_and_b64 vcc, exec, s[0:1]
	s_cbranch_vccnz .LBB22_1885
; %bb.1881:
	;; [unrolled: 5-line block ×3, first 2 shown]
	v_cmp_gt_i16_sdwa s[0:1], v5, v8 src0_sel:BYTE_0 src1_sel:DWORD
	s_and_b64 vcc, exec, s[0:1]
	s_cbranch_vccz .LBB22_1887
; %bb.1883:
	global_load_dwordx2 v[12:13], v[0:1], off
	s_mov_b64 s[0:1], 0
	s_waitcnt vmcnt(0)
	v_cvt_f32_f64_e32 v8, v[12:13]
	v_cvt_f16_f32_e32 v8, v8
	s_branch .LBB22_1888
.LBB22_1884:
	s_mov_b64 s[0:1], -1
                                        ; implicit-def: $vgpr8
	s_branch .LBB22_1906
.LBB22_1885:
	s_mov_b64 s[0:1], -1
                                        ; implicit-def: $vgpr8
	s_branch .LBB22_1894
.LBB22_1886:
	s_mov_b64 s[0:1], -1
                                        ; implicit-def: $vgpr8
	s_branch .LBB22_1891
.LBB22_1887:
	s_mov_b64 s[0:1], -1
                                        ; implicit-def: $vgpr8
.LBB22_1888:
	s_andn2_b64 vcc, exec, s[0:1]
	s_cbranch_vccnz .LBB22_1890
; %bb.1889:
	global_load_dword v8, v[0:1], off
	s_waitcnt vmcnt(0)
	v_cvt_f16_f32_e32 v8, v8
.LBB22_1890:
	s_mov_b64 s[0:1], 0
.LBB22_1891:
	s_andn2_b64 vcc, exec, s[0:1]
	s_cbranch_vccnz .LBB22_1893
; %bb.1892:
	global_load_dword v8, v[0:1], off
.LBB22_1893:
	s_mov_b64 s[0:1], 0
.LBB22_1894:
	s_andn2_b64 vcc, exec, s[0:1]
	s_cbranch_vccnz .LBB22_1905
; %bb.1895:
	s_waitcnt vmcnt(0)
	v_mov_b32_e32 v8, 6
	v_cmp_lt_i16_sdwa s[0:1], v5, v8 src0_sel:BYTE_0 src1_sel:DWORD
	s_and_b64 vcc, exec, s[0:1]
	s_cbranch_vccnz .LBB22_1898
; %bb.1896:
	v_cmp_gt_i16_sdwa s[0:1], v5, v8 src0_sel:BYTE_0 src1_sel:DWORD
	s_and_b64 vcc, exec, s[0:1]
	s_cbranch_vccz .LBB22_1899
; %bb.1897:
	global_load_dwordx2 v[12:13], v[0:1], off
	s_mov_b64 s[0:1], 0
	s_waitcnt vmcnt(0)
	v_cvt_f32_f64_e32 v8, v[12:13]
	v_cvt_f16_f32_e32 v8, v8
	s_branch .LBB22_1900
.LBB22_1898:
	s_mov_b64 s[0:1], -1
                                        ; implicit-def: $vgpr8
	s_branch .LBB22_1903
.LBB22_1899:
	s_mov_b64 s[0:1], -1
                                        ; implicit-def: $vgpr8
.LBB22_1900:
	s_andn2_b64 vcc, exec, s[0:1]
	s_cbranch_vccnz .LBB22_1902
; %bb.1901:
	global_load_dword v8, v[0:1], off
	s_waitcnt vmcnt(0)
	v_cvt_f16_f32_e32 v8, v8
.LBB22_1902:
	s_mov_b64 s[0:1], 0
.LBB22_1903:
	s_andn2_b64 vcc, exec, s[0:1]
	s_cbranch_vccnz .LBB22_1905
; %bb.1904:
	global_load_ushort v8, v[0:1], off
.LBB22_1905:
	s_mov_b64 s[0:1], 0
.LBB22_1906:
	s_andn2_b64 vcc, exec, s[0:1]
	s_cbranch_vccnz .LBB22_1926
; %bb.1907:
	s_waitcnt vmcnt(0)
	v_mov_b32_e32 v8, 2
	v_cmp_lt_i16_sdwa s[0:1], v5, v8 src0_sel:BYTE_0 src1_sel:DWORD
	s_and_b64 vcc, exec, s[0:1]
	s_cbranch_vccnz .LBB22_1911
; %bb.1908:
	v_mov_b32_e32 v8, 3
	v_cmp_lt_i16_sdwa s[0:1], v5, v8 src0_sel:BYTE_0 src1_sel:DWORD
	s_and_b64 vcc, exec, s[0:1]
	s_cbranch_vccnz .LBB22_1912
; %bb.1909:
	v_cmp_gt_i16_sdwa s[0:1], v5, v8 src0_sel:BYTE_0 src1_sel:DWORD
	s_and_b64 vcc, exec, s[0:1]
	s_cbranch_vccz .LBB22_1913
; %bb.1910:
	global_load_dwordx2 v[12:13], v[0:1], off
	s_mov_b64 s[0:1], 0
	s_waitcnt vmcnt(0)
	v_xor_b32_e32 v11, v12, v13
	v_ffbh_i32_e32 v8, v13
	v_ashrrev_i32_e32 v11, 31, v11
	v_add_u32_e32 v8, -1, v8
	v_add_u32_e32 v11, 32, v11
	v_min_u32_e32 v8, v8, v11
	v_lshlrev_b64 v[12:13], v8, v[12:13]
	v_min_u32_e32 v11, 1, v12
	v_or_b32_e32 v11, v13, v11
	v_cvt_f32_i32_e32 v11, v11
	v_sub_u32_e32 v8, 32, v8
	v_ldexp_f32 v8, v11, v8
	v_cvt_f16_f32_e32 v8, v8
	s_branch .LBB22_1914
.LBB22_1911:
	s_mov_b64 s[0:1], -1
                                        ; implicit-def: $vgpr8
	s_branch .LBB22_1920
.LBB22_1912:
	s_mov_b64 s[0:1], -1
                                        ; implicit-def: $vgpr8
	s_branch .LBB22_1917
.LBB22_1913:
	s_mov_b64 s[0:1], -1
                                        ; implicit-def: $vgpr8
.LBB22_1914:
	s_andn2_b64 vcc, exec, s[0:1]
	s_cbranch_vccnz .LBB22_1916
; %bb.1915:
	global_load_dword v8, v[0:1], off
	s_waitcnt vmcnt(0)
	v_cvt_f32_i32_e32 v8, v8
	v_cvt_f16_f32_e32 v8, v8
.LBB22_1916:
	s_mov_b64 s[0:1], 0
.LBB22_1917:
	s_andn2_b64 vcc, exec, s[0:1]
	s_cbranch_vccnz .LBB22_1919
; %bb.1918:
	global_load_ushort v8, v[0:1], off
	s_waitcnt vmcnt(0)
	v_cvt_f16_i16_e32 v8, v8
.LBB22_1919:
	s_mov_b64 s[0:1], 0
.LBB22_1920:
	s_andn2_b64 vcc, exec, s[0:1]
	s_cbranch_vccnz .LBB22_1926
; %bb.1921:
	v_mov_b32_e32 v8, 0
	v_cmp_gt_i16_sdwa s[0:1], v5, v8 src0_sel:BYTE_0 src1_sel:DWORD
	s_and_b64 vcc, exec, s[0:1]
	s_cbranch_vccz .LBB22_1923
; %bb.1922:
	global_load_sbyte v8, v[0:1], off
	s_mov_b64 s[0:1], 0
	s_waitcnt vmcnt(0)
	v_cvt_f16_i16_e32 v8, v8
	s_branch .LBB22_1924
.LBB22_1923:
	s_mov_b64 s[0:1], -1
                                        ; implicit-def: $vgpr8
.LBB22_1924:
	s_andn2_b64 vcc, exec, s[0:1]
	s_cbranch_vccnz .LBB22_1926
; %bb.1925:
	global_load_ubyte v0, v[0:1], off
	s_waitcnt vmcnt(0)
	v_cvt_f16_u16_e32 v8, v0
.LBB22_1926:
.LBB22_1927:
	s_lshl_b32 s24, s14, 7
	v_add_u32_e32 v11, s24, v9
	v_ashrrev_i32_e32 v1, 31, v11
	v_mov_b32_e32 v9, s3
	v_add_co_u32_e32 v0, vcc, s2, v11
	v_addc_co_u32_e32 v1, vcc, v9, v1, vcc
	v_mov_b32_e32 v9, 11
	v_cmp_lt_i16_sdwa s[0:1], v4, v9 src0_sel:BYTE_0 src1_sel:DWORD
	s_and_b64 vcc, exec, s[0:1]
	s_cbranch_vccnz .LBB22_1934
; %bb.1928:
	v_mov_b32_e32 v9, 25
	v_cmp_gt_i16_sdwa s[0:1], v4, v9 src0_sel:BYTE_0 src1_sel:DWORD
	s_mov_b64 s[14:15], 0
	s_and_b64 vcc, exec, s[0:1]
	s_cbranch_vccz .LBB22_1935
; %bb.1929:
	v_mov_b32_e32 v9, 28
	v_cmp_gt_i16_sdwa s[0:1], v4, v9 src0_sel:BYTE_0 src1_sel:DWORD
	s_and_b64 vcc, exec, s[0:1]
	s_cbranch_vccz .LBB22_1936
; %bb.1930:
	v_mov_b32_e32 v9, 43
	v_cmp_gt_i16_sdwa s[0:1], v4, v9 src0_sel:BYTE_0 src1_sel:DWORD
	s_and_b64 vcc, exec, s[0:1]
	s_cbranch_vccz .LBB22_1937
; %bb.1931:
	v_mov_b32_e32 v9, 45
	v_cmp_gt_i16_sdwa s[0:1], v4, v9 src0_sel:BYTE_0 src1_sel:DWORD
	s_and_b64 vcc, exec, s[0:1]
	s_cbranch_vccz .LBB22_1939
; %bb.1932:
	v_mov_b32_e32 v9, 46
	v_cmp_eq_u16_sdwa s[0:1], v4, v9 src0_sel:BYTE_0 src1_sel:DWORD
	s_mov_b64 s[20:21], 0
	s_and_b64 vcc, exec, s[0:1]
	s_cbranch_vccz .LBB22_1940
; %bb.1933:
	global_load_dword v9, v[0:1], off
	s_mov_b64 s[0:1], 0
	s_mov_b64 s[16:17], -1
	s_waitcnt vmcnt(0)
	v_lshlrev_b32_e32 v9, 16, v9
	v_cvt_f16_f32_e32 v9, v9
	s_branch .LBB22_1941
.LBB22_1934:
	s_mov_b64 s[0:1], -1
	s_mov_b64 s[16:17], 0
                                        ; implicit-def: $vgpr9
	s_branch .LBB22_2007
.LBB22_1935:
	s_mov_b64 s[20:21], -1
	s_mov_b64 s[16:17], 0
	s_mov_b64 s[0:1], 0
                                        ; implicit-def: $vgpr9
	s_branch .LBB22_1970
.LBB22_1936:
	s_mov_b64 s[20:21], -1
	s_mov_b64 s[16:17], 0
	s_mov_b64 s[0:1], 0
                                        ; implicit-def: $vgpr9
	s_branch .LBB22_1951
.LBB22_1937:
	s_mov_b64 s[20:21], -1
	s_mov_b64 s[16:17], 0
	s_mov_b64 s[0:1], 0
                                        ; implicit-def: $vgpr9
	s_branch .LBB22_1946
.LBB22_1938:
	s_trap 2
	s_or_b64 s[18:19], s[18:19], exec
                                        ; implicit-def: $vgpr8
	s_cbranch_execz .LBB22_1877
	s_branch .LBB22_1878
.LBB22_1939:
	s_mov_b64 s[20:21], -1
	s_mov_b64 s[16:17], 0
	s_mov_b64 s[0:1], 0
                                        ; implicit-def: $vgpr9
	s_branch .LBB22_1941
.LBB22_1940:
	s_mov_b64 s[0:1], -1
                                        ; implicit-def: $vgpr9
	s_mov_b64 s[16:17], 0
.LBB22_1941:
	s_and_b64 vcc, exec, s[20:21]
	s_cbranch_vccz .LBB22_1945
; %bb.1942:
	v_mov_b32_e32 v9, 44
	v_cmp_eq_u16_sdwa s[0:1], v4, v9 src0_sel:BYTE_0 src1_sel:DWORD
	s_and_b64 vcc, exec, s[0:1]
	s_cbranch_vccz .LBB22_1944
; %bb.1943:
	global_load_ubyte v9, v[0:1], off
	s_movk_i32 s16, 0xff
	v_mov_b32_e32 v13, 0x7e00
	s_mov_b64 s[0:1], 0
	s_waitcnt vmcnt(0)
	v_lshlrev_b32_e32 v12, 23, v9
	v_cvt_f16_f32_e32 v12, v12
	v_cmp_ne_u32_e32 vcc, s16, v9
	s_mov_b64 s[16:17], -1
	v_cndmask_b32_e32 v12, v13, v12, vcc
	v_cmp_ne_u32_e32 vcc, 0, v9
	v_cndmask_b32_e32 v9, 0, v12, vcc
	s_branch .LBB22_1945
.LBB22_1944:
	s_mov_b64 s[0:1], -1
                                        ; implicit-def: $vgpr9
.LBB22_1945:
	s_mov_b64 s[20:21], 0
.LBB22_1946:
	s_and_b64 vcc, exec, s[20:21]
	s_cbranch_vccz .LBB22_1950
; %bb.1947:
	v_mov_b32_e32 v9, 29
	v_cmp_eq_u16_sdwa s[0:1], v4, v9 src0_sel:BYTE_0 src1_sel:DWORD
	s_and_b64 vcc, exec, s[0:1]
	s_cbranch_vccz .LBB22_1949
; %bb.1948:
	global_load_dwordx2 v[12:13], v[0:1], off
	s_mov_b64 s[0:1], 0
	s_mov_b64 s[16:17], -1
	s_mov_b64 s[20:21], 0
	s_waitcnt vmcnt(0)
	v_ffbh_u32_e32 v9, v13
	v_min_u32_e32 v9, 32, v9
	v_lshlrev_b64 v[12:13], v9, v[12:13]
	v_min_u32_e32 v12, 1, v12
	v_or_b32_e32 v12, v13, v12
	v_cvt_f32_u32_e32 v12, v12
	v_sub_u32_e32 v9, 32, v9
	v_ldexp_f32 v9, v12, v9
	v_cvt_f16_f32_e32 v9, v9
	s_branch .LBB22_1951
.LBB22_1949:
	s_mov_b64 s[0:1], -1
                                        ; implicit-def: $vgpr9
.LBB22_1950:
	s_mov_b64 s[20:21], 0
.LBB22_1951:
	s_and_b64 vcc, exec, s[20:21]
	s_cbranch_vccz .LBB22_1969
; %bb.1952:
	v_mov_b32_e32 v9, 27
	v_cmp_lt_i16_sdwa s[16:17], v4, v9 src0_sel:BYTE_0 src1_sel:DWORD
	s_and_b64 vcc, exec, s[16:17]
	s_cbranch_vccnz .LBB22_1955
; %bb.1953:
	v_cmp_gt_i16_sdwa s[16:17], v4, v9 src0_sel:BYTE_0 src1_sel:DWORD
	s_and_b64 vcc, exec, s[16:17]
	s_cbranch_vccz .LBB22_1956
; %bb.1954:
	global_load_dword v9, v[0:1], off
	s_mov_b64 s[16:17], 0
	s_waitcnt vmcnt(0)
	v_cvt_f32_u32_e32 v9, v9
	v_cvt_f16_f32_e32 v9, v9
	s_branch .LBB22_1957
.LBB22_1955:
	s_mov_b64 s[16:17], -1
                                        ; implicit-def: $vgpr9
	s_branch .LBB22_1960
.LBB22_1956:
	s_mov_b64 s[16:17], -1
                                        ; implicit-def: $vgpr9
.LBB22_1957:
	s_andn2_b64 vcc, exec, s[16:17]
	s_cbranch_vccnz .LBB22_1959
; %bb.1958:
	global_load_ushort v9, v[0:1], off
	s_waitcnt vmcnt(0)
	v_cvt_f16_u16_e32 v9, v9
.LBB22_1959:
	s_mov_b64 s[16:17], 0
.LBB22_1960:
	s_andn2_b64 vcc, exec, s[16:17]
	s_cbranch_vccnz .LBB22_1968
; %bb.1961:
	global_load_ubyte v12, v[0:1], off
	s_movk_i32 s16, 0x7f
                                        ; implicit-def: $sgpr25
	s_waitcnt vmcnt(0)
	v_cmp_lt_i16_e32 vcc, s16, v12
	s_mov_b64 s[16:17], 0
	s_and_saveexec_b64 s[20:21], vcc
	s_xor_b64 s[20:21], exec, s[20:21]
	s_cbranch_execz .LBB22_1982
; %bb.1962:
	s_movk_i32 s16, 0x80
	v_cmp_eq_u16_e32 vcc, s16, v12
	s_mov_b64 s[16:17], -1
                                        ; implicit-def: $sgpr25
	s_and_saveexec_b64 s[22:23], vcc
; %bb.1963:
	s_movk_i32 s25, 0x7e00
	s_xor_b64 s[16:17], exec, -1
; %bb.1964:
	s_or_b64 exec, exec, s[22:23]
	s_and_b64 s[16:17], s[16:17], exec
	s_or_saveexec_b64 s[20:21], s[20:21]
	v_mov_b32_e32 v9, s25
	s_xor_b64 exec, exec, s[20:21]
	s_cbranch_execnz .LBB22_1983
.LBB22_1965:
	s_or_b64 exec, exec, s[20:21]
	s_and_saveexec_b64 s[20:21], s[16:17]
	s_cbranch_execz .LBB22_1967
.LBB22_1966:
	v_lshlrev_b32_e32 v9, 24, v12
	v_and_b32_e32 v12, 0xffff, v12
	v_and_b32_e32 v13, 7, v12
	v_ffbh_u32_e32 v15, v13
	v_min_u32_e32 v15, 32, v15
	v_subrev_u32_e32 v16, 28, v15
	v_bfe_u32 v14, v12, 3, 4
	v_lshlrev_b32_e32 v12, v16, v12
	v_sub_u32_e32 v15, 29, v15
	v_and_b32_e32 v12, 7, v12
	v_cmp_eq_u32_e32 vcc, 0, v14
	v_cndmask_b32_e32 v14, v14, v15, vcc
	v_cndmask_b32_e32 v12, v13, v12, vcc
	v_mov_b32_e32 v13, 0x3b800000
	v_lshlrev_b32_e32 v12, 20, v12
	v_and_b32_e32 v9, 0x80000000, v9
	v_lshl_add_u32 v13, v14, 23, v13
	v_or3_b32 v9, v9, v13, v12
	v_cvt_f16_f32_e32 v9, v9
.LBB22_1967:
	s_or_b64 exec, exec, s[20:21]
.LBB22_1968:
	s_mov_b64 s[16:17], -1
.LBB22_1969:
	s_mov_b64 s[20:21], 0
.LBB22_1970:
	s_and_b64 vcc, exec, s[20:21]
	s_cbranch_vccz .LBB22_2003
; %bb.1971:
	v_mov_b32_e32 v9, 22
	v_cmp_gt_i16_sdwa s[14:15], v4, v9 src0_sel:BYTE_0 src1_sel:DWORD
	s_and_b64 vcc, exec, s[14:15]
	s_cbranch_vccz .LBB22_1981
; %bb.1972:
	v_mov_b32_e32 v9, 24
	v_cmp_lt_i16_sdwa s[14:15], v4, v9 src0_sel:BYTE_0 src1_sel:DWORD
	s_and_b64 vcc, exec, s[14:15]
	s_cbranch_vccnz .LBB22_1984
; %bb.1973:
	v_cmp_gt_i16_sdwa s[14:15], v4, v9 src0_sel:BYTE_0 src1_sel:DWORD
	s_and_b64 vcc, exec, s[14:15]
	s_cbranch_vccz .LBB22_1985
; %bb.1974:
	global_load_ubyte v12, v[0:1], off
	s_movk_i32 s14, 0x7f
                                        ; implicit-def: $sgpr22
	s_waitcnt vmcnt(0)
	v_cmp_lt_i16_e32 vcc, s14, v12
	s_mov_b64 s[14:15], 0
	s_and_saveexec_b64 s[16:17], vcc
	s_xor_b64 s[16:17], exec, s[16:17]
	s_cbranch_execz .LBB22_1997
; %bb.1975:
	s_movk_i32 s14, 0x80
	v_cmp_eq_u16_e32 vcc, s14, v12
	s_mov_b64 s[14:15], -1
                                        ; implicit-def: $sgpr22
	s_and_saveexec_b64 s[20:21], vcc
; %bb.1976:
	s_movk_i32 s22, 0x7e00
	s_xor_b64 s[14:15], exec, -1
; %bb.1977:
	s_or_b64 exec, exec, s[20:21]
	s_and_b64 s[14:15], s[14:15], exec
	s_or_saveexec_b64 s[16:17], s[16:17]
	v_mov_b32_e32 v9, s22
	s_xor_b64 exec, exec, s[16:17]
	s_cbranch_execnz .LBB22_1998
.LBB22_1978:
	s_or_b64 exec, exec, s[16:17]
	s_and_saveexec_b64 s[16:17], s[14:15]
	s_cbranch_execz .LBB22_1980
.LBB22_1979:
	v_lshlrev_b32_e32 v9, 24, v12
	v_and_b32_e32 v12, 0xffff, v12
	v_and_b32_e32 v13, 3, v12
	v_ffbh_u32_e32 v15, v13
	v_min_u32_e32 v15, 32, v15
	v_subrev_u32_e32 v16, 29, v15
	v_bfe_u32 v14, v12, 2, 5
	v_lshlrev_b32_e32 v12, v16, v12
	v_sub_u32_e32 v15, 30, v15
	v_and_b32_e32 v12, 3, v12
	v_cmp_eq_u32_e32 vcc, 0, v14
	v_cndmask_b32_e32 v14, v14, v15, vcc
	v_cndmask_b32_e32 v12, v13, v12, vcc
	v_mov_b32_e32 v13, 0x37800000
	v_lshlrev_b32_e32 v12, 21, v12
	v_and_b32_e32 v9, 0x80000000, v9
	v_lshl_add_u32 v13, v14, 23, v13
	v_or3_b32 v9, v9, v13, v12
	v_cvt_f16_f32_e32 v9, v9
.LBB22_1980:
	s_or_b64 exec, exec, s[16:17]
	s_mov_b64 s[14:15], 0
	s_branch .LBB22_1986
.LBB22_1981:
	s_mov_b64 s[14:15], -1
                                        ; implicit-def: $vgpr9
	s_branch .LBB22_1992
.LBB22_1982:
	s_or_saveexec_b64 s[20:21], s[20:21]
	v_mov_b32_e32 v9, s25
	s_xor_b64 exec, exec, s[20:21]
	s_cbranch_execz .LBB22_1965
.LBB22_1983:
	v_cmp_ne_u16_e32 vcc, 0, v12
	s_andn2_b64 s[16:17], s[16:17], exec
	s_and_b64 s[22:23], vcc, exec
	s_or_b64 s[16:17], s[16:17], s[22:23]
	v_mov_b32_e32 v9, v12
	s_or_b64 exec, exec, s[20:21]
	s_and_saveexec_b64 s[20:21], s[16:17]
	s_cbranch_execnz .LBB22_1966
	s_branch .LBB22_1967
.LBB22_1984:
	s_mov_b64 s[14:15], -1
                                        ; implicit-def: $vgpr9
	s_branch .LBB22_1989
.LBB22_1985:
	s_mov_b64 s[14:15], -1
                                        ; implicit-def: $vgpr9
.LBB22_1986:
	s_and_b64 vcc, exec, s[14:15]
	s_cbranch_vccz .LBB22_1988
; %bb.1987:
	global_load_ubyte v9, v[0:1], off
	s_mov_b32 s14, 0x7f800000
	s_waitcnt vmcnt(0)
	v_lshlrev_b32_e32 v9, 24, v9
	v_and_b32_e32 v12, 0x7f000000, v9
	v_ffbh_u32_e32 v13, v12
	v_min_u32_e32 v13, 32, v13
	v_sub_u32_e64 v13, v13, 4 clamp
	v_lshlrev_b32_e32 v15, v13, v12
	v_lshlrev_b32_e32 v13, 23, v13
	v_lshrrev_b32_e32 v15, 4, v15
	v_add_u32_e32 v14, 0x1000000, v12
	v_sub_u32_e32 v13, v15, v13
	v_ashrrev_i32_e32 v14, 8, v14
	v_add_u32_e32 v13, 0x3c000000, v13
	v_and_or_b32 v13, v14, s14, v13
	v_cmp_ne_u32_e32 vcc, 0, v12
	v_cndmask_b32_e32 v12, 0, v13, vcc
	s_brev_b32 s14, 1
	v_and_or_b32 v9, v9, s14, v12
	v_cvt_f16_f32_e32 v9, v9
.LBB22_1988:
	s_mov_b64 s[14:15], 0
.LBB22_1989:
	s_andn2_b64 vcc, exec, s[14:15]
	s_cbranch_vccnz .LBB22_1991
; %bb.1990:
	global_load_ubyte v9, v[0:1], off
	s_movk_i32 s14, 0x7f00
	s_brev_b32 s15, 16
	s_waitcnt vmcnt(0)
	v_lshlrev_b16_e32 v12, 8, v9
	v_lshlrev_b32_e32 v9, 25, v9
	v_lshrrev_b32_e32 v13, 4, v9
	v_and_or_b32 v14, v12, s14, 0.5
	v_or_b32_e32 v13, 0x70000000, v13
	v_add_f32_e32 v14, -0.5, v14
	v_mul_f32_e32 v13, 0x7800000, v13
	v_cmp_gt_u32_e32 vcc, s15, v9
	v_bfe_i32 v12, v12, 0, 16
	v_cndmask_b32_e32 v9, v13, v14, vcc
	s_brev_b32 s14, 1
	v_and_or_b32 v9, v12, s14, v9
	v_cvt_f16_f32_e32 v9, v9
.LBB22_1991:
	s_mov_b64 s[14:15], 0
	s_mov_b64 s[16:17], -1
.LBB22_1992:
	s_andn2_b64 vcc, exec, s[14:15]
	s_mov_b64 s[14:15], 0
	s_cbranch_vccnz .LBB22_2003
; %bb.1993:
	v_mov_b32_e32 v9, 14
	v_cmp_gt_i16_sdwa s[14:15], v4, v9 src0_sel:BYTE_0 src1_sel:DWORD
	s_and_b64 vcc, exec, s[14:15]
	s_cbranch_vccz .LBB22_1996
; %bb.1994:
	v_mov_b32_e32 v9, 15
	v_cmp_eq_u16_sdwa s[0:1], v4, v9 src0_sel:BYTE_0 src1_sel:DWORD
	s_and_b64 vcc, exec, s[0:1]
	s_cbranch_vccz .LBB22_1999
; %bb.1995:
	global_load_ushort v9, v[0:1], off
	s_mov_b64 s[0:1], 0
	s_mov_b64 s[16:17], -1
	s_waitcnt vmcnt(0)
	v_lshlrev_b32_e32 v9, 16, v9
	v_cvt_f16_f32_e32 v9, v9
	s_branch .LBB22_2000
.LBB22_1996:
	s_mov_b64 s[20:21], -1
                                        ; implicit-def: $vgpr9
	s_branch .LBB22_2001
.LBB22_1997:
	s_or_saveexec_b64 s[16:17], s[16:17]
	v_mov_b32_e32 v9, s22
	s_xor_b64 exec, exec, s[16:17]
	s_cbranch_execz .LBB22_1978
.LBB22_1998:
	v_cmp_ne_u16_e32 vcc, 0, v12
	s_andn2_b64 s[14:15], s[14:15], exec
	s_and_b64 s[20:21], vcc, exec
	s_or_b64 s[14:15], s[14:15], s[20:21]
	v_mov_b32_e32 v9, v12
	s_or_b64 exec, exec, s[16:17]
	s_and_saveexec_b64 s[16:17], s[14:15]
	s_cbranch_execnz .LBB22_1979
	s_branch .LBB22_1980
.LBB22_1999:
	s_mov_b64 s[0:1], -1
                                        ; implicit-def: $vgpr9
.LBB22_2000:
	s_mov_b64 s[20:21], 0
.LBB22_2001:
	s_mov_b64 s[14:15], 0
	s_and_b64 vcc, exec, s[20:21]
	s_cbranch_vccz .LBB22_2003
; %bb.2002:
	v_mov_b32_e32 v9, 11
	v_cmp_ne_u16_sdwa s[0:1], v4, v9 src0_sel:BYTE_0 src1_sel:DWORD
	s_mov_b64 s[14:15], -1
                                        ; implicit-def: $vgpr9
.LBB22_2003:
	s_and_b64 vcc, exec, s[0:1]
	s_cbranch_vccnz .LBB22_2068
; %bb.2004:
	s_andn2_b64 vcc, exec, s[14:15]
	s_cbranch_vccnz .LBB22_2006
.LBB22_2005:
	global_load_ubyte v9, v[0:1], off
	v_mov_b32_e32 v12, 0x3c00
	s_mov_b64 s[16:17], -1
	s_waitcnt vmcnt(0)
	v_cmp_ne_u16_e32 vcc, 0, v9
	v_cndmask_b32_e32 v9, 0, v12, vcc
.LBB22_2006:
	s_mov_b64 s[0:1], 0
.LBB22_2007:
	s_and_b64 vcc, exec, s[0:1]
	s_cbranch_vccz .LBB22_2056
; %bb.2008:
	v_mov_b32_e32 v9, 5
	v_cmp_lt_i16_sdwa s[0:1], v4, v9 src0_sel:BYTE_0 src1_sel:DWORD
	s_and_b64 vcc, exec, s[0:1]
	s_cbranch_vccnz .LBB22_2013
; %bb.2009:
	v_mov_b32_e32 v9, 8
	v_cmp_lt_i16_sdwa s[0:1], v4, v9 src0_sel:BYTE_0 src1_sel:DWORD
	s_and_b64 vcc, exec, s[0:1]
	s_cbranch_vccnz .LBB22_2014
; %bb.2010:
	v_mov_b32_e32 v9, 9
	v_cmp_lt_i16_sdwa s[0:1], v4, v9 src0_sel:BYTE_0 src1_sel:DWORD
	s_and_b64 vcc, exec, s[0:1]
	s_cbranch_vccnz .LBB22_2015
; %bb.2011:
	v_cmp_gt_i16_sdwa s[0:1], v4, v9 src0_sel:BYTE_0 src1_sel:DWORD
	s_and_b64 vcc, exec, s[0:1]
	s_cbranch_vccz .LBB22_2016
; %bb.2012:
	global_load_dwordx2 v[12:13], v[0:1], off
	s_mov_b64 s[0:1], 0
	s_waitcnt vmcnt(0)
	v_cvt_f32_f64_e32 v9, v[12:13]
	v_cvt_f16_f32_e32 v9, v9
	s_branch .LBB22_2017
.LBB22_2013:
	s_mov_b64 s[0:1], -1
                                        ; implicit-def: $vgpr9
	s_branch .LBB22_2035
.LBB22_2014:
	s_mov_b64 s[0:1], -1
                                        ; implicit-def: $vgpr9
	s_branch .LBB22_2023
.LBB22_2015:
	s_mov_b64 s[0:1], -1
                                        ; implicit-def: $vgpr9
	s_branch .LBB22_2020
.LBB22_2016:
	s_mov_b64 s[0:1], -1
                                        ; implicit-def: $vgpr9
.LBB22_2017:
	s_andn2_b64 vcc, exec, s[0:1]
	s_cbranch_vccnz .LBB22_2019
; %bb.2018:
	global_load_dword v9, v[0:1], off
	s_waitcnt vmcnt(0)
	v_cvt_f16_f32_e32 v9, v9
.LBB22_2019:
	s_mov_b64 s[0:1], 0
.LBB22_2020:
	s_andn2_b64 vcc, exec, s[0:1]
	s_cbranch_vccnz .LBB22_2022
; %bb.2021:
	global_load_dword v9, v[0:1], off
.LBB22_2022:
	s_mov_b64 s[0:1], 0
.LBB22_2023:
	s_andn2_b64 vcc, exec, s[0:1]
	s_cbranch_vccnz .LBB22_2034
; %bb.2024:
	s_waitcnt vmcnt(0)
	v_mov_b32_e32 v9, 6
	v_cmp_lt_i16_sdwa s[0:1], v4, v9 src0_sel:BYTE_0 src1_sel:DWORD
	s_and_b64 vcc, exec, s[0:1]
	s_cbranch_vccnz .LBB22_2027
; %bb.2025:
	v_cmp_gt_i16_sdwa s[0:1], v4, v9 src0_sel:BYTE_0 src1_sel:DWORD
	s_and_b64 vcc, exec, s[0:1]
	s_cbranch_vccz .LBB22_2028
; %bb.2026:
	global_load_dwordx2 v[12:13], v[0:1], off
	s_mov_b64 s[0:1], 0
	s_waitcnt vmcnt(0)
	v_cvt_f32_f64_e32 v9, v[12:13]
	v_cvt_f16_f32_e32 v9, v9
	s_branch .LBB22_2029
.LBB22_2027:
	s_mov_b64 s[0:1], -1
                                        ; implicit-def: $vgpr9
	s_branch .LBB22_2032
.LBB22_2028:
	s_mov_b64 s[0:1], -1
                                        ; implicit-def: $vgpr9
.LBB22_2029:
	s_andn2_b64 vcc, exec, s[0:1]
	s_cbranch_vccnz .LBB22_2031
; %bb.2030:
	global_load_dword v9, v[0:1], off
	s_waitcnt vmcnt(0)
	v_cvt_f16_f32_e32 v9, v9
.LBB22_2031:
	s_mov_b64 s[0:1], 0
.LBB22_2032:
	s_andn2_b64 vcc, exec, s[0:1]
	s_cbranch_vccnz .LBB22_2034
; %bb.2033:
	global_load_ushort v9, v[0:1], off
.LBB22_2034:
	s_mov_b64 s[0:1], 0
.LBB22_2035:
	s_andn2_b64 vcc, exec, s[0:1]
	s_cbranch_vccnz .LBB22_2055
; %bb.2036:
	s_waitcnt vmcnt(0)
	v_mov_b32_e32 v9, 2
	v_cmp_lt_i16_sdwa s[0:1], v4, v9 src0_sel:BYTE_0 src1_sel:DWORD
	s_and_b64 vcc, exec, s[0:1]
	s_cbranch_vccnz .LBB22_2040
; %bb.2037:
	v_mov_b32_e32 v9, 3
	v_cmp_lt_i16_sdwa s[0:1], v4, v9 src0_sel:BYTE_0 src1_sel:DWORD
	s_and_b64 vcc, exec, s[0:1]
	s_cbranch_vccnz .LBB22_2041
; %bb.2038:
	v_cmp_gt_i16_sdwa s[0:1], v4, v9 src0_sel:BYTE_0 src1_sel:DWORD
	s_and_b64 vcc, exec, s[0:1]
	s_cbranch_vccz .LBB22_2042
; %bb.2039:
	global_load_dwordx2 v[12:13], v[0:1], off
	s_mov_b64 s[0:1], 0
	s_waitcnt vmcnt(0)
	v_xor_b32_e32 v14, v12, v13
	v_ffbh_i32_e32 v9, v13
	v_ashrrev_i32_e32 v14, 31, v14
	v_add_u32_e32 v9, -1, v9
	v_add_u32_e32 v14, 32, v14
	v_min_u32_e32 v9, v9, v14
	v_lshlrev_b64 v[12:13], v9, v[12:13]
	v_min_u32_e32 v12, 1, v12
	v_or_b32_e32 v12, v13, v12
	v_cvt_f32_i32_e32 v12, v12
	v_sub_u32_e32 v9, 32, v9
	v_ldexp_f32 v9, v12, v9
	v_cvt_f16_f32_e32 v9, v9
	s_branch .LBB22_2043
.LBB22_2040:
	s_mov_b64 s[0:1], -1
                                        ; implicit-def: $vgpr9
	s_branch .LBB22_2049
.LBB22_2041:
	s_mov_b64 s[0:1], -1
                                        ; implicit-def: $vgpr9
	s_branch .LBB22_2046
.LBB22_2042:
	s_mov_b64 s[0:1], -1
                                        ; implicit-def: $vgpr9
.LBB22_2043:
	s_andn2_b64 vcc, exec, s[0:1]
	s_cbranch_vccnz .LBB22_2045
; %bb.2044:
	global_load_dword v9, v[0:1], off
	s_waitcnt vmcnt(0)
	v_cvt_f32_i32_e32 v9, v9
	v_cvt_f16_f32_e32 v9, v9
.LBB22_2045:
	s_mov_b64 s[0:1], 0
.LBB22_2046:
	s_andn2_b64 vcc, exec, s[0:1]
	s_cbranch_vccnz .LBB22_2048
; %bb.2047:
	global_load_ushort v9, v[0:1], off
	s_waitcnt vmcnt(0)
	v_cvt_f16_i16_e32 v9, v9
.LBB22_2048:
	s_mov_b64 s[0:1], 0
.LBB22_2049:
	s_andn2_b64 vcc, exec, s[0:1]
	s_cbranch_vccnz .LBB22_2055
; %bb.2050:
	v_mov_b32_e32 v9, 0
	v_cmp_gt_i16_sdwa s[0:1], v4, v9 src0_sel:BYTE_0 src1_sel:DWORD
	s_and_b64 vcc, exec, s[0:1]
	s_cbranch_vccz .LBB22_2052
; %bb.2051:
	global_load_sbyte v9, v[0:1], off
	s_mov_b64 s[0:1], 0
	s_waitcnt vmcnt(0)
	v_cvt_f16_i16_e32 v9, v9
	s_branch .LBB22_2053
.LBB22_2052:
	s_mov_b64 s[0:1], -1
                                        ; implicit-def: $vgpr9
.LBB22_2053:
	s_andn2_b64 vcc, exec, s[0:1]
	s_cbranch_vccnz .LBB22_2055
; %bb.2054:
	global_load_ubyte v0, v[0:1], off
	s_waitcnt vmcnt(0)
	v_cvt_f16_u16_e32 v9, v0
.LBB22_2055:
	s_mov_b64 s[16:17], -1
.LBB22_2056:
	s_andn2_b64 vcc, exec, s[16:17]
	s_cbranch_vccnz .LBB22_3032
; %bb.2057:
	v_add_u32_e32 v12, s13, v10
	v_ashrrev_i32_e32 v1, 31, v12
	v_mov_b32_e32 v10, s11
	v_add_co_u32_e32 v0, vcc, s10, v12
	v_addc_co_u32_e32 v1, vcc, v10, v1, vcc
	v_mov_b32_e32 v10, 11
	v_cmp_lt_i16_sdwa s[0:1], v5, v10 src0_sel:BYTE_0 src1_sel:DWORD
	s_and_b64 vcc, exec, s[0:1]
	s_cbranch_vccnz .LBB22_2064
; %bb.2058:
	v_mov_b32_e32 v10, 25
	v_cmp_gt_i16_sdwa s[0:1], v5, v10 src0_sel:BYTE_0 src1_sel:DWORD
	s_mov_b64 s[14:15], 0
	s_and_b64 vcc, exec, s[0:1]
	s_cbranch_vccz .LBB22_2065
; %bb.2059:
	v_mov_b32_e32 v10, 28
	v_cmp_gt_i16_sdwa s[0:1], v5, v10 src0_sel:BYTE_0 src1_sel:DWORD
	s_and_b64 vcc, exec, s[0:1]
	s_cbranch_vccz .LBB22_2066
; %bb.2060:
	v_mov_b32_e32 v10, 43
	v_cmp_gt_i16_sdwa s[0:1], v5, v10 src0_sel:BYTE_0 src1_sel:DWORD
	;; [unrolled: 5-line block ×3, first 2 shown]
	s_and_b64 vcc, exec, s[0:1]
	s_cbranch_vccz .LBB22_2069
; %bb.2062:
	v_mov_b32_e32 v10, 46
	v_cmp_eq_u16_sdwa s[0:1], v5, v10 src0_sel:BYTE_0 src1_sel:DWORD
	s_mov_b64 s[20:21], 0
	s_and_b64 vcc, exec, s[0:1]
	s_cbranch_vccz .LBB22_2070
; %bb.2063:
	global_load_dword v10, v[0:1], off
	s_mov_b64 s[0:1], 0
	s_mov_b64 s[16:17], -1
	s_waitcnt vmcnt(0)
	v_lshlrev_b32_e32 v10, 16, v10
	v_cvt_f16_f32_e32 v10, v10
	s_branch .LBB22_2071
.LBB22_2064:
	s_mov_b64 s[0:1], -1
	s_mov_b64 s[16:17], 0
                                        ; implicit-def: $vgpr10
	s_branch .LBB22_2137
.LBB22_2065:
	s_mov_b64 s[20:21], -1
	s_mov_b64 s[16:17], 0
	s_mov_b64 s[0:1], 0
                                        ; implicit-def: $vgpr10
	s_branch .LBB22_2100
.LBB22_2066:
	s_mov_b64 s[20:21], -1
	s_mov_b64 s[16:17], 0
	s_mov_b64 s[0:1], 0
                                        ; implicit-def: $vgpr10
	s_branch .LBB22_2081
.LBB22_2067:
	s_mov_b64 s[20:21], -1
	s_mov_b64 s[16:17], 0
	s_mov_b64 s[0:1], 0
                                        ; implicit-def: $vgpr10
	s_branch .LBB22_2076
.LBB22_2068:
	s_trap 2
	s_or_b64 s[18:19], s[18:19], exec
                                        ; implicit-def: $vgpr9
	s_cbranch_execz .LBB22_2005
	s_branch .LBB22_2006
.LBB22_2069:
	s_mov_b64 s[20:21], -1
	s_mov_b64 s[16:17], 0
	s_mov_b64 s[0:1], 0
                                        ; implicit-def: $vgpr10
	s_branch .LBB22_2071
.LBB22_2070:
	s_mov_b64 s[0:1], -1
                                        ; implicit-def: $vgpr10
	s_mov_b64 s[16:17], 0
.LBB22_2071:
	s_and_b64 vcc, exec, s[20:21]
	s_cbranch_vccz .LBB22_2075
; %bb.2072:
	v_mov_b32_e32 v10, 44
	v_cmp_eq_u16_sdwa s[0:1], v5, v10 src0_sel:BYTE_0 src1_sel:DWORD
	s_and_b64 vcc, exec, s[0:1]
	s_cbranch_vccz .LBB22_2074
; %bb.2073:
	global_load_ubyte v10, v[0:1], off
	s_movk_i32 s16, 0xff
	v_mov_b32_e32 v14, 0x7e00
	s_mov_b64 s[0:1], 0
	s_waitcnt vmcnt(0)
	v_lshlrev_b32_e32 v13, 23, v10
	v_cvt_f16_f32_e32 v13, v13
	v_cmp_ne_u32_e32 vcc, s16, v10
	s_mov_b64 s[16:17], -1
	v_cndmask_b32_e32 v13, v14, v13, vcc
	v_cmp_ne_u32_e32 vcc, 0, v10
	v_cndmask_b32_e32 v10, 0, v13, vcc
	s_branch .LBB22_2075
.LBB22_2074:
	s_mov_b64 s[0:1], -1
                                        ; implicit-def: $vgpr10
.LBB22_2075:
	s_mov_b64 s[20:21], 0
.LBB22_2076:
	s_and_b64 vcc, exec, s[20:21]
	s_cbranch_vccz .LBB22_2080
; %bb.2077:
	v_mov_b32_e32 v10, 29
	v_cmp_eq_u16_sdwa s[0:1], v5, v10 src0_sel:BYTE_0 src1_sel:DWORD
	s_and_b64 vcc, exec, s[0:1]
	s_cbranch_vccz .LBB22_2079
; %bb.2078:
	global_load_dwordx2 v[14:15], v[0:1], off
	s_mov_b64 s[0:1], 0
	s_mov_b64 s[16:17], -1
	s_mov_b64 s[20:21], 0
	s_waitcnt vmcnt(0)
	v_ffbh_u32_e32 v10, v15
	v_min_u32_e32 v10, 32, v10
	v_lshlrev_b64 v[14:15], v10, v[14:15]
	v_min_u32_e32 v13, 1, v14
	v_or_b32_e32 v13, v15, v13
	v_cvt_f32_u32_e32 v13, v13
	v_sub_u32_e32 v10, 32, v10
	v_ldexp_f32 v10, v13, v10
	v_cvt_f16_f32_e32 v10, v10
	s_branch .LBB22_2081
.LBB22_2079:
	s_mov_b64 s[0:1], -1
                                        ; implicit-def: $vgpr10
.LBB22_2080:
	s_mov_b64 s[20:21], 0
.LBB22_2081:
	s_and_b64 vcc, exec, s[20:21]
	s_cbranch_vccz .LBB22_2099
; %bb.2082:
	v_mov_b32_e32 v10, 27
	v_cmp_lt_i16_sdwa s[16:17], v5, v10 src0_sel:BYTE_0 src1_sel:DWORD
	s_and_b64 vcc, exec, s[16:17]
	s_cbranch_vccnz .LBB22_2085
; %bb.2083:
	v_cmp_gt_i16_sdwa s[16:17], v5, v10 src0_sel:BYTE_0 src1_sel:DWORD
	s_and_b64 vcc, exec, s[16:17]
	s_cbranch_vccz .LBB22_2086
; %bb.2084:
	global_load_dword v10, v[0:1], off
	s_mov_b64 s[16:17], 0
	s_waitcnt vmcnt(0)
	v_cvt_f32_u32_e32 v10, v10
	v_cvt_f16_f32_e32 v10, v10
	s_branch .LBB22_2087
.LBB22_2085:
	s_mov_b64 s[16:17], -1
                                        ; implicit-def: $vgpr10
	s_branch .LBB22_2090
.LBB22_2086:
	s_mov_b64 s[16:17], -1
                                        ; implicit-def: $vgpr10
.LBB22_2087:
	s_andn2_b64 vcc, exec, s[16:17]
	s_cbranch_vccnz .LBB22_2089
; %bb.2088:
	global_load_ushort v10, v[0:1], off
	s_waitcnt vmcnt(0)
	v_cvt_f16_u16_e32 v10, v10
.LBB22_2089:
	s_mov_b64 s[16:17], 0
.LBB22_2090:
	s_andn2_b64 vcc, exec, s[16:17]
	s_cbranch_vccnz .LBB22_2098
; %bb.2091:
	global_load_ubyte v13, v[0:1], off
	s_movk_i32 s16, 0x7f
                                        ; implicit-def: $sgpr25
	s_waitcnt vmcnt(0)
	v_cmp_lt_i16_e32 vcc, s16, v13
	s_mov_b64 s[16:17], 0
	s_and_saveexec_b64 s[20:21], vcc
	s_xor_b64 s[20:21], exec, s[20:21]
	s_cbranch_execz .LBB22_2112
; %bb.2092:
	s_movk_i32 s16, 0x80
	v_cmp_eq_u16_e32 vcc, s16, v13
	s_mov_b64 s[16:17], -1
                                        ; implicit-def: $sgpr25
	s_and_saveexec_b64 s[22:23], vcc
; %bb.2093:
	s_movk_i32 s25, 0x7e00
	s_xor_b64 s[16:17], exec, -1
; %bb.2094:
	s_or_b64 exec, exec, s[22:23]
	s_and_b64 s[16:17], s[16:17], exec
	s_or_saveexec_b64 s[20:21], s[20:21]
	v_mov_b32_e32 v10, s25
	s_xor_b64 exec, exec, s[20:21]
	s_cbranch_execnz .LBB22_2113
.LBB22_2095:
	s_or_b64 exec, exec, s[20:21]
	s_and_saveexec_b64 s[20:21], s[16:17]
	s_cbranch_execz .LBB22_2097
.LBB22_2096:
	v_lshlrev_b32_e32 v10, 24, v13
	v_and_b32_e32 v13, 0xffff, v13
	v_and_b32_e32 v14, 7, v13
	v_ffbh_u32_e32 v16, v14
	v_min_u32_e32 v16, 32, v16
	v_subrev_u32_e32 v17, 28, v16
	v_bfe_u32 v15, v13, 3, 4
	v_lshlrev_b32_e32 v13, v17, v13
	v_sub_u32_e32 v16, 29, v16
	v_and_b32_e32 v13, 7, v13
	v_cmp_eq_u32_e32 vcc, 0, v15
	v_cndmask_b32_e32 v15, v15, v16, vcc
	v_cndmask_b32_e32 v13, v14, v13, vcc
	v_mov_b32_e32 v14, 0x3b800000
	v_lshlrev_b32_e32 v13, 20, v13
	v_and_b32_e32 v10, 0x80000000, v10
	v_lshl_add_u32 v14, v15, 23, v14
	v_or3_b32 v10, v10, v14, v13
	v_cvt_f16_f32_e32 v10, v10
.LBB22_2097:
	s_or_b64 exec, exec, s[20:21]
.LBB22_2098:
	s_mov_b64 s[16:17], -1
.LBB22_2099:
	s_mov_b64 s[20:21], 0
.LBB22_2100:
	s_and_b64 vcc, exec, s[20:21]
	s_cbranch_vccz .LBB22_2133
; %bb.2101:
	v_mov_b32_e32 v10, 22
	v_cmp_gt_i16_sdwa s[14:15], v5, v10 src0_sel:BYTE_0 src1_sel:DWORD
	s_and_b64 vcc, exec, s[14:15]
	s_cbranch_vccz .LBB22_2111
; %bb.2102:
	v_mov_b32_e32 v10, 24
	v_cmp_lt_i16_sdwa s[14:15], v5, v10 src0_sel:BYTE_0 src1_sel:DWORD
	s_and_b64 vcc, exec, s[14:15]
	s_cbranch_vccnz .LBB22_2114
; %bb.2103:
	v_cmp_gt_i16_sdwa s[14:15], v5, v10 src0_sel:BYTE_0 src1_sel:DWORD
	s_and_b64 vcc, exec, s[14:15]
	s_cbranch_vccz .LBB22_2115
; %bb.2104:
	global_load_ubyte v13, v[0:1], off
	s_movk_i32 s14, 0x7f
                                        ; implicit-def: $sgpr22
	s_waitcnt vmcnt(0)
	v_cmp_lt_i16_e32 vcc, s14, v13
	s_mov_b64 s[14:15], 0
	s_and_saveexec_b64 s[16:17], vcc
	s_xor_b64 s[16:17], exec, s[16:17]
	s_cbranch_execz .LBB22_2127
; %bb.2105:
	s_movk_i32 s14, 0x80
	v_cmp_eq_u16_e32 vcc, s14, v13
	s_mov_b64 s[14:15], -1
                                        ; implicit-def: $sgpr22
	s_and_saveexec_b64 s[20:21], vcc
; %bb.2106:
	s_movk_i32 s22, 0x7e00
	s_xor_b64 s[14:15], exec, -1
; %bb.2107:
	s_or_b64 exec, exec, s[20:21]
	s_and_b64 s[14:15], s[14:15], exec
	s_or_saveexec_b64 s[16:17], s[16:17]
	v_mov_b32_e32 v10, s22
	s_xor_b64 exec, exec, s[16:17]
	s_cbranch_execnz .LBB22_2128
.LBB22_2108:
	s_or_b64 exec, exec, s[16:17]
	s_and_saveexec_b64 s[16:17], s[14:15]
	s_cbranch_execz .LBB22_2110
.LBB22_2109:
	v_lshlrev_b32_e32 v10, 24, v13
	v_and_b32_e32 v13, 0xffff, v13
	v_and_b32_e32 v14, 3, v13
	v_ffbh_u32_e32 v16, v14
	v_min_u32_e32 v16, 32, v16
	v_subrev_u32_e32 v17, 29, v16
	v_bfe_u32 v15, v13, 2, 5
	v_lshlrev_b32_e32 v13, v17, v13
	v_sub_u32_e32 v16, 30, v16
	v_and_b32_e32 v13, 3, v13
	v_cmp_eq_u32_e32 vcc, 0, v15
	v_cndmask_b32_e32 v15, v15, v16, vcc
	v_cndmask_b32_e32 v13, v14, v13, vcc
	v_mov_b32_e32 v14, 0x37800000
	v_lshlrev_b32_e32 v13, 21, v13
	v_and_b32_e32 v10, 0x80000000, v10
	v_lshl_add_u32 v14, v15, 23, v14
	v_or3_b32 v10, v10, v14, v13
	v_cvt_f16_f32_e32 v10, v10
.LBB22_2110:
	s_or_b64 exec, exec, s[16:17]
	s_mov_b64 s[14:15], 0
	s_branch .LBB22_2116
.LBB22_2111:
	s_mov_b64 s[14:15], -1
                                        ; implicit-def: $vgpr10
	s_branch .LBB22_2122
.LBB22_2112:
	s_or_saveexec_b64 s[20:21], s[20:21]
	v_mov_b32_e32 v10, s25
	s_xor_b64 exec, exec, s[20:21]
	s_cbranch_execz .LBB22_2095
.LBB22_2113:
	v_cmp_ne_u16_e32 vcc, 0, v13
	s_andn2_b64 s[16:17], s[16:17], exec
	s_and_b64 s[22:23], vcc, exec
	s_or_b64 s[16:17], s[16:17], s[22:23]
	v_mov_b32_e32 v10, v13
	s_or_b64 exec, exec, s[20:21]
	s_and_saveexec_b64 s[20:21], s[16:17]
	s_cbranch_execnz .LBB22_2096
	s_branch .LBB22_2097
.LBB22_2114:
	s_mov_b64 s[14:15], -1
                                        ; implicit-def: $vgpr10
	s_branch .LBB22_2119
.LBB22_2115:
	s_mov_b64 s[14:15], -1
                                        ; implicit-def: $vgpr10
.LBB22_2116:
	s_and_b64 vcc, exec, s[14:15]
	s_cbranch_vccz .LBB22_2118
; %bb.2117:
	global_load_ubyte v10, v[0:1], off
	s_mov_b32 s14, 0x7f800000
	s_waitcnt vmcnt(0)
	v_lshlrev_b32_e32 v10, 24, v10
	v_and_b32_e32 v13, 0x7f000000, v10
	v_ffbh_u32_e32 v14, v13
	v_min_u32_e32 v14, 32, v14
	v_sub_u32_e64 v14, v14, 4 clamp
	v_lshlrev_b32_e32 v16, v14, v13
	v_lshlrev_b32_e32 v14, 23, v14
	v_lshrrev_b32_e32 v16, 4, v16
	v_add_u32_e32 v15, 0x1000000, v13
	v_sub_u32_e32 v14, v16, v14
	v_ashrrev_i32_e32 v15, 8, v15
	v_add_u32_e32 v14, 0x3c000000, v14
	v_and_or_b32 v14, v15, s14, v14
	v_cmp_ne_u32_e32 vcc, 0, v13
	v_cndmask_b32_e32 v13, 0, v14, vcc
	s_brev_b32 s14, 1
	v_and_or_b32 v10, v10, s14, v13
	v_cvt_f16_f32_e32 v10, v10
.LBB22_2118:
	s_mov_b64 s[14:15], 0
.LBB22_2119:
	s_andn2_b64 vcc, exec, s[14:15]
	s_cbranch_vccnz .LBB22_2121
; %bb.2120:
	global_load_ubyte v10, v[0:1], off
	s_movk_i32 s14, 0x7f00
	s_brev_b32 s15, 16
	s_waitcnt vmcnt(0)
	v_lshlrev_b16_e32 v13, 8, v10
	v_lshlrev_b32_e32 v10, 25, v10
	v_lshrrev_b32_e32 v14, 4, v10
	v_and_or_b32 v15, v13, s14, 0.5
	v_or_b32_e32 v14, 0x70000000, v14
	v_add_f32_e32 v15, -0.5, v15
	v_mul_f32_e32 v14, 0x7800000, v14
	v_cmp_gt_u32_e32 vcc, s15, v10
	v_bfe_i32 v13, v13, 0, 16
	v_cndmask_b32_e32 v10, v14, v15, vcc
	s_brev_b32 s14, 1
	v_and_or_b32 v10, v13, s14, v10
	v_cvt_f16_f32_e32 v10, v10
.LBB22_2121:
	s_mov_b64 s[14:15], 0
	s_mov_b64 s[16:17], -1
.LBB22_2122:
	s_andn2_b64 vcc, exec, s[14:15]
	s_mov_b64 s[14:15], 0
	s_cbranch_vccnz .LBB22_2133
; %bb.2123:
	v_mov_b32_e32 v10, 14
	v_cmp_gt_i16_sdwa s[14:15], v5, v10 src0_sel:BYTE_0 src1_sel:DWORD
	s_and_b64 vcc, exec, s[14:15]
	s_cbranch_vccz .LBB22_2126
; %bb.2124:
	v_mov_b32_e32 v10, 15
	v_cmp_eq_u16_sdwa s[0:1], v5, v10 src0_sel:BYTE_0 src1_sel:DWORD
	s_and_b64 vcc, exec, s[0:1]
	s_cbranch_vccz .LBB22_2129
; %bb.2125:
	global_load_ushort v10, v[0:1], off
	s_mov_b64 s[0:1], 0
	s_mov_b64 s[16:17], -1
	s_waitcnt vmcnt(0)
	v_lshlrev_b32_e32 v10, 16, v10
	v_cvt_f16_f32_e32 v10, v10
	s_branch .LBB22_2130
.LBB22_2126:
	s_mov_b64 s[20:21], -1
                                        ; implicit-def: $vgpr10
	s_branch .LBB22_2131
.LBB22_2127:
	s_or_saveexec_b64 s[16:17], s[16:17]
	v_mov_b32_e32 v10, s22
	s_xor_b64 exec, exec, s[16:17]
	s_cbranch_execz .LBB22_2108
.LBB22_2128:
	v_cmp_ne_u16_e32 vcc, 0, v13
	s_andn2_b64 s[14:15], s[14:15], exec
	s_and_b64 s[20:21], vcc, exec
	s_or_b64 s[14:15], s[14:15], s[20:21]
	v_mov_b32_e32 v10, v13
	s_or_b64 exec, exec, s[16:17]
	s_and_saveexec_b64 s[16:17], s[14:15]
	s_cbranch_execnz .LBB22_2109
	s_branch .LBB22_2110
.LBB22_2129:
	s_mov_b64 s[0:1], -1
                                        ; implicit-def: $vgpr10
.LBB22_2130:
	s_mov_b64 s[20:21], 0
.LBB22_2131:
	s_mov_b64 s[14:15], 0
	s_and_b64 vcc, exec, s[20:21]
	s_cbranch_vccz .LBB22_2133
; %bb.2132:
	v_mov_b32_e32 v10, 11
	v_cmp_ne_u16_sdwa s[0:1], v5, v10 src0_sel:BYTE_0 src1_sel:DWORD
	s_mov_b64 s[14:15], -1
                                        ; implicit-def: $vgpr10
.LBB22_2133:
	s_and_b64 vcc, exec, s[0:1]
	s_cbranch_vccnz .LBB22_2198
; %bb.2134:
	s_andn2_b64 vcc, exec, s[14:15]
	s_cbranch_vccnz .LBB22_2136
.LBB22_2135:
	global_load_ubyte v10, v[0:1], off
	v_mov_b32_e32 v13, 0x3c00
	s_mov_b64 s[16:17], -1
	s_waitcnt vmcnt(0)
	v_cmp_ne_u16_e32 vcc, 0, v10
	v_cndmask_b32_e32 v10, 0, v13, vcc
.LBB22_2136:
	s_mov_b64 s[0:1], 0
.LBB22_2137:
	s_and_b64 vcc, exec, s[0:1]
	s_cbranch_vccz .LBB22_2186
; %bb.2138:
	v_mov_b32_e32 v10, 5
	v_cmp_lt_i16_sdwa s[0:1], v5, v10 src0_sel:BYTE_0 src1_sel:DWORD
	s_and_b64 vcc, exec, s[0:1]
	s_cbranch_vccnz .LBB22_2143
; %bb.2139:
	v_mov_b32_e32 v10, 8
	v_cmp_lt_i16_sdwa s[0:1], v5, v10 src0_sel:BYTE_0 src1_sel:DWORD
	s_and_b64 vcc, exec, s[0:1]
	s_cbranch_vccnz .LBB22_2144
	;; [unrolled: 5-line block ×3, first 2 shown]
; %bb.2141:
	v_cmp_gt_i16_sdwa s[0:1], v5, v10 src0_sel:BYTE_0 src1_sel:DWORD
	s_and_b64 vcc, exec, s[0:1]
	s_cbranch_vccz .LBB22_2146
; %bb.2142:
	global_load_dwordx2 v[14:15], v[0:1], off
	s_mov_b64 s[0:1], 0
	s_waitcnt vmcnt(0)
	v_cvt_f32_f64_e32 v10, v[14:15]
	v_cvt_f16_f32_e32 v10, v10
	s_branch .LBB22_2147
.LBB22_2143:
	s_mov_b64 s[0:1], -1
                                        ; implicit-def: $vgpr10
	s_branch .LBB22_2165
.LBB22_2144:
	s_mov_b64 s[0:1], -1
                                        ; implicit-def: $vgpr10
	s_branch .LBB22_2153
.LBB22_2145:
	s_mov_b64 s[0:1], -1
                                        ; implicit-def: $vgpr10
	s_branch .LBB22_2150
.LBB22_2146:
	s_mov_b64 s[0:1], -1
                                        ; implicit-def: $vgpr10
.LBB22_2147:
	s_andn2_b64 vcc, exec, s[0:1]
	s_cbranch_vccnz .LBB22_2149
; %bb.2148:
	global_load_dword v10, v[0:1], off
	s_waitcnt vmcnt(0)
	v_cvt_f16_f32_e32 v10, v10
.LBB22_2149:
	s_mov_b64 s[0:1], 0
.LBB22_2150:
	s_andn2_b64 vcc, exec, s[0:1]
	s_cbranch_vccnz .LBB22_2152
; %bb.2151:
	global_load_dword v10, v[0:1], off
.LBB22_2152:
	s_mov_b64 s[0:1], 0
.LBB22_2153:
	s_andn2_b64 vcc, exec, s[0:1]
	s_cbranch_vccnz .LBB22_2164
; %bb.2154:
	s_waitcnt vmcnt(0)
	v_mov_b32_e32 v10, 6
	v_cmp_lt_i16_sdwa s[0:1], v5, v10 src0_sel:BYTE_0 src1_sel:DWORD
	s_and_b64 vcc, exec, s[0:1]
	s_cbranch_vccnz .LBB22_2157
; %bb.2155:
	v_cmp_gt_i16_sdwa s[0:1], v5, v10 src0_sel:BYTE_0 src1_sel:DWORD
	s_and_b64 vcc, exec, s[0:1]
	s_cbranch_vccz .LBB22_2158
; %bb.2156:
	global_load_dwordx2 v[14:15], v[0:1], off
	s_mov_b64 s[0:1], 0
	s_waitcnt vmcnt(0)
	v_cvt_f32_f64_e32 v10, v[14:15]
	v_cvt_f16_f32_e32 v10, v10
	s_branch .LBB22_2159
.LBB22_2157:
	s_mov_b64 s[0:1], -1
                                        ; implicit-def: $vgpr10
	s_branch .LBB22_2162
.LBB22_2158:
	s_mov_b64 s[0:1], -1
                                        ; implicit-def: $vgpr10
.LBB22_2159:
	s_andn2_b64 vcc, exec, s[0:1]
	s_cbranch_vccnz .LBB22_2161
; %bb.2160:
	global_load_dword v10, v[0:1], off
	s_waitcnt vmcnt(0)
	v_cvt_f16_f32_e32 v10, v10
.LBB22_2161:
	s_mov_b64 s[0:1], 0
.LBB22_2162:
	s_andn2_b64 vcc, exec, s[0:1]
	s_cbranch_vccnz .LBB22_2164
; %bb.2163:
	global_load_ushort v10, v[0:1], off
.LBB22_2164:
	s_mov_b64 s[0:1], 0
.LBB22_2165:
	s_andn2_b64 vcc, exec, s[0:1]
	s_cbranch_vccnz .LBB22_2185
; %bb.2166:
	s_waitcnt vmcnt(0)
	v_mov_b32_e32 v10, 2
	v_cmp_lt_i16_sdwa s[0:1], v5, v10 src0_sel:BYTE_0 src1_sel:DWORD
	s_and_b64 vcc, exec, s[0:1]
	s_cbranch_vccnz .LBB22_2170
; %bb.2167:
	v_mov_b32_e32 v10, 3
	v_cmp_lt_i16_sdwa s[0:1], v5, v10 src0_sel:BYTE_0 src1_sel:DWORD
	s_and_b64 vcc, exec, s[0:1]
	s_cbranch_vccnz .LBB22_2171
; %bb.2168:
	v_cmp_gt_i16_sdwa s[0:1], v5, v10 src0_sel:BYTE_0 src1_sel:DWORD
	s_and_b64 vcc, exec, s[0:1]
	s_cbranch_vccz .LBB22_2172
; %bb.2169:
	global_load_dwordx2 v[14:15], v[0:1], off
	s_mov_b64 s[0:1], 0
	s_waitcnt vmcnt(0)
	v_xor_b32_e32 v13, v14, v15
	v_ffbh_i32_e32 v10, v15
	v_ashrrev_i32_e32 v13, 31, v13
	v_add_u32_e32 v10, -1, v10
	v_add_u32_e32 v13, 32, v13
	v_min_u32_e32 v10, v10, v13
	v_lshlrev_b64 v[14:15], v10, v[14:15]
	v_min_u32_e32 v13, 1, v14
	v_or_b32_e32 v13, v15, v13
	v_cvt_f32_i32_e32 v13, v13
	v_sub_u32_e32 v10, 32, v10
	v_ldexp_f32 v10, v13, v10
	v_cvt_f16_f32_e32 v10, v10
	s_branch .LBB22_2173
.LBB22_2170:
	s_mov_b64 s[0:1], -1
                                        ; implicit-def: $vgpr10
	s_branch .LBB22_2179
.LBB22_2171:
	s_mov_b64 s[0:1], -1
                                        ; implicit-def: $vgpr10
	s_branch .LBB22_2176
.LBB22_2172:
	s_mov_b64 s[0:1], -1
                                        ; implicit-def: $vgpr10
.LBB22_2173:
	s_andn2_b64 vcc, exec, s[0:1]
	s_cbranch_vccnz .LBB22_2175
; %bb.2174:
	global_load_dword v10, v[0:1], off
	s_waitcnt vmcnt(0)
	v_cvt_f32_i32_e32 v10, v10
	v_cvt_f16_f32_e32 v10, v10
.LBB22_2175:
	s_mov_b64 s[0:1], 0
.LBB22_2176:
	s_andn2_b64 vcc, exec, s[0:1]
	s_cbranch_vccnz .LBB22_2178
; %bb.2177:
	global_load_ushort v10, v[0:1], off
	s_waitcnt vmcnt(0)
	v_cvt_f16_i16_e32 v10, v10
.LBB22_2178:
	s_mov_b64 s[0:1], 0
.LBB22_2179:
	s_andn2_b64 vcc, exec, s[0:1]
	s_cbranch_vccnz .LBB22_2185
; %bb.2180:
	v_mov_b32_e32 v10, 0
	v_cmp_gt_i16_sdwa s[0:1], v5, v10 src0_sel:BYTE_0 src1_sel:DWORD
	s_and_b64 vcc, exec, s[0:1]
	s_cbranch_vccz .LBB22_2182
; %bb.2181:
	global_load_sbyte v10, v[0:1], off
	s_mov_b64 s[0:1], 0
	s_waitcnt vmcnt(0)
	v_cvt_f16_i16_e32 v10, v10
	s_branch .LBB22_2183
.LBB22_2182:
	s_mov_b64 s[0:1], -1
                                        ; implicit-def: $vgpr10
.LBB22_2183:
	s_andn2_b64 vcc, exec, s[0:1]
	s_cbranch_vccnz .LBB22_2185
; %bb.2184:
	global_load_ubyte v0, v[0:1], off
	s_waitcnt vmcnt(0)
	v_cvt_f16_u16_e32 v10, v0
.LBB22_2185:
	s_mov_b64 s[16:17], -1
.LBB22_2186:
	s_andn2_b64 vcc, exec, s[16:17]
	s_cbranch_vccnz .LBB22_3032
; %bb.2187:
	v_add_u32_e32 v13, s24, v11
	v_ashrrev_i32_e32 v1, 31, v13
	v_mov_b32_e32 v11, s3
	v_add_co_u32_e32 v0, vcc, s2, v13
	v_addc_co_u32_e32 v1, vcc, v11, v1, vcc
	v_mov_b32_e32 v11, 11
	v_cmp_lt_i16_sdwa s[0:1], v4, v11 src0_sel:BYTE_0 src1_sel:DWORD
	s_and_b64 vcc, exec, s[0:1]
	s_cbranch_vccnz .LBB22_2194
; %bb.2188:
	v_mov_b32_e32 v11, 25
	v_cmp_gt_i16_sdwa s[0:1], v4, v11 src0_sel:BYTE_0 src1_sel:DWORD
	s_mov_b64 s[14:15], 0
	s_and_b64 vcc, exec, s[0:1]
	s_cbranch_vccz .LBB22_2195
; %bb.2189:
	v_mov_b32_e32 v11, 28
	v_cmp_gt_i16_sdwa s[0:1], v4, v11 src0_sel:BYTE_0 src1_sel:DWORD
	s_and_b64 vcc, exec, s[0:1]
	s_cbranch_vccz .LBB22_2196
; %bb.2190:
	v_mov_b32_e32 v11, 43
	v_cmp_gt_i16_sdwa s[0:1], v4, v11 src0_sel:BYTE_0 src1_sel:DWORD
	;; [unrolled: 5-line block ×3, first 2 shown]
	s_and_b64 vcc, exec, s[0:1]
	s_cbranch_vccz .LBB22_2199
; %bb.2192:
	v_mov_b32_e32 v11, 46
	v_cmp_eq_u16_sdwa s[0:1], v4, v11 src0_sel:BYTE_0 src1_sel:DWORD
	s_mov_b64 s[20:21], 0
	s_and_b64 vcc, exec, s[0:1]
	s_cbranch_vccz .LBB22_2202
; %bb.2193:
	global_load_dword v11, v[0:1], off
	s_mov_b64 s[0:1], 0
	s_mov_b64 s[16:17], -1
	s_waitcnt vmcnt(0)
	v_lshlrev_b32_e32 v11, 16, v11
	v_cvt_f16_f32_e32 v11, v11
	s_branch .LBB22_2203
.LBB22_2194:
	s_mov_b64 s[0:1], -1
	s_mov_b64 s[16:17], 0
                                        ; implicit-def: $vgpr11
	s_branch .LBB22_2269
.LBB22_2195:
	s_mov_b64 s[20:21], -1
	s_mov_b64 s[16:17], 0
	s_mov_b64 s[0:1], 0
                                        ; implicit-def: $vgpr11
	s_branch .LBB22_2232
.LBB22_2196:
	s_mov_b64 s[20:21], -1
	s_mov_b64 s[16:17], 0
	s_mov_b64 s[0:1], 0
                                        ; implicit-def: $vgpr11
	s_branch .LBB22_2213
.LBB22_2197:
	s_mov_b64 s[20:21], -1
	s_mov_b64 s[16:17], 0
	s_mov_b64 s[0:1], 0
                                        ; implicit-def: $vgpr11
	s_branch .LBB22_2208
.LBB22_2198:
	s_trap 2
	s_or_b64 s[18:19], s[18:19], exec
                                        ; implicit-def: $vgpr10
	s_cbranch_execz .LBB22_2135
	s_branch .LBB22_2136
.LBB22_2199:
	s_mov_b64 s[20:21], -1
	s_mov_b64 s[16:17], 0
	s_mov_b64 s[0:1], 0
                                        ; implicit-def: $vgpr11
	s_branch .LBB22_2203
.LBB22_2200:
	s_or_saveexec_b64 s[44:45], s[44:45]
                                        ; implicit-def: $sgpr15
	s_xor_b64 exec, exec, s[44:45]
	s_cbranch_execz .LBB22_1085
.LBB22_2201:
	s_mov_b32 s15, 0x42800000
	v_add_f32_e64 v9, |v8|, s15
	v_and_b32_e32 v9, 0xff, v9
	v_cmp_ne_u32_e32 vcc, 0, v9
	s_andn2_b64 s[42:43], s[42:43], exec
	s_and_b64 s[46:47], vcc, exec
	s_mov_b32 s15, 0
	s_or_b64 s[42:43], s[42:43], s[46:47]
	s_or_b64 exec, exec, s[44:45]
	v_mov_b32_e32 v10, s15
	s_and_saveexec_b64 s[44:45], s[42:43]
	s_cbranch_execnz .LBB22_1086
	s_branch .LBB22_1087
.LBB22_2202:
	s_mov_b64 s[0:1], -1
                                        ; implicit-def: $vgpr11
	s_mov_b64 s[16:17], 0
.LBB22_2203:
	s_and_b64 vcc, exec, s[20:21]
	s_cbranch_vccz .LBB22_2207
; %bb.2204:
	v_mov_b32_e32 v11, 44
	v_cmp_eq_u16_sdwa s[0:1], v4, v11 src0_sel:BYTE_0 src1_sel:DWORD
	s_and_b64 vcc, exec, s[0:1]
	s_cbranch_vccz .LBB22_2206
; %bb.2205:
	global_load_ubyte v11, v[0:1], off
	s_movk_i32 s16, 0xff
	v_mov_b32_e32 v15, 0x7e00
	s_mov_b64 s[0:1], 0
	s_waitcnt vmcnt(0)
	v_lshlrev_b32_e32 v14, 23, v11
	v_cvt_f16_f32_e32 v14, v14
	v_cmp_ne_u32_e32 vcc, s16, v11
	s_mov_b64 s[16:17], -1
	v_cndmask_b32_e32 v14, v15, v14, vcc
	v_cmp_ne_u32_e32 vcc, 0, v11
	v_cndmask_b32_e32 v11, 0, v14, vcc
	s_branch .LBB22_2207
.LBB22_2206:
	s_mov_b64 s[0:1], -1
                                        ; implicit-def: $vgpr11
.LBB22_2207:
	s_mov_b64 s[20:21], 0
.LBB22_2208:
	s_and_b64 vcc, exec, s[20:21]
	s_cbranch_vccz .LBB22_2212
; %bb.2209:
	v_mov_b32_e32 v11, 29
	v_cmp_eq_u16_sdwa s[0:1], v4, v11 src0_sel:BYTE_0 src1_sel:DWORD
	s_and_b64 vcc, exec, s[0:1]
	s_cbranch_vccz .LBB22_2211
; %bb.2210:
	global_load_dwordx2 v[14:15], v[0:1], off
	s_mov_b64 s[0:1], 0
	s_mov_b64 s[16:17], -1
	s_mov_b64 s[20:21], 0
	s_waitcnt vmcnt(0)
	v_ffbh_u32_e32 v11, v15
	v_min_u32_e32 v11, 32, v11
	v_lshlrev_b64 v[14:15], v11, v[14:15]
	v_min_u32_e32 v14, 1, v14
	v_or_b32_e32 v14, v15, v14
	v_cvt_f32_u32_e32 v14, v14
	v_sub_u32_e32 v11, 32, v11
	v_ldexp_f32 v11, v14, v11
	v_cvt_f16_f32_e32 v11, v11
	s_branch .LBB22_2213
.LBB22_2211:
	s_mov_b64 s[0:1], -1
                                        ; implicit-def: $vgpr11
.LBB22_2212:
	s_mov_b64 s[20:21], 0
.LBB22_2213:
	s_and_b64 vcc, exec, s[20:21]
	s_cbranch_vccz .LBB22_2231
; %bb.2214:
	v_mov_b32_e32 v11, 27
	v_cmp_lt_i16_sdwa s[16:17], v4, v11 src0_sel:BYTE_0 src1_sel:DWORD
	s_and_b64 vcc, exec, s[16:17]
	s_cbranch_vccnz .LBB22_2217
; %bb.2215:
	v_cmp_gt_i16_sdwa s[16:17], v4, v11 src0_sel:BYTE_0 src1_sel:DWORD
	s_and_b64 vcc, exec, s[16:17]
	s_cbranch_vccz .LBB22_2218
; %bb.2216:
	global_load_dword v11, v[0:1], off
	s_mov_b64 s[16:17], 0
	s_waitcnt vmcnt(0)
	v_cvt_f32_u32_e32 v11, v11
	v_cvt_f16_f32_e32 v11, v11
	s_branch .LBB22_2219
.LBB22_2217:
	s_mov_b64 s[16:17], -1
                                        ; implicit-def: $vgpr11
	s_branch .LBB22_2222
.LBB22_2218:
	s_mov_b64 s[16:17], -1
                                        ; implicit-def: $vgpr11
.LBB22_2219:
	s_andn2_b64 vcc, exec, s[16:17]
	s_cbranch_vccnz .LBB22_2221
; %bb.2220:
	global_load_ushort v11, v[0:1], off
	s_waitcnt vmcnt(0)
	v_cvt_f16_u16_e32 v11, v11
.LBB22_2221:
	s_mov_b64 s[16:17], 0
.LBB22_2222:
	s_andn2_b64 vcc, exec, s[16:17]
	s_cbranch_vccnz .LBB22_2230
; %bb.2223:
	global_load_ubyte v14, v[0:1], off
	s_movk_i32 s16, 0x7f
                                        ; implicit-def: $sgpr25
	s_waitcnt vmcnt(0)
	v_cmp_lt_i16_e32 vcc, s16, v14
	s_mov_b64 s[16:17], 0
	s_and_saveexec_b64 s[20:21], vcc
	s_xor_b64 s[20:21], exec, s[20:21]
	s_cbranch_execz .LBB22_2244
; %bb.2224:
	s_movk_i32 s16, 0x80
	v_cmp_eq_u16_e32 vcc, s16, v14
	s_mov_b64 s[16:17], -1
                                        ; implicit-def: $sgpr25
	s_and_saveexec_b64 s[22:23], vcc
; %bb.2225:
	s_movk_i32 s25, 0x7e00
	s_xor_b64 s[16:17], exec, -1
; %bb.2226:
	s_or_b64 exec, exec, s[22:23]
	s_and_b64 s[16:17], s[16:17], exec
	s_or_saveexec_b64 s[20:21], s[20:21]
	v_mov_b32_e32 v11, s25
	s_xor_b64 exec, exec, s[20:21]
	s_cbranch_execnz .LBB22_2245
.LBB22_2227:
	s_or_b64 exec, exec, s[20:21]
	s_and_saveexec_b64 s[20:21], s[16:17]
	s_cbranch_execz .LBB22_2229
.LBB22_2228:
	v_lshlrev_b32_e32 v11, 24, v14
	v_and_b32_e32 v14, 0xffff, v14
	v_and_b32_e32 v15, 7, v14
	v_ffbh_u32_e32 v17, v15
	v_min_u32_e32 v17, 32, v17
	v_subrev_u32_e32 v18, 28, v17
	v_bfe_u32 v16, v14, 3, 4
	v_lshlrev_b32_e32 v14, v18, v14
	v_sub_u32_e32 v17, 29, v17
	v_and_b32_e32 v14, 7, v14
	v_cmp_eq_u32_e32 vcc, 0, v16
	v_cndmask_b32_e32 v16, v16, v17, vcc
	v_cndmask_b32_e32 v14, v15, v14, vcc
	v_mov_b32_e32 v15, 0x3b800000
	v_lshlrev_b32_e32 v14, 20, v14
	v_and_b32_e32 v11, 0x80000000, v11
	v_lshl_add_u32 v15, v16, 23, v15
	v_or3_b32 v11, v11, v15, v14
	v_cvt_f16_f32_e32 v11, v11
.LBB22_2229:
	s_or_b64 exec, exec, s[20:21]
.LBB22_2230:
	s_mov_b64 s[16:17], -1
.LBB22_2231:
	s_mov_b64 s[20:21], 0
.LBB22_2232:
	s_and_b64 vcc, exec, s[20:21]
	s_cbranch_vccz .LBB22_2265
; %bb.2233:
	v_mov_b32_e32 v11, 22
	v_cmp_gt_i16_sdwa s[14:15], v4, v11 src0_sel:BYTE_0 src1_sel:DWORD
	s_and_b64 vcc, exec, s[14:15]
	s_cbranch_vccz .LBB22_2243
; %bb.2234:
	v_mov_b32_e32 v11, 24
	v_cmp_lt_i16_sdwa s[14:15], v4, v11 src0_sel:BYTE_0 src1_sel:DWORD
	s_and_b64 vcc, exec, s[14:15]
	s_cbranch_vccnz .LBB22_2246
; %bb.2235:
	v_cmp_gt_i16_sdwa s[14:15], v4, v11 src0_sel:BYTE_0 src1_sel:DWORD
	s_and_b64 vcc, exec, s[14:15]
	s_cbranch_vccz .LBB22_2247
; %bb.2236:
	global_load_ubyte v14, v[0:1], off
	s_movk_i32 s14, 0x7f
                                        ; implicit-def: $sgpr22
	s_waitcnt vmcnt(0)
	v_cmp_lt_i16_e32 vcc, s14, v14
	s_mov_b64 s[14:15], 0
	s_and_saveexec_b64 s[16:17], vcc
	s_xor_b64 s[16:17], exec, s[16:17]
	s_cbranch_execz .LBB22_2259
; %bb.2237:
	s_movk_i32 s14, 0x80
	v_cmp_eq_u16_e32 vcc, s14, v14
	s_mov_b64 s[14:15], -1
                                        ; implicit-def: $sgpr22
	s_and_saveexec_b64 s[20:21], vcc
; %bb.2238:
	s_movk_i32 s22, 0x7e00
	s_xor_b64 s[14:15], exec, -1
; %bb.2239:
	s_or_b64 exec, exec, s[20:21]
	s_and_b64 s[14:15], s[14:15], exec
	s_or_saveexec_b64 s[16:17], s[16:17]
	v_mov_b32_e32 v11, s22
	s_xor_b64 exec, exec, s[16:17]
	s_cbranch_execnz .LBB22_2260
.LBB22_2240:
	s_or_b64 exec, exec, s[16:17]
	s_and_saveexec_b64 s[16:17], s[14:15]
	s_cbranch_execz .LBB22_2242
.LBB22_2241:
	v_lshlrev_b32_e32 v11, 24, v14
	v_and_b32_e32 v14, 0xffff, v14
	v_and_b32_e32 v15, 3, v14
	v_ffbh_u32_e32 v17, v15
	v_min_u32_e32 v17, 32, v17
	v_subrev_u32_e32 v18, 29, v17
	v_bfe_u32 v16, v14, 2, 5
	v_lshlrev_b32_e32 v14, v18, v14
	v_sub_u32_e32 v17, 30, v17
	v_and_b32_e32 v14, 3, v14
	v_cmp_eq_u32_e32 vcc, 0, v16
	v_cndmask_b32_e32 v16, v16, v17, vcc
	v_cndmask_b32_e32 v14, v15, v14, vcc
	v_mov_b32_e32 v15, 0x37800000
	v_lshlrev_b32_e32 v14, 21, v14
	v_and_b32_e32 v11, 0x80000000, v11
	v_lshl_add_u32 v15, v16, 23, v15
	v_or3_b32 v11, v11, v15, v14
	v_cvt_f16_f32_e32 v11, v11
.LBB22_2242:
	s_or_b64 exec, exec, s[16:17]
	s_mov_b64 s[14:15], 0
	s_branch .LBB22_2248
.LBB22_2243:
	s_mov_b64 s[14:15], -1
                                        ; implicit-def: $vgpr11
	s_branch .LBB22_2254
.LBB22_2244:
	s_or_saveexec_b64 s[20:21], s[20:21]
	v_mov_b32_e32 v11, s25
	s_xor_b64 exec, exec, s[20:21]
	s_cbranch_execz .LBB22_2227
.LBB22_2245:
	v_cmp_ne_u16_e32 vcc, 0, v14
	s_andn2_b64 s[16:17], s[16:17], exec
	s_and_b64 s[22:23], vcc, exec
	s_or_b64 s[16:17], s[16:17], s[22:23]
	v_mov_b32_e32 v11, v14
	s_or_b64 exec, exec, s[20:21]
	s_and_saveexec_b64 s[20:21], s[16:17]
	s_cbranch_execnz .LBB22_2228
	s_branch .LBB22_2229
.LBB22_2246:
	s_mov_b64 s[14:15], -1
                                        ; implicit-def: $vgpr11
	s_branch .LBB22_2251
.LBB22_2247:
	s_mov_b64 s[14:15], -1
                                        ; implicit-def: $vgpr11
.LBB22_2248:
	s_and_b64 vcc, exec, s[14:15]
	s_cbranch_vccz .LBB22_2250
; %bb.2249:
	global_load_ubyte v11, v[0:1], off
	s_mov_b32 s14, 0x7f800000
	s_waitcnt vmcnt(0)
	v_lshlrev_b32_e32 v11, 24, v11
	v_and_b32_e32 v14, 0x7f000000, v11
	v_ffbh_u32_e32 v15, v14
	v_min_u32_e32 v15, 32, v15
	v_sub_u32_e64 v15, v15, 4 clamp
	v_lshlrev_b32_e32 v17, v15, v14
	v_lshlrev_b32_e32 v15, 23, v15
	v_lshrrev_b32_e32 v17, 4, v17
	v_add_u32_e32 v16, 0x1000000, v14
	v_sub_u32_e32 v15, v17, v15
	v_ashrrev_i32_e32 v16, 8, v16
	v_add_u32_e32 v15, 0x3c000000, v15
	v_and_or_b32 v15, v16, s14, v15
	v_cmp_ne_u32_e32 vcc, 0, v14
	v_cndmask_b32_e32 v14, 0, v15, vcc
	s_brev_b32 s14, 1
	v_and_or_b32 v11, v11, s14, v14
	v_cvt_f16_f32_e32 v11, v11
.LBB22_2250:
	s_mov_b64 s[14:15], 0
.LBB22_2251:
	s_andn2_b64 vcc, exec, s[14:15]
	s_cbranch_vccnz .LBB22_2253
; %bb.2252:
	global_load_ubyte v11, v[0:1], off
	s_movk_i32 s14, 0x7f00
	s_brev_b32 s15, 16
	s_waitcnt vmcnt(0)
	v_lshlrev_b16_e32 v14, 8, v11
	v_lshlrev_b32_e32 v11, 25, v11
	v_lshrrev_b32_e32 v15, 4, v11
	v_and_or_b32 v16, v14, s14, 0.5
	v_or_b32_e32 v15, 0x70000000, v15
	v_add_f32_e32 v16, -0.5, v16
	v_mul_f32_e32 v15, 0x7800000, v15
	v_cmp_gt_u32_e32 vcc, s15, v11
	v_bfe_i32 v14, v14, 0, 16
	v_cndmask_b32_e32 v11, v15, v16, vcc
	s_brev_b32 s14, 1
	v_and_or_b32 v11, v14, s14, v11
	v_cvt_f16_f32_e32 v11, v11
.LBB22_2253:
	s_mov_b64 s[14:15], 0
	s_mov_b64 s[16:17], -1
.LBB22_2254:
	s_andn2_b64 vcc, exec, s[14:15]
	s_mov_b64 s[14:15], 0
	s_cbranch_vccnz .LBB22_2265
; %bb.2255:
	v_mov_b32_e32 v11, 14
	v_cmp_gt_i16_sdwa s[14:15], v4, v11 src0_sel:BYTE_0 src1_sel:DWORD
	s_and_b64 vcc, exec, s[14:15]
	s_cbranch_vccz .LBB22_2258
; %bb.2256:
	v_mov_b32_e32 v11, 15
	v_cmp_eq_u16_sdwa s[0:1], v4, v11 src0_sel:BYTE_0 src1_sel:DWORD
	s_and_b64 vcc, exec, s[0:1]
	s_cbranch_vccz .LBB22_2261
; %bb.2257:
	global_load_ushort v11, v[0:1], off
	s_mov_b64 s[0:1], 0
	s_mov_b64 s[16:17], -1
	s_waitcnt vmcnt(0)
	v_lshlrev_b32_e32 v11, 16, v11
	v_cvt_f16_f32_e32 v11, v11
	s_branch .LBB22_2262
.LBB22_2258:
	s_mov_b64 s[20:21], -1
                                        ; implicit-def: $vgpr11
	s_branch .LBB22_2263
.LBB22_2259:
	s_or_saveexec_b64 s[16:17], s[16:17]
	v_mov_b32_e32 v11, s22
	s_xor_b64 exec, exec, s[16:17]
	s_cbranch_execz .LBB22_2240
.LBB22_2260:
	v_cmp_ne_u16_e32 vcc, 0, v14
	s_andn2_b64 s[14:15], s[14:15], exec
	s_and_b64 s[20:21], vcc, exec
	s_or_b64 s[14:15], s[14:15], s[20:21]
	v_mov_b32_e32 v11, v14
	s_or_b64 exec, exec, s[16:17]
	s_and_saveexec_b64 s[16:17], s[14:15]
	s_cbranch_execnz .LBB22_2241
	s_branch .LBB22_2242
.LBB22_2261:
	s_mov_b64 s[0:1], -1
                                        ; implicit-def: $vgpr11
.LBB22_2262:
	s_mov_b64 s[20:21], 0
.LBB22_2263:
	s_mov_b64 s[14:15], 0
	s_and_b64 vcc, exec, s[20:21]
	s_cbranch_vccz .LBB22_2265
; %bb.2264:
	v_mov_b32_e32 v11, 11
	v_cmp_ne_u16_sdwa s[0:1], v4, v11 src0_sel:BYTE_0 src1_sel:DWORD
	s_mov_b64 s[14:15], -1
                                        ; implicit-def: $vgpr11
.LBB22_2265:
	s_and_b64 vcc, exec, s[0:1]
	s_cbranch_vccnz .LBB22_2330
; %bb.2266:
	s_andn2_b64 vcc, exec, s[14:15]
	s_cbranch_vccnz .LBB22_2268
.LBB22_2267:
	global_load_ubyte v11, v[0:1], off
	v_mov_b32_e32 v14, 0x3c00
	s_mov_b64 s[16:17], -1
	s_waitcnt vmcnt(0)
	v_cmp_ne_u16_e32 vcc, 0, v11
	v_cndmask_b32_e32 v11, 0, v14, vcc
.LBB22_2268:
	s_mov_b64 s[0:1], 0
.LBB22_2269:
	s_and_b64 vcc, exec, s[0:1]
	s_cbranch_vccz .LBB22_2318
; %bb.2270:
	v_mov_b32_e32 v11, 5
	v_cmp_lt_i16_sdwa s[0:1], v4, v11 src0_sel:BYTE_0 src1_sel:DWORD
	s_and_b64 vcc, exec, s[0:1]
	s_cbranch_vccnz .LBB22_2275
; %bb.2271:
	v_mov_b32_e32 v11, 8
	v_cmp_lt_i16_sdwa s[0:1], v4, v11 src0_sel:BYTE_0 src1_sel:DWORD
	s_and_b64 vcc, exec, s[0:1]
	s_cbranch_vccnz .LBB22_2276
	;; [unrolled: 5-line block ×3, first 2 shown]
; %bb.2273:
	v_cmp_gt_i16_sdwa s[0:1], v4, v11 src0_sel:BYTE_0 src1_sel:DWORD
	s_and_b64 vcc, exec, s[0:1]
	s_cbranch_vccz .LBB22_2278
; %bb.2274:
	global_load_dwordx2 v[14:15], v[0:1], off
	s_mov_b64 s[0:1], 0
	s_waitcnt vmcnt(0)
	v_cvt_f32_f64_e32 v11, v[14:15]
	v_cvt_f16_f32_e32 v11, v11
	s_branch .LBB22_2279
.LBB22_2275:
	s_mov_b64 s[0:1], -1
                                        ; implicit-def: $vgpr11
	s_branch .LBB22_2297
.LBB22_2276:
	s_mov_b64 s[0:1], -1
                                        ; implicit-def: $vgpr11
	s_branch .LBB22_2285
.LBB22_2277:
	s_mov_b64 s[0:1], -1
                                        ; implicit-def: $vgpr11
	s_branch .LBB22_2282
.LBB22_2278:
	s_mov_b64 s[0:1], -1
                                        ; implicit-def: $vgpr11
.LBB22_2279:
	s_andn2_b64 vcc, exec, s[0:1]
	s_cbranch_vccnz .LBB22_2281
; %bb.2280:
	global_load_dword v11, v[0:1], off
	s_waitcnt vmcnt(0)
	v_cvt_f16_f32_e32 v11, v11
.LBB22_2281:
	s_mov_b64 s[0:1], 0
.LBB22_2282:
	s_andn2_b64 vcc, exec, s[0:1]
	s_cbranch_vccnz .LBB22_2284
; %bb.2283:
	global_load_dword v11, v[0:1], off
.LBB22_2284:
	s_mov_b64 s[0:1], 0
.LBB22_2285:
	s_andn2_b64 vcc, exec, s[0:1]
	s_cbranch_vccnz .LBB22_2296
; %bb.2286:
	s_waitcnt vmcnt(0)
	v_mov_b32_e32 v11, 6
	v_cmp_lt_i16_sdwa s[0:1], v4, v11 src0_sel:BYTE_0 src1_sel:DWORD
	s_and_b64 vcc, exec, s[0:1]
	s_cbranch_vccnz .LBB22_2289
; %bb.2287:
	v_cmp_gt_i16_sdwa s[0:1], v4, v11 src0_sel:BYTE_0 src1_sel:DWORD
	s_and_b64 vcc, exec, s[0:1]
	s_cbranch_vccz .LBB22_2290
; %bb.2288:
	global_load_dwordx2 v[14:15], v[0:1], off
	s_mov_b64 s[0:1], 0
	s_waitcnt vmcnt(0)
	v_cvt_f32_f64_e32 v11, v[14:15]
	v_cvt_f16_f32_e32 v11, v11
	s_branch .LBB22_2291
.LBB22_2289:
	s_mov_b64 s[0:1], -1
                                        ; implicit-def: $vgpr11
	s_branch .LBB22_2294
.LBB22_2290:
	s_mov_b64 s[0:1], -1
                                        ; implicit-def: $vgpr11
.LBB22_2291:
	s_andn2_b64 vcc, exec, s[0:1]
	s_cbranch_vccnz .LBB22_2293
; %bb.2292:
	global_load_dword v11, v[0:1], off
	s_waitcnt vmcnt(0)
	v_cvt_f16_f32_e32 v11, v11
.LBB22_2293:
	s_mov_b64 s[0:1], 0
.LBB22_2294:
	s_andn2_b64 vcc, exec, s[0:1]
	s_cbranch_vccnz .LBB22_2296
; %bb.2295:
	global_load_ushort v11, v[0:1], off
.LBB22_2296:
	s_mov_b64 s[0:1], 0
.LBB22_2297:
	s_andn2_b64 vcc, exec, s[0:1]
	s_cbranch_vccnz .LBB22_2317
; %bb.2298:
	s_waitcnt vmcnt(0)
	v_mov_b32_e32 v11, 2
	v_cmp_lt_i16_sdwa s[0:1], v4, v11 src0_sel:BYTE_0 src1_sel:DWORD
	s_and_b64 vcc, exec, s[0:1]
	s_cbranch_vccnz .LBB22_2302
; %bb.2299:
	v_mov_b32_e32 v11, 3
	v_cmp_lt_i16_sdwa s[0:1], v4, v11 src0_sel:BYTE_0 src1_sel:DWORD
	s_and_b64 vcc, exec, s[0:1]
	s_cbranch_vccnz .LBB22_2303
; %bb.2300:
	v_cmp_gt_i16_sdwa s[0:1], v4, v11 src0_sel:BYTE_0 src1_sel:DWORD
	s_and_b64 vcc, exec, s[0:1]
	s_cbranch_vccz .LBB22_2304
; %bb.2301:
	global_load_dwordx2 v[14:15], v[0:1], off
	s_mov_b64 s[0:1], 0
	s_waitcnt vmcnt(0)
	v_xor_b32_e32 v16, v14, v15
	v_ffbh_i32_e32 v11, v15
	v_ashrrev_i32_e32 v16, 31, v16
	v_add_u32_e32 v11, -1, v11
	v_add_u32_e32 v16, 32, v16
	v_min_u32_e32 v11, v11, v16
	v_lshlrev_b64 v[14:15], v11, v[14:15]
	v_min_u32_e32 v14, 1, v14
	v_or_b32_e32 v14, v15, v14
	v_cvt_f32_i32_e32 v14, v14
	v_sub_u32_e32 v11, 32, v11
	v_ldexp_f32 v11, v14, v11
	v_cvt_f16_f32_e32 v11, v11
	s_branch .LBB22_2305
.LBB22_2302:
	s_mov_b64 s[0:1], -1
                                        ; implicit-def: $vgpr11
	s_branch .LBB22_2311
.LBB22_2303:
	s_mov_b64 s[0:1], -1
                                        ; implicit-def: $vgpr11
	s_branch .LBB22_2308
.LBB22_2304:
	s_mov_b64 s[0:1], -1
                                        ; implicit-def: $vgpr11
.LBB22_2305:
	s_andn2_b64 vcc, exec, s[0:1]
	s_cbranch_vccnz .LBB22_2307
; %bb.2306:
	global_load_dword v11, v[0:1], off
	s_waitcnt vmcnt(0)
	v_cvt_f32_i32_e32 v11, v11
	v_cvt_f16_f32_e32 v11, v11
.LBB22_2307:
	s_mov_b64 s[0:1], 0
.LBB22_2308:
	s_andn2_b64 vcc, exec, s[0:1]
	s_cbranch_vccnz .LBB22_2310
; %bb.2309:
	global_load_ushort v11, v[0:1], off
	s_waitcnt vmcnt(0)
	v_cvt_f16_i16_e32 v11, v11
.LBB22_2310:
	s_mov_b64 s[0:1], 0
.LBB22_2311:
	s_andn2_b64 vcc, exec, s[0:1]
	s_cbranch_vccnz .LBB22_2317
; %bb.2312:
	v_mov_b32_e32 v11, 0
	v_cmp_gt_i16_sdwa s[0:1], v4, v11 src0_sel:BYTE_0 src1_sel:DWORD
	s_and_b64 vcc, exec, s[0:1]
	s_cbranch_vccz .LBB22_2314
; %bb.2313:
	global_load_sbyte v11, v[0:1], off
	s_mov_b64 s[0:1], 0
	s_waitcnt vmcnt(0)
	v_cvt_f16_i16_e32 v11, v11
	s_branch .LBB22_2315
.LBB22_2314:
	s_mov_b64 s[0:1], -1
                                        ; implicit-def: $vgpr11
.LBB22_2315:
	s_andn2_b64 vcc, exec, s[0:1]
	s_cbranch_vccnz .LBB22_2317
; %bb.2316:
	global_load_ubyte v0, v[0:1], off
	s_waitcnt vmcnt(0)
	v_cvt_f16_u16_e32 v11, v0
.LBB22_2317:
	s_mov_b64 s[16:17], -1
.LBB22_2318:
	s_andn2_b64 vcc, exec, s[16:17]
	s_cbranch_vccnz .LBB22_3032
; %bb.2319:
	v_add_u32_e32 v0, s13, v12
	v_ashrrev_i32_e32 v1, 31, v0
	v_mov_b32_e32 v12, s11
	v_add_co_u32_e32 v0, vcc, s10, v0
	v_addc_co_u32_e32 v1, vcc, v12, v1, vcc
	v_mov_b32_e32 v12, 11
	v_cmp_lt_i16_sdwa s[0:1], v5, v12 src0_sel:BYTE_0 src1_sel:DWORD
	s_and_b64 vcc, exec, s[0:1]
	s_cbranch_vccnz .LBB22_2326
; %bb.2320:
	v_mov_b32_e32 v12, 25
	v_cmp_gt_i16_sdwa s[0:1], v5, v12 src0_sel:BYTE_0 src1_sel:DWORD
	s_mov_b64 s[10:11], 0
	s_and_b64 vcc, exec, s[0:1]
	s_cbranch_vccz .LBB22_2327
; %bb.2321:
	v_mov_b32_e32 v12, 28
	v_cmp_gt_i16_sdwa s[0:1], v5, v12 src0_sel:BYTE_0 src1_sel:DWORD
	s_and_b64 vcc, exec, s[0:1]
	s_cbranch_vccz .LBB22_2328
; %bb.2322:
	v_mov_b32_e32 v12, 43
	v_cmp_gt_i16_sdwa s[0:1], v5, v12 src0_sel:BYTE_0 src1_sel:DWORD
	;; [unrolled: 5-line block ×3, first 2 shown]
	s_and_b64 vcc, exec, s[0:1]
	s_cbranch_vccz .LBB22_2331
; %bb.2324:
	v_mov_b32_e32 v12, 46
	v_cmp_eq_u16_sdwa s[0:1], v5, v12 src0_sel:BYTE_0 src1_sel:DWORD
	s_mov_b64 s[16:17], 0
	s_and_b64 vcc, exec, s[0:1]
	s_cbranch_vccz .LBB22_2332
; %bb.2325:
	global_load_dword v12, v[0:1], off
	s_mov_b64 s[0:1], 0
	s_mov_b64 s[14:15], -1
	s_waitcnt vmcnt(0)
	v_lshlrev_b32_e32 v12, 16, v12
	v_cvt_f16_f32_e32 v12, v12
	s_branch .LBB22_2333
.LBB22_2326:
	s_mov_b64 s[0:1], -1
	s_mov_b64 s[14:15], 0
                                        ; implicit-def: $vgpr12
	s_branch .LBB22_2399
.LBB22_2327:
	s_mov_b64 s[16:17], -1
	s_mov_b64 s[14:15], 0
	s_mov_b64 s[0:1], 0
                                        ; implicit-def: $vgpr12
	s_branch .LBB22_2362
.LBB22_2328:
	s_mov_b64 s[16:17], -1
	s_mov_b64 s[14:15], 0
	s_mov_b64 s[0:1], 0
                                        ; implicit-def: $vgpr12
	s_branch .LBB22_2343
.LBB22_2329:
	s_mov_b64 s[16:17], -1
	s_mov_b64 s[14:15], 0
	s_mov_b64 s[0:1], 0
                                        ; implicit-def: $vgpr12
	s_branch .LBB22_2338
.LBB22_2330:
	s_trap 2
	s_or_b64 s[18:19], s[18:19], exec
                                        ; implicit-def: $vgpr11
	s_cbranch_execz .LBB22_2267
	s_branch .LBB22_2268
.LBB22_2331:
	s_mov_b64 s[16:17], -1
	s_mov_b64 s[14:15], 0
	s_mov_b64 s[0:1], 0
                                        ; implicit-def: $vgpr12
	s_branch .LBB22_2333
.LBB22_2332:
	s_mov_b64 s[0:1], -1
                                        ; implicit-def: $vgpr12
	s_mov_b64 s[14:15], 0
.LBB22_2333:
	s_and_b64 vcc, exec, s[16:17]
	s_cbranch_vccz .LBB22_2337
; %bb.2334:
	v_mov_b32_e32 v12, 44
	v_cmp_eq_u16_sdwa s[0:1], v5, v12 src0_sel:BYTE_0 src1_sel:DWORD
	s_and_b64 vcc, exec, s[0:1]
	s_cbranch_vccz .LBB22_2336
; %bb.2335:
	global_load_ubyte v12, v[0:1], off
	s_movk_i32 s13, 0xff
	v_mov_b32_e32 v15, 0x7e00
	s_mov_b64 s[0:1], 0
	s_mov_b64 s[14:15], -1
	s_waitcnt vmcnt(0)
	v_lshlrev_b32_e32 v14, 23, v12
	v_cvt_f16_f32_e32 v14, v14
	v_cmp_ne_u32_e32 vcc, s13, v12
	v_cndmask_b32_e32 v14, v15, v14, vcc
	v_cmp_ne_u32_e32 vcc, 0, v12
	v_cndmask_b32_e32 v12, 0, v14, vcc
	s_branch .LBB22_2337
.LBB22_2336:
	s_mov_b64 s[0:1], -1
                                        ; implicit-def: $vgpr12
.LBB22_2337:
	s_mov_b64 s[16:17], 0
.LBB22_2338:
	s_and_b64 vcc, exec, s[16:17]
	s_cbranch_vccz .LBB22_2342
; %bb.2339:
	v_mov_b32_e32 v12, 29
	v_cmp_eq_u16_sdwa s[0:1], v5, v12 src0_sel:BYTE_0 src1_sel:DWORD
	s_and_b64 vcc, exec, s[0:1]
	s_cbranch_vccz .LBB22_2341
; %bb.2340:
	global_load_dwordx2 v[14:15], v[0:1], off
	s_mov_b64 s[0:1], 0
	s_mov_b64 s[14:15], -1
	s_mov_b64 s[16:17], 0
	s_waitcnt vmcnt(0)
	v_ffbh_u32_e32 v12, v15
	v_min_u32_e32 v12, 32, v12
	v_lshlrev_b64 v[14:15], v12, v[14:15]
	v_min_u32_e32 v14, 1, v14
	v_or_b32_e32 v14, v15, v14
	v_cvt_f32_u32_e32 v14, v14
	v_sub_u32_e32 v12, 32, v12
	v_ldexp_f32 v12, v14, v12
	v_cvt_f16_f32_e32 v12, v12
	s_branch .LBB22_2343
.LBB22_2341:
	s_mov_b64 s[0:1], -1
                                        ; implicit-def: $vgpr12
.LBB22_2342:
	s_mov_b64 s[16:17], 0
.LBB22_2343:
	s_and_b64 vcc, exec, s[16:17]
	s_cbranch_vccz .LBB22_2361
; %bb.2344:
	v_mov_b32_e32 v12, 27
	v_cmp_lt_i16_sdwa s[14:15], v5, v12 src0_sel:BYTE_0 src1_sel:DWORD
	s_and_b64 vcc, exec, s[14:15]
	s_cbranch_vccnz .LBB22_2347
; %bb.2345:
	v_cmp_gt_i16_sdwa s[14:15], v5, v12 src0_sel:BYTE_0 src1_sel:DWORD
	s_and_b64 vcc, exec, s[14:15]
	s_cbranch_vccz .LBB22_2348
; %bb.2346:
	global_load_dword v12, v[0:1], off
	s_mov_b64 s[14:15], 0
	s_waitcnt vmcnt(0)
	v_cvt_f32_u32_e32 v12, v12
	v_cvt_f16_f32_e32 v12, v12
	s_branch .LBB22_2349
.LBB22_2347:
	s_mov_b64 s[14:15], -1
                                        ; implicit-def: $vgpr12
	s_branch .LBB22_2352
.LBB22_2348:
	s_mov_b64 s[14:15], -1
                                        ; implicit-def: $vgpr12
.LBB22_2349:
	s_andn2_b64 vcc, exec, s[14:15]
	s_cbranch_vccnz .LBB22_2351
; %bb.2350:
	global_load_ushort v12, v[0:1], off
	s_waitcnt vmcnt(0)
	v_cvt_f16_u16_e32 v12, v12
.LBB22_2351:
	s_mov_b64 s[14:15], 0
.LBB22_2352:
	s_andn2_b64 vcc, exec, s[14:15]
	s_cbranch_vccnz .LBB22_2360
; %bb.2353:
	global_load_ubyte v14, v[0:1], off
	s_movk_i32 s13, 0x7f
	s_mov_b64 s[14:15], 0
	s_waitcnt vmcnt(0)
	v_cmp_lt_i16_e32 vcc, s13, v14
                                        ; implicit-def: $sgpr13
	s_and_saveexec_b64 s[16:17], vcc
	s_xor_b64 s[16:17], exec, s[16:17]
	s_cbranch_execz .LBB22_2374
; %bb.2354:
	s_movk_i32 s13, 0x80
	v_cmp_eq_u16_e32 vcc, s13, v14
	s_mov_b64 s[14:15], -1
                                        ; implicit-def: $sgpr13
	s_and_saveexec_b64 s[20:21], vcc
; %bb.2355:
	s_movk_i32 s13, 0x7e00
	s_xor_b64 s[14:15], exec, -1
; %bb.2356:
	s_or_b64 exec, exec, s[20:21]
	s_and_b64 s[14:15], s[14:15], exec
	s_or_saveexec_b64 s[16:17], s[16:17]
	v_mov_b32_e32 v12, s13
	s_xor_b64 exec, exec, s[16:17]
	s_cbranch_execnz .LBB22_2375
.LBB22_2357:
	s_or_b64 exec, exec, s[16:17]
	s_and_saveexec_b64 s[16:17], s[14:15]
	s_cbranch_execz .LBB22_2359
.LBB22_2358:
	v_lshlrev_b32_e32 v12, 24, v14
	v_and_b32_e32 v14, 0xffff, v14
	v_and_b32_e32 v15, 7, v14
	v_ffbh_u32_e32 v17, v15
	v_min_u32_e32 v17, 32, v17
	v_subrev_u32_e32 v18, 28, v17
	v_bfe_u32 v16, v14, 3, 4
	v_lshlrev_b32_e32 v14, v18, v14
	v_sub_u32_e32 v17, 29, v17
	v_and_b32_e32 v14, 7, v14
	v_cmp_eq_u32_e32 vcc, 0, v16
	v_cndmask_b32_e32 v16, v16, v17, vcc
	v_cndmask_b32_e32 v14, v15, v14, vcc
	v_mov_b32_e32 v15, 0x3b800000
	v_lshlrev_b32_e32 v14, 20, v14
	v_and_b32_e32 v12, 0x80000000, v12
	v_lshl_add_u32 v15, v16, 23, v15
	v_or3_b32 v12, v12, v15, v14
	v_cvt_f16_f32_e32 v12, v12
.LBB22_2359:
	s_or_b64 exec, exec, s[16:17]
.LBB22_2360:
	s_mov_b64 s[14:15], -1
.LBB22_2361:
	s_mov_b64 s[16:17], 0
.LBB22_2362:
	s_and_b64 vcc, exec, s[16:17]
	s_cbranch_vccz .LBB22_2395
; %bb.2363:
	v_mov_b32_e32 v12, 22
	v_cmp_gt_i16_sdwa s[10:11], v5, v12 src0_sel:BYTE_0 src1_sel:DWORD
	s_and_b64 vcc, exec, s[10:11]
	s_cbranch_vccz .LBB22_2373
; %bb.2364:
	v_mov_b32_e32 v12, 24
	v_cmp_lt_i16_sdwa s[10:11], v5, v12 src0_sel:BYTE_0 src1_sel:DWORD
	s_and_b64 vcc, exec, s[10:11]
	s_cbranch_vccnz .LBB22_2376
; %bb.2365:
	v_cmp_gt_i16_sdwa s[10:11], v5, v12 src0_sel:BYTE_0 src1_sel:DWORD
	s_and_b64 vcc, exec, s[10:11]
	s_cbranch_vccz .LBB22_2377
; %bb.2366:
	global_load_ubyte v14, v[0:1], off
	s_movk_i32 s10, 0x7f
                                        ; implicit-def: $sgpr13
	s_waitcnt vmcnt(0)
	v_cmp_lt_i16_e32 vcc, s10, v14
	s_mov_b64 s[10:11], 0
	s_and_saveexec_b64 s[14:15], vcc
	s_xor_b64 s[14:15], exec, s[14:15]
	s_cbranch_execz .LBB22_2389
; %bb.2367:
	s_movk_i32 s10, 0x80
	v_cmp_eq_u16_e32 vcc, s10, v14
	s_mov_b64 s[10:11], -1
                                        ; implicit-def: $sgpr13
	s_and_saveexec_b64 s[16:17], vcc
; %bb.2368:
	s_movk_i32 s13, 0x7e00
	s_xor_b64 s[10:11], exec, -1
; %bb.2369:
	s_or_b64 exec, exec, s[16:17]
	s_and_b64 s[10:11], s[10:11], exec
	s_or_saveexec_b64 s[14:15], s[14:15]
	v_mov_b32_e32 v12, s13
	s_xor_b64 exec, exec, s[14:15]
	s_cbranch_execnz .LBB22_2390
.LBB22_2370:
	s_or_b64 exec, exec, s[14:15]
	s_and_saveexec_b64 s[14:15], s[10:11]
	s_cbranch_execz .LBB22_2372
.LBB22_2371:
	v_lshlrev_b32_e32 v12, 24, v14
	v_and_b32_e32 v14, 0xffff, v14
	v_and_b32_e32 v15, 3, v14
	v_ffbh_u32_e32 v17, v15
	v_min_u32_e32 v17, 32, v17
	v_subrev_u32_e32 v18, 29, v17
	v_bfe_u32 v16, v14, 2, 5
	v_lshlrev_b32_e32 v14, v18, v14
	v_sub_u32_e32 v17, 30, v17
	v_and_b32_e32 v14, 3, v14
	v_cmp_eq_u32_e32 vcc, 0, v16
	v_cndmask_b32_e32 v16, v16, v17, vcc
	v_cndmask_b32_e32 v14, v15, v14, vcc
	v_mov_b32_e32 v15, 0x37800000
	v_lshlrev_b32_e32 v14, 21, v14
	v_and_b32_e32 v12, 0x80000000, v12
	v_lshl_add_u32 v15, v16, 23, v15
	v_or3_b32 v12, v12, v15, v14
	v_cvt_f16_f32_e32 v12, v12
.LBB22_2372:
	s_or_b64 exec, exec, s[14:15]
	s_mov_b64 s[10:11], 0
	s_branch .LBB22_2378
.LBB22_2373:
	s_mov_b64 s[10:11], -1
                                        ; implicit-def: $vgpr12
	s_branch .LBB22_2384
.LBB22_2374:
	s_or_saveexec_b64 s[16:17], s[16:17]
	v_mov_b32_e32 v12, s13
	s_xor_b64 exec, exec, s[16:17]
	s_cbranch_execz .LBB22_2357
.LBB22_2375:
	v_cmp_ne_u16_e32 vcc, 0, v14
	s_andn2_b64 s[14:15], s[14:15], exec
	s_and_b64 s[20:21], vcc, exec
	s_or_b64 s[14:15], s[14:15], s[20:21]
	v_mov_b32_e32 v12, v14
	s_or_b64 exec, exec, s[16:17]
	s_and_saveexec_b64 s[16:17], s[14:15]
	s_cbranch_execnz .LBB22_2358
	s_branch .LBB22_2359
.LBB22_2376:
	s_mov_b64 s[10:11], -1
                                        ; implicit-def: $vgpr12
	s_branch .LBB22_2381
.LBB22_2377:
	s_mov_b64 s[10:11], -1
                                        ; implicit-def: $vgpr12
.LBB22_2378:
	s_and_b64 vcc, exec, s[10:11]
	s_cbranch_vccz .LBB22_2380
; %bb.2379:
	global_load_ubyte v12, v[0:1], off
	s_mov_b32 s10, 0x7f800000
	s_waitcnt vmcnt(0)
	v_lshlrev_b32_e32 v12, 24, v12
	v_and_b32_e32 v14, 0x7f000000, v12
	v_ffbh_u32_e32 v15, v14
	v_min_u32_e32 v15, 32, v15
	v_sub_u32_e64 v15, v15, 4 clamp
	v_lshlrev_b32_e32 v17, v15, v14
	v_lshlrev_b32_e32 v15, 23, v15
	v_lshrrev_b32_e32 v17, 4, v17
	v_add_u32_e32 v16, 0x1000000, v14
	v_sub_u32_e32 v15, v17, v15
	v_ashrrev_i32_e32 v16, 8, v16
	v_add_u32_e32 v15, 0x3c000000, v15
	v_and_or_b32 v15, v16, s10, v15
	v_cmp_ne_u32_e32 vcc, 0, v14
	v_cndmask_b32_e32 v14, 0, v15, vcc
	s_brev_b32 s10, 1
	v_and_or_b32 v12, v12, s10, v14
	v_cvt_f16_f32_e32 v12, v12
.LBB22_2380:
	s_mov_b64 s[10:11], 0
.LBB22_2381:
	s_andn2_b64 vcc, exec, s[10:11]
	s_cbranch_vccnz .LBB22_2383
; %bb.2382:
	global_load_ubyte v12, v[0:1], off
	s_movk_i32 s10, 0x7f00
	s_brev_b32 s11, 16
	s_waitcnt vmcnt(0)
	v_lshlrev_b16_e32 v14, 8, v12
	v_lshlrev_b32_e32 v12, 25, v12
	v_lshrrev_b32_e32 v15, 4, v12
	v_and_or_b32 v16, v14, s10, 0.5
	v_or_b32_e32 v15, 0x70000000, v15
	v_add_f32_e32 v16, -0.5, v16
	v_mul_f32_e32 v15, 0x7800000, v15
	v_cmp_gt_u32_e32 vcc, s11, v12
	v_bfe_i32 v14, v14, 0, 16
	v_cndmask_b32_e32 v12, v15, v16, vcc
	s_brev_b32 s10, 1
	v_and_or_b32 v12, v14, s10, v12
	v_cvt_f16_f32_e32 v12, v12
.LBB22_2383:
	s_mov_b64 s[10:11], 0
	s_mov_b64 s[14:15], -1
.LBB22_2384:
	s_andn2_b64 vcc, exec, s[10:11]
	s_mov_b64 s[10:11], 0
	s_cbranch_vccnz .LBB22_2395
; %bb.2385:
	v_mov_b32_e32 v12, 14
	v_cmp_gt_i16_sdwa s[10:11], v5, v12 src0_sel:BYTE_0 src1_sel:DWORD
	s_and_b64 vcc, exec, s[10:11]
	s_cbranch_vccz .LBB22_2388
; %bb.2386:
	v_mov_b32_e32 v12, 15
	v_cmp_eq_u16_sdwa s[0:1], v5, v12 src0_sel:BYTE_0 src1_sel:DWORD
	s_and_b64 vcc, exec, s[0:1]
	s_cbranch_vccz .LBB22_2391
; %bb.2387:
	global_load_ushort v12, v[0:1], off
	s_mov_b64 s[0:1], 0
	s_mov_b64 s[14:15], -1
	s_waitcnt vmcnt(0)
	v_lshlrev_b32_e32 v12, 16, v12
	v_cvt_f16_f32_e32 v12, v12
	s_branch .LBB22_2392
.LBB22_2388:
	s_mov_b64 s[16:17], -1
                                        ; implicit-def: $vgpr12
	s_branch .LBB22_2393
.LBB22_2389:
	s_or_saveexec_b64 s[14:15], s[14:15]
	v_mov_b32_e32 v12, s13
	s_xor_b64 exec, exec, s[14:15]
	s_cbranch_execz .LBB22_2370
.LBB22_2390:
	v_cmp_ne_u16_e32 vcc, 0, v14
	s_andn2_b64 s[10:11], s[10:11], exec
	s_and_b64 s[16:17], vcc, exec
	s_or_b64 s[10:11], s[10:11], s[16:17]
	v_mov_b32_e32 v12, v14
	s_or_b64 exec, exec, s[14:15]
	s_and_saveexec_b64 s[14:15], s[10:11]
	s_cbranch_execnz .LBB22_2371
	s_branch .LBB22_2372
.LBB22_2391:
	s_mov_b64 s[0:1], -1
                                        ; implicit-def: $vgpr12
.LBB22_2392:
	s_mov_b64 s[16:17], 0
.LBB22_2393:
	s_mov_b64 s[10:11], 0
	s_and_b64 vcc, exec, s[16:17]
	s_cbranch_vccz .LBB22_2395
; %bb.2394:
	v_mov_b32_e32 v12, 11
	v_cmp_ne_u16_sdwa s[0:1], v5, v12 src0_sel:BYTE_0 src1_sel:DWORD
	s_mov_b64 s[10:11], -1
                                        ; implicit-def: $vgpr12
.LBB22_2395:
	s_and_b64 vcc, exec, s[0:1]
	s_cbranch_vccnz .LBB22_2460
; %bb.2396:
	s_andn2_b64 vcc, exec, s[10:11]
	s_cbranch_vccnz .LBB22_2398
.LBB22_2397:
	global_load_ubyte v12, v[0:1], off
	v_mov_b32_e32 v14, 0x3c00
	s_mov_b64 s[14:15], -1
	s_waitcnt vmcnt(0)
	v_cmp_ne_u16_e32 vcc, 0, v12
	v_cndmask_b32_e32 v12, 0, v14, vcc
.LBB22_2398:
	s_mov_b64 s[0:1], 0
.LBB22_2399:
	s_and_b64 vcc, exec, s[0:1]
	s_cbranch_vccz .LBB22_2448
; %bb.2400:
	v_mov_b32_e32 v12, 5
	v_cmp_lt_i16_sdwa s[0:1], v5, v12 src0_sel:BYTE_0 src1_sel:DWORD
	s_and_b64 vcc, exec, s[0:1]
	s_cbranch_vccnz .LBB22_2405
; %bb.2401:
	v_mov_b32_e32 v12, 8
	v_cmp_lt_i16_sdwa s[0:1], v5, v12 src0_sel:BYTE_0 src1_sel:DWORD
	s_and_b64 vcc, exec, s[0:1]
	s_cbranch_vccnz .LBB22_2406
	;; [unrolled: 5-line block ×3, first 2 shown]
; %bb.2403:
	v_cmp_gt_i16_sdwa s[0:1], v5, v12 src0_sel:BYTE_0 src1_sel:DWORD
	s_and_b64 vcc, exec, s[0:1]
	s_cbranch_vccz .LBB22_2408
; %bb.2404:
	global_load_dwordx2 v[14:15], v[0:1], off
	s_mov_b64 s[0:1], 0
	s_waitcnt vmcnt(0)
	v_cvt_f32_f64_e32 v12, v[14:15]
	v_cvt_f16_f32_e32 v12, v12
	s_branch .LBB22_2409
.LBB22_2405:
	s_mov_b64 s[0:1], -1
                                        ; implicit-def: $vgpr12
	s_branch .LBB22_2427
.LBB22_2406:
	s_mov_b64 s[0:1], -1
                                        ; implicit-def: $vgpr12
	s_branch .LBB22_2415
.LBB22_2407:
	s_mov_b64 s[0:1], -1
                                        ; implicit-def: $vgpr12
	s_branch .LBB22_2412
.LBB22_2408:
	s_mov_b64 s[0:1], -1
                                        ; implicit-def: $vgpr12
.LBB22_2409:
	s_andn2_b64 vcc, exec, s[0:1]
	s_cbranch_vccnz .LBB22_2411
; %bb.2410:
	global_load_dword v12, v[0:1], off
	s_waitcnt vmcnt(0)
	v_cvt_f16_f32_e32 v12, v12
.LBB22_2411:
	s_mov_b64 s[0:1], 0
.LBB22_2412:
	s_andn2_b64 vcc, exec, s[0:1]
	s_cbranch_vccnz .LBB22_2414
; %bb.2413:
	global_load_dword v12, v[0:1], off
.LBB22_2414:
	s_mov_b64 s[0:1], 0
.LBB22_2415:
	s_andn2_b64 vcc, exec, s[0:1]
	s_cbranch_vccnz .LBB22_2426
; %bb.2416:
	s_waitcnt vmcnt(0)
	v_mov_b32_e32 v12, 6
	v_cmp_lt_i16_sdwa s[0:1], v5, v12 src0_sel:BYTE_0 src1_sel:DWORD
	s_and_b64 vcc, exec, s[0:1]
	s_cbranch_vccnz .LBB22_2419
; %bb.2417:
	v_cmp_gt_i16_sdwa s[0:1], v5, v12 src0_sel:BYTE_0 src1_sel:DWORD
	s_and_b64 vcc, exec, s[0:1]
	s_cbranch_vccz .LBB22_2420
; %bb.2418:
	global_load_dwordx2 v[14:15], v[0:1], off
	s_mov_b64 s[0:1], 0
	s_waitcnt vmcnt(0)
	v_cvt_f32_f64_e32 v12, v[14:15]
	v_cvt_f16_f32_e32 v12, v12
	s_branch .LBB22_2421
.LBB22_2419:
	s_mov_b64 s[0:1], -1
                                        ; implicit-def: $vgpr12
	s_branch .LBB22_2424
.LBB22_2420:
	s_mov_b64 s[0:1], -1
                                        ; implicit-def: $vgpr12
.LBB22_2421:
	s_andn2_b64 vcc, exec, s[0:1]
	s_cbranch_vccnz .LBB22_2423
; %bb.2422:
	global_load_dword v12, v[0:1], off
	s_waitcnt vmcnt(0)
	v_cvt_f16_f32_e32 v12, v12
.LBB22_2423:
	s_mov_b64 s[0:1], 0
.LBB22_2424:
	s_andn2_b64 vcc, exec, s[0:1]
	s_cbranch_vccnz .LBB22_2426
; %bb.2425:
	global_load_ushort v12, v[0:1], off
.LBB22_2426:
	s_mov_b64 s[0:1], 0
.LBB22_2427:
	s_andn2_b64 vcc, exec, s[0:1]
	s_cbranch_vccnz .LBB22_2447
; %bb.2428:
	s_waitcnt vmcnt(0)
	v_mov_b32_e32 v12, 2
	v_cmp_lt_i16_sdwa s[0:1], v5, v12 src0_sel:BYTE_0 src1_sel:DWORD
	s_and_b64 vcc, exec, s[0:1]
	s_cbranch_vccnz .LBB22_2432
; %bb.2429:
	v_mov_b32_e32 v12, 3
	v_cmp_lt_i16_sdwa s[0:1], v5, v12 src0_sel:BYTE_0 src1_sel:DWORD
	s_and_b64 vcc, exec, s[0:1]
	s_cbranch_vccnz .LBB22_2433
; %bb.2430:
	v_cmp_gt_i16_sdwa s[0:1], v5, v12 src0_sel:BYTE_0 src1_sel:DWORD
	s_and_b64 vcc, exec, s[0:1]
	s_cbranch_vccz .LBB22_2434
; %bb.2431:
	global_load_dwordx2 v[14:15], v[0:1], off
	s_mov_b64 s[0:1], 0
	s_waitcnt vmcnt(0)
	v_xor_b32_e32 v16, v14, v15
	v_ffbh_i32_e32 v12, v15
	v_ashrrev_i32_e32 v16, 31, v16
	v_add_u32_e32 v12, -1, v12
	v_add_u32_e32 v16, 32, v16
	v_min_u32_e32 v12, v12, v16
	v_lshlrev_b64 v[14:15], v12, v[14:15]
	v_min_u32_e32 v14, 1, v14
	v_or_b32_e32 v14, v15, v14
	v_cvt_f32_i32_e32 v14, v14
	v_sub_u32_e32 v12, 32, v12
	v_ldexp_f32 v12, v14, v12
	v_cvt_f16_f32_e32 v12, v12
	s_branch .LBB22_2435
.LBB22_2432:
	s_mov_b64 s[0:1], -1
                                        ; implicit-def: $vgpr12
	s_branch .LBB22_2441
.LBB22_2433:
	s_mov_b64 s[0:1], -1
                                        ; implicit-def: $vgpr12
	s_branch .LBB22_2438
.LBB22_2434:
	s_mov_b64 s[0:1], -1
                                        ; implicit-def: $vgpr12
.LBB22_2435:
	s_andn2_b64 vcc, exec, s[0:1]
	s_cbranch_vccnz .LBB22_2437
; %bb.2436:
	global_load_dword v12, v[0:1], off
	s_waitcnt vmcnt(0)
	v_cvt_f32_i32_e32 v12, v12
	v_cvt_f16_f32_e32 v12, v12
.LBB22_2437:
	s_mov_b64 s[0:1], 0
.LBB22_2438:
	s_andn2_b64 vcc, exec, s[0:1]
	s_cbranch_vccnz .LBB22_2440
; %bb.2439:
	global_load_ushort v12, v[0:1], off
	s_waitcnt vmcnt(0)
	v_cvt_f16_i16_e32 v12, v12
.LBB22_2440:
	s_mov_b64 s[0:1], 0
.LBB22_2441:
	s_andn2_b64 vcc, exec, s[0:1]
	s_cbranch_vccnz .LBB22_2447
; %bb.2442:
	v_mov_b32_e32 v12, 0
	v_cmp_gt_i16_sdwa s[0:1], v5, v12 src0_sel:BYTE_0 src1_sel:DWORD
	s_and_b64 vcc, exec, s[0:1]
	s_cbranch_vccz .LBB22_2444
; %bb.2443:
	global_load_sbyte v5, v[0:1], off
	s_mov_b64 s[0:1], 0
	s_waitcnt vmcnt(0)
	v_cvt_f16_i16_e32 v12, v5
	s_branch .LBB22_2445
.LBB22_2444:
	s_mov_b64 s[0:1], -1
                                        ; implicit-def: $vgpr12
.LBB22_2445:
	s_andn2_b64 vcc, exec, s[0:1]
	s_cbranch_vccnz .LBB22_2447
; %bb.2446:
	global_load_ubyte v0, v[0:1], off
	s_waitcnt vmcnt(0)
	v_cvt_f16_u16_e32 v12, v0
.LBB22_2447:
	s_mov_b64 s[14:15], -1
.LBB22_2448:
	s_andn2_b64 vcc, exec, s[14:15]
	s_cbranch_vccnz .LBB22_3032
; %bb.2449:
	v_add_u32_e32 v0, s24, v13
	v_ashrrev_i32_e32 v1, 31, v0
	v_mov_b32_e32 v5, s3
	v_add_co_u32_e32 v0, vcc, s2, v0
	v_addc_co_u32_e32 v1, vcc, v5, v1, vcc
	v_mov_b32_e32 v5, 11
	v_cmp_lt_i16_sdwa s[0:1], v4, v5 src0_sel:BYTE_0 src1_sel:DWORD
	s_and_b64 vcc, exec, s[0:1]
	s_cbranch_vccnz .LBB22_2456
; %bb.2450:
	v_mov_b32_e32 v5, 25
	v_cmp_gt_i16_sdwa s[0:1], v4, v5 src0_sel:BYTE_0 src1_sel:DWORD
	s_mov_b64 s[2:3], 0
	s_and_b64 vcc, exec, s[0:1]
	s_cbranch_vccz .LBB22_2457
; %bb.2451:
	v_mov_b32_e32 v5, 28
	v_cmp_gt_i16_sdwa s[0:1], v4, v5 src0_sel:BYTE_0 src1_sel:DWORD
	s_and_b64 vcc, exec, s[0:1]
	s_cbranch_vccz .LBB22_2458
; %bb.2452:
	v_mov_b32_e32 v5, 43
	v_cmp_gt_i16_sdwa s[0:1], v4, v5 src0_sel:BYTE_0 src1_sel:DWORD
	;; [unrolled: 5-line block ×3, first 2 shown]
	s_and_b64 vcc, exec, s[0:1]
	s_cbranch_vccz .LBB22_2461
; %bb.2454:
	v_mov_b32_e32 v5, 46
	v_cmp_eq_u16_sdwa s[0:1], v4, v5 src0_sel:BYTE_0 src1_sel:DWORD
	s_mov_b64 s[14:15], 0
	s_and_b64 vcc, exec, s[0:1]
	s_cbranch_vccz .LBB22_2462
; %bb.2455:
	global_load_dword v5, v[0:1], off
	s_mov_b64 s[0:1], 0
	s_mov_b64 s[10:11], -1
	s_waitcnt vmcnt(0)
	v_lshlrev_b32_e32 v5, 16, v5
	v_cvt_f16_f32_e32 v5, v5
	s_branch .LBB22_2463
.LBB22_2456:
	s_mov_b64 s[0:1], -1
	s_mov_b64 s[10:11], 0
                                        ; implicit-def: $vgpr5
	s_branch .LBB22_2529
.LBB22_2457:
	s_mov_b64 s[14:15], -1
	s_mov_b64 s[10:11], 0
	s_mov_b64 s[0:1], 0
                                        ; implicit-def: $vgpr5
	s_branch .LBB22_2492
.LBB22_2458:
	s_mov_b64 s[14:15], -1
	s_mov_b64 s[10:11], 0
	s_mov_b64 s[0:1], 0
                                        ; implicit-def: $vgpr5
	s_branch .LBB22_2473
.LBB22_2459:
	s_mov_b64 s[14:15], -1
	s_mov_b64 s[10:11], 0
	s_mov_b64 s[0:1], 0
                                        ; implicit-def: $vgpr5
	s_branch .LBB22_2468
.LBB22_2460:
	s_trap 2
	s_or_b64 s[18:19], s[18:19], exec
                                        ; implicit-def: $vgpr12
	s_cbranch_execz .LBB22_2397
	s_branch .LBB22_2398
.LBB22_2461:
	s_mov_b64 s[14:15], -1
	s_mov_b64 s[10:11], 0
	s_mov_b64 s[0:1], 0
                                        ; implicit-def: $vgpr5
	s_branch .LBB22_2463
.LBB22_2462:
	s_mov_b64 s[0:1], -1
                                        ; implicit-def: $vgpr5
	s_mov_b64 s[10:11], 0
.LBB22_2463:
	s_and_b64 vcc, exec, s[14:15]
	s_cbranch_vccz .LBB22_2467
; %bb.2464:
	v_mov_b32_e32 v5, 44
	v_cmp_eq_u16_sdwa s[0:1], v4, v5 src0_sel:BYTE_0 src1_sel:DWORD
	s_and_b64 vcc, exec, s[0:1]
	s_cbranch_vccz .LBB22_2466
; %bb.2465:
	global_load_ubyte v5, v[0:1], off
	s_movk_i32 s10, 0xff
	v_mov_b32_e32 v14, 0x7e00
	s_mov_b64 s[0:1], 0
	s_waitcnt vmcnt(0)
	v_lshlrev_b32_e32 v13, 23, v5
	v_cvt_f16_f32_e32 v13, v13
	v_cmp_ne_u32_e32 vcc, s10, v5
	s_mov_b64 s[10:11], -1
	v_cndmask_b32_e32 v13, v14, v13, vcc
	v_cmp_ne_u32_e32 vcc, 0, v5
	v_cndmask_b32_e32 v5, 0, v13, vcc
	s_branch .LBB22_2467
.LBB22_2466:
	s_mov_b64 s[0:1], -1
                                        ; implicit-def: $vgpr5
.LBB22_2467:
	s_mov_b64 s[14:15], 0
.LBB22_2468:
	s_and_b64 vcc, exec, s[14:15]
	s_cbranch_vccz .LBB22_2472
; %bb.2469:
	v_mov_b32_e32 v5, 29
	v_cmp_eq_u16_sdwa s[0:1], v4, v5 src0_sel:BYTE_0 src1_sel:DWORD
	s_and_b64 vcc, exec, s[0:1]
	s_cbranch_vccz .LBB22_2471
; %bb.2470:
	global_load_dwordx2 v[14:15], v[0:1], off
	s_mov_b64 s[0:1], 0
	s_mov_b64 s[10:11], -1
	s_mov_b64 s[14:15], 0
	s_waitcnt vmcnt(0)
	v_ffbh_u32_e32 v5, v15
	v_min_u32_e32 v5, 32, v5
	v_lshlrev_b64 v[14:15], v5, v[14:15]
	v_min_u32_e32 v13, 1, v14
	v_or_b32_e32 v13, v15, v13
	v_cvt_f32_u32_e32 v13, v13
	v_sub_u32_e32 v5, 32, v5
	v_ldexp_f32 v5, v13, v5
	v_cvt_f16_f32_e32 v5, v5
	s_branch .LBB22_2473
.LBB22_2471:
	s_mov_b64 s[0:1], -1
                                        ; implicit-def: $vgpr5
.LBB22_2472:
	s_mov_b64 s[14:15], 0
.LBB22_2473:
	s_and_b64 vcc, exec, s[14:15]
	s_cbranch_vccz .LBB22_2491
; %bb.2474:
	v_mov_b32_e32 v5, 27
	v_cmp_lt_i16_sdwa s[10:11], v4, v5 src0_sel:BYTE_0 src1_sel:DWORD
	s_and_b64 vcc, exec, s[10:11]
	s_cbranch_vccnz .LBB22_2477
; %bb.2475:
	v_cmp_gt_i16_sdwa s[10:11], v4, v5 src0_sel:BYTE_0 src1_sel:DWORD
	s_and_b64 vcc, exec, s[10:11]
	s_cbranch_vccz .LBB22_2478
; %bb.2476:
	global_load_dword v5, v[0:1], off
	s_mov_b64 s[10:11], 0
	s_waitcnt vmcnt(0)
	v_cvt_f32_u32_e32 v5, v5
	v_cvt_f16_f32_e32 v5, v5
	s_branch .LBB22_2479
.LBB22_2477:
	s_mov_b64 s[10:11], -1
                                        ; implicit-def: $vgpr5
	s_branch .LBB22_2482
.LBB22_2478:
	s_mov_b64 s[10:11], -1
                                        ; implicit-def: $vgpr5
.LBB22_2479:
	s_andn2_b64 vcc, exec, s[10:11]
	s_cbranch_vccnz .LBB22_2481
; %bb.2480:
	global_load_ushort v5, v[0:1], off
	s_waitcnt vmcnt(0)
	v_cvt_f16_u16_e32 v5, v5
.LBB22_2481:
	s_mov_b64 s[10:11], 0
.LBB22_2482:
	s_andn2_b64 vcc, exec, s[10:11]
	s_cbranch_vccnz .LBB22_2490
; %bb.2483:
	global_load_ubyte v13, v[0:1], off
	s_movk_i32 s10, 0x7f
                                        ; implicit-def: $sgpr13
	s_waitcnt vmcnt(0)
	v_cmp_lt_i16_e32 vcc, s10, v13
	s_mov_b64 s[10:11], 0
	s_and_saveexec_b64 s[14:15], vcc
	s_xor_b64 s[14:15], exec, s[14:15]
	s_cbranch_execz .LBB22_2504
; %bb.2484:
	s_movk_i32 s10, 0x80
	v_cmp_eq_u16_e32 vcc, s10, v13
	s_mov_b64 s[10:11], -1
                                        ; implicit-def: $sgpr13
	s_and_saveexec_b64 s[16:17], vcc
; %bb.2485:
	s_movk_i32 s13, 0x7e00
	s_xor_b64 s[10:11], exec, -1
; %bb.2486:
	s_or_b64 exec, exec, s[16:17]
	s_and_b64 s[10:11], s[10:11], exec
	s_or_saveexec_b64 s[14:15], s[14:15]
	v_mov_b32_e32 v5, s13
	s_xor_b64 exec, exec, s[14:15]
	s_cbranch_execnz .LBB22_2505
.LBB22_2487:
	s_or_b64 exec, exec, s[14:15]
	s_and_saveexec_b64 s[14:15], s[10:11]
	s_cbranch_execz .LBB22_2489
.LBB22_2488:
	v_lshlrev_b32_e32 v5, 24, v13
	v_and_b32_e32 v13, 0xffff, v13
	v_and_b32_e32 v14, 7, v13
	v_ffbh_u32_e32 v16, v14
	v_min_u32_e32 v16, 32, v16
	v_subrev_u32_e32 v17, 28, v16
	v_bfe_u32 v15, v13, 3, 4
	v_lshlrev_b32_e32 v13, v17, v13
	v_sub_u32_e32 v16, 29, v16
	v_and_b32_e32 v13, 7, v13
	v_cmp_eq_u32_e32 vcc, 0, v15
	v_cndmask_b32_e32 v15, v15, v16, vcc
	v_cndmask_b32_e32 v13, v14, v13, vcc
	v_mov_b32_e32 v14, 0x3b800000
	v_lshlrev_b32_e32 v13, 20, v13
	v_and_b32_e32 v5, 0x80000000, v5
	v_lshl_add_u32 v14, v15, 23, v14
	v_or3_b32 v5, v5, v14, v13
	v_cvt_f16_f32_e32 v5, v5
.LBB22_2489:
	s_or_b64 exec, exec, s[14:15]
.LBB22_2490:
	s_mov_b64 s[10:11], -1
.LBB22_2491:
	s_mov_b64 s[14:15], 0
.LBB22_2492:
	s_and_b64 vcc, exec, s[14:15]
	s_cbranch_vccz .LBB22_2525
; %bb.2493:
	v_mov_b32_e32 v5, 22
	v_cmp_gt_i16_sdwa s[2:3], v4, v5 src0_sel:BYTE_0 src1_sel:DWORD
	s_and_b64 vcc, exec, s[2:3]
	s_cbranch_vccz .LBB22_2503
; %bb.2494:
	v_mov_b32_e32 v5, 24
	v_cmp_lt_i16_sdwa s[2:3], v4, v5 src0_sel:BYTE_0 src1_sel:DWORD
	s_and_b64 vcc, exec, s[2:3]
	s_cbranch_vccnz .LBB22_2506
; %bb.2495:
	v_cmp_gt_i16_sdwa s[2:3], v4, v5 src0_sel:BYTE_0 src1_sel:DWORD
	s_and_b64 vcc, exec, s[2:3]
	s_cbranch_vccz .LBB22_2507
; %bb.2496:
	global_load_ubyte v13, v[0:1], off
	s_movk_i32 s2, 0x7f
                                        ; implicit-def: $sgpr13
	s_waitcnt vmcnt(0)
	v_cmp_lt_i16_e32 vcc, s2, v13
	s_mov_b64 s[2:3], 0
	s_and_saveexec_b64 s[10:11], vcc
	s_xor_b64 s[10:11], exec, s[10:11]
	s_cbranch_execz .LBB22_2519
; %bb.2497:
	s_movk_i32 s2, 0x80
	v_cmp_eq_u16_e32 vcc, s2, v13
	s_mov_b64 s[2:3], -1
                                        ; implicit-def: $sgpr13
	s_and_saveexec_b64 s[14:15], vcc
; %bb.2498:
	s_movk_i32 s13, 0x7e00
	s_xor_b64 s[2:3], exec, -1
; %bb.2499:
	s_or_b64 exec, exec, s[14:15]
	s_and_b64 s[2:3], s[2:3], exec
	s_or_saveexec_b64 s[10:11], s[10:11]
	v_mov_b32_e32 v5, s13
	s_xor_b64 exec, exec, s[10:11]
	s_cbranch_execnz .LBB22_2520
.LBB22_2500:
	s_or_b64 exec, exec, s[10:11]
	s_and_saveexec_b64 s[10:11], s[2:3]
	s_cbranch_execz .LBB22_2502
.LBB22_2501:
	v_lshlrev_b32_e32 v5, 24, v13
	v_and_b32_e32 v13, 0xffff, v13
	v_and_b32_e32 v14, 3, v13
	v_ffbh_u32_e32 v16, v14
	v_min_u32_e32 v16, 32, v16
	v_subrev_u32_e32 v17, 29, v16
	v_bfe_u32 v15, v13, 2, 5
	v_lshlrev_b32_e32 v13, v17, v13
	v_sub_u32_e32 v16, 30, v16
	v_and_b32_e32 v13, 3, v13
	v_cmp_eq_u32_e32 vcc, 0, v15
	v_cndmask_b32_e32 v15, v15, v16, vcc
	v_cndmask_b32_e32 v13, v14, v13, vcc
	v_mov_b32_e32 v14, 0x37800000
	v_lshlrev_b32_e32 v13, 21, v13
	v_and_b32_e32 v5, 0x80000000, v5
	v_lshl_add_u32 v14, v15, 23, v14
	v_or3_b32 v5, v5, v14, v13
	v_cvt_f16_f32_e32 v5, v5
.LBB22_2502:
	s_or_b64 exec, exec, s[10:11]
	s_mov_b64 s[2:3], 0
	s_branch .LBB22_2508
.LBB22_2503:
	s_mov_b64 s[2:3], -1
                                        ; implicit-def: $vgpr5
	s_branch .LBB22_2514
.LBB22_2504:
	s_or_saveexec_b64 s[14:15], s[14:15]
	v_mov_b32_e32 v5, s13
	s_xor_b64 exec, exec, s[14:15]
	s_cbranch_execz .LBB22_2487
.LBB22_2505:
	v_cmp_ne_u16_e32 vcc, 0, v13
	s_andn2_b64 s[10:11], s[10:11], exec
	s_and_b64 s[16:17], vcc, exec
	s_or_b64 s[10:11], s[10:11], s[16:17]
	v_mov_b32_e32 v5, v13
	s_or_b64 exec, exec, s[14:15]
	s_and_saveexec_b64 s[14:15], s[10:11]
	s_cbranch_execnz .LBB22_2488
	s_branch .LBB22_2489
.LBB22_2506:
	s_mov_b64 s[2:3], -1
                                        ; implicit-def: $vgpr5
	s_branch .LBB22_2511
.LBB22_2507:
	s_mov_b64 s[2:3], -1
                                        ; implicit-def: $vgpr5
.LBB22_2508:
	s_and_b64 vcc, exec, s[2:3]
	s_cbranch_vccz .LBB22_2510
; %bb.2509:
	global_load_ubyte v5, v[0:1], off
	s_mov_b32 s2, 0x7f800000
	s_waitcnt vmcnt(0)
	v_lshlrev_b32_e32 v5, 24, v5
	v_and_b32_e32 v13, 0x7f000000, v5
	v_ffbh_u32_e32 v14, v13
	v_min_u32_e32 v14, 32, v14
	v_sub_u32_e64 v14, v14, 4 clamp
	v_lshlrev_b32_e32 v16, v14, v13
	v_lshlrev_b32_e32 v14, 23, v14
	v_lshrrev_b32_e32 v16, 4, v16
	v_add_u32_e32 v15, 0x1000000, v13
	v_sub_u32_e32 v14, v16, v14
	v_ashrrev_i32_e32 v15, 8, v15
	v_add_u32_e32 v14, 0x3c000000, v14
	v_and_or_b32 v14, v15, s2, v14
	v_cmp_ne_u32_e32 vcc, 0, v13
	v_cndmask_b32_e32 v13, 0, v14, vcc
	s_brev_b32 s2, 1
	v_and_or_b32 v5, v5, s2, v13
	v_cvt_f16_f32_e32 v5, v5
.LBB22_2510:
	s_mov_b64 s[2:3], 0
.LBB22_2511:
	s_andn2_b64 vcc, exec, s[2:3]
	s_cbranch_vccnz .LBB22_2513
; %bb.2512:
	global_load_ubyte v5, v[0:1], off
	s_movk_i32 s2, 0x7f00
	s_brev_b32 s3, 16
	s_waitcnt vmcnt(0)
	v_lshlrev_b16_e32 v13, 8, v5
	v_lshlrev_b32_e32 v5, 25, v5
	v_lshrrev_b32_e32 v14, 4, v5
	v_and_or_b32 v15, v13, s2, 0.5
	v_or_b32_e32 v14, 0x70000000, v14
	v_add_f32_e32 v15, -0.5, v15
	v_mul_f32_e32 v14, 0x7800000, v14
	v_cmp_gt_u32_e32 vcc, s3, v5
	v_bfe_i32 v13, v13, 0, 16
	v_cndmask_b32_e32 v5, v14, v15, vcc
	s_brev_b32 s2, 1
	v_and_or_b32 v5, v13, s2, v5
	v_cvt_f16_f32_e32 v5, v5
.LBB22_2513:
	s_mov_b64 s[2:3], 0
	s_mov_b64 s[10:11], -1
.LBB22_2514:
	s_andn2_b64 vcc, exec, s[2:3]
	s_mov_b64 s[2:3], 0
	s_cbranch_vccnz .LBB22_2525
; %bb.2515:
	v_mov_b32_e32 v5, 14
	v_cmp_gt_i16_sdwa s[2:3], v4, v5 src0_sel:BYTE_0 src1_sel:DWORD
	s_and_b64 vcc, exec, s[2:3]
	s_cbranch_vccz .LBB22_2518
; %bb.2516:
	v_mov_b32_e32 v5, 15
	v_cmp_eq_u16_sdwa s[0:1], v4, v5 src0_sel:BYTE_0 src1_sel:DWORD
	s_and_b64 vcc, exec, s[0:1]
	s_cbranch_vccz .LBB22_2521
; %bb.2517:
	global_load_ushort v5, v[0:1], off
	s_mov_b64 s[0:1], 0
	s_mov_b64 s[10:11], -1
	s_waitcnt vmcnt(0)
	v_lshlrev_b32_e32 v5, 16, v5
	v_cvt_f16_f32_e32 v5, v5
	s_branch .LBB22_2522
.LBB22_2518:
	s_mov_b64 s[14:15], -1
                                        ; implicit-def: $vgpr5
	s_branch .LBB22_2523
.LBB22_2519:
	s_or_saveexec_b64 s[10:11], s[10:11]
	v_mov_b32_e32 v5, s13
	s_xor_b64 exec, exec, s[10:11]
	s_cbranch_execz .LBB22_2500
.LBB22_2520:
	v_cmp_ne_u16_e32 vcc, 0, v13
	s_andn2_b64 s[2:3], s[2:3], exec
	s_and_b64 s[14:15], vcc, exec
	s_or_b64 s[2:3], s[2:3], s[14:15]
	v_mov_b32_e32 v5, v13
	s_or_b64 exec, exec, s[10:11]
	s_and_saveexec_b64 s[10:11], s[2:3]
	s_cbranch_execnz .LBB22_2501
	s_branch .LBB22_2502
.LBB22_2521:
	s_mov_b64 s[0:1], -1
                                        ; implicit-def: $vgpr5
.LBB22_2522:
	s_mov_b64 s[14:15], 0
.LBB22_2523:
	s_mov_b64 s[2:3], 0
	s_and_b64 vcc, exec, s[14:15]
	s_cbranch_vccz .LBB22_2525
; %bb.2524:
	v_mov_b32_e32 v5, 11
	v_cmp_ne_u16_sdwa s[0:1], v4, v5 src0_sel:BYTE_0 src1_sel:DWORD
	s_mov_b64 s[2:3], -1
                                        ; implicit-def: $vgpr5
.LBB22_2525:
	s_and_b64 vcc, exec, s[0:1]
	s_cbranch_vccnz .LBB22_2589
; %bb.2526:
	s_andn2_b64 vcc, exec, s[2:3]
	s_cbranch_vccnz .LBB22_2528
.LBB22_2527:
	global_load_ubyte v5, v[0:1], off
	v_mov_b32_e32 v13, 0x3c00
	s_mov_b64 s[10:11], -1
	s_waitcnt vmcnt(0)
	v_cmp_ne_u16_e32 vcc, 0, v5
	v_cndmask_b32_e32 v5, 0, v13, vcc
.LBB22_2528:
	s_mov_b64 s[0:1], 0
.LBB22_2529:
	s_and_b64 vcc, exec, s[0:1]
	s_cbranch_vccz .LBB22_2578
; %bb.2530:
	v_mov_b32_e32 v5, 5
	v_cmp_lt_i16_sdwa s[0:1], v4, v5 src0_sel:BYTE_0 src1_sel:DWORD
	s_and_b64 vcc, exec, s[0:1]
	s_cbranch_vccnz .LBB22_2535
; %bb.2531:
	v_mov_b32_e32 v5, 8
	v_cmp_lt_i16_sdwa s[0:1], v4, v5 src0_sel:BYTE_0 src1_sel:DWORD
	s_and_b64 vcc, exec, s[0:1]
	s_cbranch_vccnz .LBB22_2536
	;; [unrolled: 5-line block ×3, first 2 shown]
; %bb.2533:
	v_cmp_gt_i16_sdwa s[0:1], v4, v5 src0_sel:BYTE_0 src1_sel:DWORD
	s_and_b64 vcc, exec, s[0:1]
	s_cbranch_vccz .LBB22_2538
; %bb.2534:
	global_load_dwordx2 v[14:15], v[0:1], off
	s_mov_b64 s[0:1], 0
	s_waitcnt vmcnt(0)
	v_cvt_f32_f64_e32 v5, v[14:15]
	v_cvt_f16_f32_e32 v5, v5
	s_branch .LBB22_2539
.LBB22_2535:
	s_mov_b64 s[0:1], -1
                                        ; implicit-def: $vgpr5
	s_branch .LBB22_2557
.LBB22_2536:
	s_mov_b64 s[0:1], -1
                                        ; implicit-def: $vgpr5
	s_branch .LBB22_2545
.LBB22_2537:
	s_mov_b64 s[0:1], -1
                                        ; implicit-def: $vgpr5
	s_branch .LBB22_2542
.LBB22_2538:
	s_mov_b64 s[0:1], -1
                                        ; implicit-def: $vgpr5
.LBB22_2539:
	s_andn2_b64 vcc, exec, s[0:1]
	s_cbranch_vccnz .LBB22_2541
; %bb.2540:
	global_load_dword v5, v[0:1], off
	s_waitcnt vmcnt(0)
	v_cvt_f16_f32_e32 v5, v5
.LBB22_2541:
	s_mov_b64 s[0:1], 0
.LBB22_2542:
	s_andn2_b64 vcc, exec, s[0:1]
	s_cbranch_vccnz .LBB22_2544
; %bb.2543:
	global_load_dword v5, v[0:1], off
.LBB22_2544:
	s_mov_b64 s[0:1], 0
.LBB22_2545:
	s_andn2_b64 vcc, exec, s[0:1]
	s_cbranch_vccnz .LBB22_2556
; %bb.2546:
	s_waitcnt vmcnt(0)
	v_mov_b32_e32 v5, 6
	v_cmp_lt_i16_sdwa s[0:1], v4, v5 src0_sel:BYTE_0 src1_sel:DWORD
	s_and_b64 vcc, exec, s[0:1]
	s_cbranch_vccnz .LBB22_2549
; %bb.2547:
	v_cmp_gt_i16_sdwa s[0:1], v4, v5 src0_sel:BYTE_0 src1_sel:DWORD
	s_and_b64 vcc, exec, s[0:1]
	s_cbranch_vccz .LBB22_2550
; %bb.2548:
	global_load_dwordx2 v[14:15], v[0:1], off
	s_mov_b64 s[0:1], 0
	s_waitcnt vmcnt(0)
	v_cvt_f32_f64_e32 v5, v[14:15]
	v_cvt_f16_f32_e32 v5, v5
	s_branch .LBB22_2551
.LBB22_2549:
	s_mov_b64 s[0:1], -1
                                        ; implicit-def: $vgpr5
	s_branch .LBB22_2554
.LBB22_2550:
	s_mov_b64 s[0:1], -1
                                        ; implicit-def: $vgpr5
.LBB22_2551:
	s_andn2_b64 vcc, exec, s[0:1]
	s_cbranch_vccnz .LBB22_2553
; %bb.2552:
	global_load_dword v5, v[0:1], off
	s_waitcnt vmcnt(0)
	v_cvt_f16_f32_e32 v5, v5
.LBB22_2553:
	s_mov_b64 s[0:1], 0
.LBB22_2554:
	s_andn2_b64 vcc, exec, s[0:1]
	s_cbranch_vccnz .LBB22_2556
; %bb.2555:
	global_load_ushort v5, v[0:1], off
.LBB22_2556:
	s_mov_b64 s[0:1], 0
.LBB22_2557:
	s_andn2_b64 vcc, exec, s[0:1]
	s_cbranch_vccnz .LBB22_2577
; %bb.2558:
	s_waitcnt vmcnt(0)
	v_mov_b32_e32 v5, 2
	v_cmp_lt_i16_sdwa s[0:1], v4, v5 src0_sel:BYTE_0 src1_sel:DWORD
	s_and_b64 vcc, exec, s[0:1]
	s_cbranch_vccnz .LBB22_2562
; %bb.2559:
	v_mov_b32_e32 v5, 3
	v_cmp_lt_i16_sdwa s[0:1], v4, v5 src0_sel:BYTE_0 src1_sel:DWORD
	s_and_b64 vcc, exec, s[0:1]
	s_cbranch_vccnz .LBB22_2563
; %bb.2560:
	v_cmp_gt_i16_sdwa s[0:1], v4, v5 src0_sel:BYTE_0 src1_sel:DWORD
	s_and_b64 vcc, exec, s[0:1]
	s_cbranch_vccz .LBB22_2564
; %bb.2561:
	global_load_dwordx2 v[14:15], v[0:1], off
	s_mov_b64 s[0:1], 0
	s_waitcnt vmcnt(0)
	v_xor_b32_e32 v13, v14, v15
	v_ffbh_i32_e32 v5, v15
	v_ashrrev_i32_e32 v13, 31, v13
	v_add_u32_e32 v5, -1, v5
	v_add_u32_e32 v13, 32, v13
	v_min_u32_e32 v5, v5, v13
	v_lshlrev_b64 v[14:15], v5, v[14:15]
	v_min_u32_e32 v13, 1, v14
	v_or_b32_e32 v13, v15, v13
	v_cvt_f32_i32_e32 v13, v13
	v_sub_u32_e32 v5, 32, v5
	v_ldexp_f32 v5, v13, v5
	v_cvt_f16_f32_e32 v5, v5
	s_branch .LBB22_2565
.LBB22_2562:
	s_mov_b64 s[0:1], -1
                                        ; implicit-def: $vgpr5
	s_branch .LBB22_2571
.LBB22_2563:
	s_mov_b64 s[0:1], -1
                                        ; implicit-def: $vgpr5
	s_branch .LBB22_2568
.LBB22_2564:
	s_mov_b64 s[0:1], -1
                                        ; implicit-def: $vgpr5
.LBB22_2565:
	s_andn2_b64 vcc, exec, s[0:1]
	s_cbranch_vccnz .LBB22_2567
; %bb.2566:
	global_load_dword v5, v[0:1], off
	s_waitcnt vmcnt(0)
	v_cvt_f32_i32_e32 v5, v5
	v_cvt_f16_f32_e32 v5, v5
.LBB22_2567:
	s_mov_b64 s[0:1], 0
.LBB22_2568:
	s_andn2_b64 vcc, exec, s[0:1]
	s_cbranch_vccnz .LBB22_2570
; %bb.2569:
	global_load_ushort v5, v[0:1], off
	s_waitcnt vmcnt(0)
	v_cvt_f16_i16_e32 v5, v5
.LBB22_2570:
	s_mov_b64 s[0:1], 0
.LBB22_2571:
	s_andn2_b64 vcc, exec, s[0:1]
	s_cbranch_vccnz .LBB22_2577
; %bb.2572:
	v_mov_b32_e32 v5, 0
	v_cmp_gt_i16_sdwa s[0:1], v4, v5 src0_sel:BYTE_0 src1_sel:DWORD
	s_and_b64 vcc, exec, s[0:1]
	s_cbranch_vccz .LBB22_2574
; %bb.2573:
	global_load_sbyte v4, v[0:1], off
	s_mov_b64 s[0:1], 0
	s_waitcnt vmcnt(0)
	v_cvt_f16_i16_e32 v5, v4
	s_branch .LBB22_2575
.LBB22_2574:
	s_mov_b64 s[0:1], -1
                                        ; implicit-def: $vgpr5
.LBB22_2575:
	s_andn2_b64 vcc, exec, s[0:1]
	s_cbranch_vccnz .LBB22_2577
; %bb.2576:
	global_load_ubyte v0, v[0:1], off
	s_waitcnt vmcnt(0)
	v_cvt_f16_u16_e32 v5, v0
.LBB22_2577:
	s_mov_b64 s[10:11], -1
.LBB22_2578:
	s_andn2_b64 vcc, exec, s[10:11]
	s_cbranch_vccnz .LBB22_3032
; %bb.2579:
	s_waitcnt vmcnt(0)
	v_and_b32_e32 v6, 0x7fff, v6
	v_and_b32_e32 v0, 0xffff8000, v7
	v_mul_lo_u32 v3, s12, v3
	v_or_b32_e32 v4, v0, v6
	v_ashrrev_i32_e32 v1, 31, v3
	v_mov_b32_e32 v7, s9
	v_add_co_u32_e32 v0, vcc, s8, v3
	v_addc_co_u32_e32 v1, vcc, v7, v1, vcc
	v_mov_b32_e32 v7, 11
	v_cmp_lt_i16_sdwa s[0:1], v2, v7 src0_sel:BYTE_0 src1_sel:DWORD
	s_and_b64 vcc, exec, s[0:1]
	s_cbranch_vccnz .LBB22_2586
; %bb.2580:
	v_mov_b32_e32 v7, 25
	v_cmp_gt_i16_sdwa s[0:1], v2, v7 src0_sel:BYTE_0 src1_sel:DWORD
	s_mov_b64 s[14:15], -1
	s_mov_b64 s[2:3], 0
	s_and_b64 vcc, exec, s[0:1]
	s_mov_b64 s[10:11], 0
	s_mov_b64 s[0:1], 0
	s_cbranch_vccz .LBB22_2618
; %bb.2581:
	v_mov_b32_e32 v7, 28
	v_cmp_gt_i16_sdwa s[0:1], v2, v7 src0_sel:BYTE_0 src1_sel:DWORD
	s_and_b64 vcc, exec, s[0:1]
	s_cbranch_vccz .LBB22_2587
; %bb.2582:
	v_mov_b32_e32 v7, 43
	v_cmp_gt_i16_sdwa s[0:1], v2, v7 src0_sel:BYTE_0 src1_sel:DWORD
	s_and_b64 vcc, exec, s[0:1]
	;; [unrolled: 5-line block ×3, first 2 shown]
	s_cbranch_vccz .LBB22_2590
; %bb.2584:
	v_mov_b32_e32 v7, 46
	v_cmp_eq_u16_sdwa s[10:11], v2, v7 src0_sel:BYTE_0 src1_sel:DWORD
	s_mov_b64 s[0:1], -1
	s_mov_b64 s[14:15], 0
	s_and_b64 vcc, exec, s[10:11]
	s_mov_b64 s[10:11], 0
	s_cbranch_vccz .LBB22_2591
; %bb.2585:
	v_cvt_f32_f16_e32 v7, v4
	s_movk_i32 s0, 0x7fff
	v_mov_b32_e32 v13, 0x7fc0
	v_cmp_o_f16_e32 vcc, v4, v4
	v_bfe_u32 v14, v7, 16, 1
	v_add3_u32 v7, v7, v14, s0
	v_lshrrev_b32_e32 v7, 16, v7
	v_cndmask_b32_e32 v7, v13, v7, vcc
	global_store_dword v[0:1], v7, off
	s_mov_b64 s[0:1], 0
	s_mov_b64 s[10:11], -1
	s_branch .LBB22_2591
.LBB22_2586:
	s_mov_b64 s[0:1], -1
	s_mov_b64 s[10:11], 0
	s_branch .LBB22_2662
.LBB22_2587:
	s_mov_b64 s[0:1], 0
	s_branch .LBB22_2601
.LBB22_2588:
	s_mov_b64 s[0:1], 0
	s_branch .LBB22_2597
.LBB22_2589:
	s_trap 2
	s_or_b64 s[18:19], s[18:19], exec
                                        ; implicit-def: $vgpr5
	s_cbranch_execz .LBB22_2527
	s_branch .LBB22_2528
.LBB22_2590:
	s_mov_b64 s[0:1], 0
.LBB22_2591:
	s_and_b64 vcc, exec, s[14:15]
	s_cbranch_vccz .LBB22_2596
; %bb.2592:
	v_mov_b32_e32 v7, 44
	v_cmp_eq_u16_sdwa s[14:15], v2, v7 src0_sel:BYTE_0 src1_sel:DWORD
	s_mov_b64 s[0:1], -1
	s_and_b64 vcc, exec, s[14:15]
	s_cbranch_vccz .LBB22_2596
; %bb.2593:
	v_cvt_f32_f16_e32 v7, v4
	s_movk_i32 s0, 0xff
	v_mov_b32_e32 v14, 0xff
	v_bfe_u32 v13, v7, 23, 8
	v_cmp_ne_u32_e32 vcc, s0, v13
	s_and_saveexec_b64 s[10:11], vcc
; %bb.2594:
	s_mov_b32 s0, 0x3fffff
	v_lshrrev_b32_e32 v14, 23, v7
	v_and_b32_e32 v15, 0x400000, v7
	v_and_or_b32 v7, v7, s0, v13
	v_cmp_ne_u32_e32 vcc, 0, v15
	v_cmp_ne_u32_e64 s[0:1], 0, v7
	s_and_b64 s[0:1], vcc, s[0:1]
	v_cndmask_b32_e64 v7, 0, 1, s[0:1]
	v_add_u32_e32 v14, v14, v7
; %bb.2595:
	s_or_b64 exec, exec, s[10:11]
	s_mov_b64 s[0:1], 0
	s_mov_b64 s[10:11], -1
	global_store_byte v[0:1], v14, off
.LBB22_2596:
	s_mov_b64 s[14:15], 0
.LBB22_2597:
	s_and_b64 vcc, exec, s[14:15]
	s_cbranch_vccz .LBB22_2600
; %bb.2598:
	v_mov_b32_e32 v7, 29
	v_cmp_eq_u16_sdwa s[14:15], v2, v7 src0_sel:BYTE_0 src1_sel:DWORD
	s_mov_b64 s[0:1], -1
	s_and_b64 vcc, exec, s[14:15]
	s_cbranch_vccz .LBB22_2600
; %bb.2599:
	v_cvt_f32_f16_e32 v7, v4
	v_mov_b32_e32 v15, 0
	s_mov_b64 s[0:1], 0
	s_mov_b64 s[10:11], -1
	v_cvt_u32_f32_e32 v14, v7
	s_mov_b64 s[14:15], 0
	global_store_dwordx2 v[0:1], v[14:15], off
	s_branch .LBB22_2601
.LBB22_2600:
	s_mov_b64 s[14:15], 0
.LBB22_2601:
	s_and_b64 vcc, exec, s[14:15]
	s_cbranch_vccz .LBB22_2617
; %bb.2602:
	v_mov_b32_e32 v7, 27
	v_cmp_lt_i16_sdwa s[14:15], v2, v7 src0_sel:BYTE_0 src1_sel:DWORD
	s_mov_b64 s[10:11], -1
	s_and_b64 vcc, exec, s[14:15]
	s_cbranch_vccnz .LBB22_2608
; %bb.2603:
	v_cmp_gt_i16_sdwa s[14:15], v2, v7 src0_sel:BYTE_0 src1_sel:DWORD
	s_and_b64 vcc, exec, s[14:15]
	s_cbranch_vccz .LBB22_2605
; %bb.2604:
	v_cvt_f32_f16_e32 v7, v4
	s_mov_b64 s[10:11], 0
	v_cvt_u32_f32_e32 v7, v7
	global_store_dword v[0:1], v7, off
.LBB22_2605:
	s_andn2_b64 vcc, exec, s[10:11]
	s_cbranch_vccnz .LBB22_2607
; %bb.2606:
	v_cvt_u16_f16_e32 v7, v4
	global_store_short v[0:1], v7, off
.LBB22_2607:
	s_mov_b64 s[10:11], 0
.LBB22_2608:
	s_andn2_b64 vcc, exec, s[10:11]
	s_cbranch_vccnz .LBB22_2616
; %bb.2609:
	v_cvt_f32_f16_e32 v7, v4
	s_mov_b32 s10, 0x43800000
	v_mov_b32_e32 v14, 0x80
	v_and_b32_e32 v13, 0x7fffffff, v7
	v_cmp_gt_u32_e32 vcc, s10, v13
	s_and_saveexec_b64 s[10:11], vcc
	s_cbranch_execz .LBB22_2615
; %bb.2610:
	s_mov_b32 s13, 0x3bffffff
	v_cmp_lt_u32_e32 vcc, s13, v13
	s_mov_b64 s[14:15], 0
                                        ; implicit-def: $vgpr13
	s_and_saveexec_b64 s[16:17], vcc
	s_xor_b64 s[16:17], exec, s[16:17]
	s_cbranch_execz .LBB22_2711
; %bb.2611:
	v_bfe_u32 v13, v7, 20, 1
	s_mov_b32 s13, 0x487ffff
	v_add3_u32 v13, v7, v13, s13
	s_mov_b64 s[14:15], exec
	v_lshrrev_b32_e32 v13, 20, v13
	s_or_saveexec_b64 s[16:17], s[16:17]
                                        ; implicit-def: $sgpr13
	s_xor_b64 exec, exec, s[16:17]
	s_cbranch_execnz .LBB22_2712
.LBB22_2612:
	s_or_b64 exec, exec, s[16:17]
	v_mov_b32_e32 v14, s13
	s_and_saveexec_b64 s[16:17], s[14:15]
.LBB22_2613:
	v_lshrrev_b32_e32 v7, 24, v7
	s_movk_i32 s13, 0x80
	v_and_or_b32 v14, v7, s13, v13
.LBB22_2614:
	s_or_b64 exec, exec, s[16:17]
.LBB22_2615:
	s_or_b64 exec, exec, s[10:11]
	global_store_byte v[0:1], v14, off
.LBB22_2616:
	s_mov_b64 s[10:11], -1
.LBB22_2617:
	s_mov_b64 s[14:15], 0
.LBB22_2618:
	s_and_b64 vcc, exec, s[14:15]
	s_cbranch_vccz .LBB22_2658
; %bb.2619:
	v_mov_b32_e32 v7, 22
	v_cmp_gt_i16_sdwa s[14:15], v2, v7 src0_sel:BYTE_0 src1_sel:DWORD
	s_mov_b64 s[2:3], -1
	s_and_b64 vcc, exec, s[14:15]
	s_cbranch_vccz .LBB22_2651
; %bb.2620:
	v_mov_b32_e32 v7, 24
	v_cmp_lt_i16_sdwa s[10:11], v2, v7 src0_sel:BYTE_0 src1_sel:DWORD
	s_and_b64 vcc, exec, s[10:11]
	s_cbranch_vccnz .LBB22_2640
; %bb.2621:
	v_cmp_gt_i16_sdwa s[10:11], v2, v7 src0_sel:BYTE_0 src1_sel:DWORD
	s_and_b64 vcc, exec, s[10:11]
	s_cbranch_vccz .LBB22_2629
; %bb.2622:
	v_cvt_f32_f16_e32 v7, v4
	s_mov_b32 s2, 0x47800000
	v_mov_b32_e32 v14, 0x80
	v_and_b32_e32 v13, 0x7fffffff, v7
	v_cmp_gt_u32_e32 vcc, s2, v13
	s_and_saveexec_b64 s[2:3], vcc
	s_cbranch_execz .LBB22_2628
; %bb.2623:
	s_mov_b32 s10, 0x37ffffff
	v_cmp_lt_u32_e32 vcc, s10, v13
	s_mov_b64 s[10:11], 0
                                        ; implicit-def: $vgpr13
	s_and_saveexec_b64 s[14:15], vcc
	s_xor_b64 s[14:15], exec, s[14:15]
	s_cbranch_execz .LBB22_2715
; %bb.2624:
	v_bfe_u32 v13, v7, 21, 1
	s_mov_b32 s13, 0x88fffff
	v_add3_u32 v13, v7, v13, s13
	s_mov_b64 s[10:11], exec
	v_lshrrev_b32_e32 v13, 21, v13
	s_or_saveexec_b64 s[14:15], s[14:15]
                                        ; implicit-def: $sgpr13
	s_xor_b64 exec, exec, s[14:15]
	s_cbranch_execnz .LBB22_2716
.LBB22_2625:
	s_or_b64 exec, exec, s[14:15]
	v_mov_b32_e32 v14, s13
	s_and_saveexec_b64 s[14:15], s[10:11]
.LBB22_2626:
	v_lshrrev_b32_e32 v7, 24, v7
	s_movk_i32 s10, 0x80
	v_and_or_b32 v14, v7, s10, v13
.LBB22_2627:
	s_or_b64 exec, exec, s[14:15]
.LBB22_2628:
	s_or_b64 exec, exec, s[2:3]
	s_mov_b64 s[2:3], 0
	global_store_byte v[0:1], v14, off
.LBB22_2629:
	s_and_b64 vcc, exec, s[2:3]
	s_cbranch_vccz .LBB22_2639
; %bb.2630:
	v_cvt_f32_f16_e32 v7, v4
	s_mov_b32 s2, 0x43f00000
                                        ; implicit-def: $vgpr13
	v_and_b32_e32 v14, 0x7fffffff, v7
	v_cmp_gt_u32_e32 vcc, s2, v14
	s_and_saveexec_b64 s[2:3], vcc
	s_xor_b64 s[2:3], exec, s[2:3]
	s_cbranch_execz .LBB22_2636
; %bb.2631:
	s_mov_b32 s10, 0x3c7fffff
	v_cmp_lt_u32_e32 vcc, s10, v14
                                        ; implicit-def: $vgpr13
	s_and_saveexec_b64 s[10:11], vcc
	s_xor_b64 s[10:11], exec, s[10:11]
; %bb.2632:
	v_bfe_u32 v13, v7, 20, 1
	s_mov_b32 s13, 0x407ffff
	v_add3_u32 v13, v7, v13, s13
	v_lshrrev_b32_e32 v14, 20, v13
	v_and_b32_e32 v13, 0xff00000, v13
	s_mov_b32 s13, 0x7f00000
	v_mov_b32_e32 v15, 0x7e
	v_cmp_ne_u32_e32 vcc, s13, v13
	v_cndmask_b32_e32 v13, v15, v14, vcc
; %bb.2633:
	s_andn2_saveexec_b64 s[10:11], s[10:11]
; %bb.2634:
	s_mov_b32 s13, 0x46800000
	v_add_f32_e64 v13, |v7|, s13
; %bb.2635:
	s_or_b64 exec, exec, s[10:11]
                                        ; implicit-def: $vgpr14
.LBB22_2636:
	s_andn2_saveexec_b64 s[2:3], s[2:3]
; %bb.2637:
	s_mov_b32 s10, 0x7f800000
	v_mov_b32_e32 v13, 0x7e
	v_mov_b32_e32 v15, 0x7f
	v_cmp_lt_u32_e32 vcc, s10, v14
	v_cndmask_b32_e32 v13, v13, v15, vcc
; %bb.2638:
	s_or_b64 exec, exec, s[2:3]
	v_lshrrev_b32_e32 v7, 24, v7
	s_movk_i32 s2, 0x80
	v_and_or_b32 v7, v7, s2, v13
	global_store_byte v[0:1], v7, off
.LBB22_2639:
	s_mov_b64 s[2:3], 0
.LBB22_2640:
	s_andn2_b64 vcc, exec, s[2:3]
	s_cbranch_vccnz .LBB22_2650
; %bb.2641:
	v_cvt_f32_f16_e32 v7, v4
	s_mov_b32 s2, 0x47800000
                                        ; implicit-def: $vgpr13
	v_and_b32_e32 v14, 0x7fffffff, v7
	v_cmp_gt_u32_e32 vcc, s2, v14
	s_and_saveexec_b64 s[2:3], vcc
	s_xor_b64 s[2:3], exec, s[2:3]
	s_cbranch_execz .LBB22_2647
; %bb.2642:
	s_mov_b32 s10, 0x387fffff
	v_cmp_lt_u32_e32 vcc, s10, v14
                                        ; implicit-def: $vgpr13
	s_and_saveexec_b64 s[10:11], vcc
	s_xor_b64 s[10:11], exec, s[10:11]
; %bb.2643:
	v_bfe_u32 v13, v7, 21, 1
	s_mov_b32 s13, 0x80fffff
	v_add3_u32 v13, v7, v13, s13
	v_lshrrev_b32_e32 v13, 21, v13
; %bb.2644:
	s_andn2_saveexec_b64 s[10:11], s[10:11]
; %bb.2645:
	s_mov_b32 s13, 0x43000000
	v_add_f32_e64 v13, |v7|, s13
; %bb.2646:
	s_or_b64 exec, exec, s[10:11]
                                        ; implicit-def: $vgpr14
.LBB22_2647:
	s_andn2_saveexec_b64 s[2:3], s[2:3]
; %bb.2648:
	s_mov_b32 s10, 0x7f800000
	v_mov_b32_e32 v13, 0x7c
	v_mov_b32_e32 v15, 0x7f
	v_cmp_lt_u32_e32 vcc, s10, v14
	v_cndmask_b32_e32 v13, v13, v15, vcc
; %bb.2649:
	s_or_b64 exec, exec, s[2:3]
	v_lshrrev_b32_e32 v7, 24, v7
	s_movk_i32 s2, 0x80
	v_and_or_b32 v7, v7, s2, v13
	global_store_byte v[0:1], v7, off
.LBB22_2650:
	s_mov_b64 s[2:3], 0
	s_mov_b64 s[10:11], -1
.LBB22_2651:
	s_andn2_b64 vcc, exec, s[2:3]
	s_mov_b64 s[2:3], 0
	s_cbranch_vccnz .LBB22_2658
; %bb.2652:
	v_mov_b32_e32 v7, 14
	v_cmp_gt_i16_sdwa s[2:3], v2, v7 src0_sel:BYTE_0 src1_sel:DWORD
	s_mov_b64 s[14:15], -1
	s_and_b64 vcc, exec, s[2:3]
	s_cbranch_vccz .LBB22_2656
; %bb.2653:
	v_mov_b32_e32 v7, 15
	v_cmp_eq_u16_sdwa s[2:3], v2, v7 src0_sel:BYTE_0 src1_sel:DWORD
	s_mov_b64 s[0:1], -1
	s_and_b64 vcc, exec, s[2:3]
	s_cbranch_vccz .LBB22_2655
; %bb.2654:
	v_cvt_f32_f16_e32 v7, v4
	s_movk_i32 s0, 0x7fff
	v_mov_b32_e32 v13, 0x7fc0
	v_cmp_o_f16_e32 vcc, v4, v4
	v_bfe_u32 v14, v7, 16, 1
	v_add3_u32 v7, v7, v14, s0
	v_lshrrev_b32_e32 v7, 16, v7
	v_cndmask_b32_e32 v7, v13, v7, vcc
	global_store_short v[0:1], v7, off
	s_mov_b64 s[0:1], 0
	s_mov_b64 s[10:11], -1
.LBB22_2655:
	s_mov_b64 s[14:15], 0
.LBB22_2656:
	s_mov_b64 s[2:3], 0
	s_and_b64 vcc, exec, s[14:15]
	s_cbranch_vccz .LBB22_2658
; %bb.2657:
	v_mov_b32_e32 v7, 11
	v_cmp_ne_u16_sdwa s[0:1], v2, v7 src0_sel:BYTE_0 src1_sel:DWORD
	s_mov_b64 s[2:3], -1
.LBB22_2658:
	s_and_b64 vcc, exec, s[0:1]
	s_cbranch_vccnz .LBB22_2714
; %bb.2659:
	s_andn2_b64 vcc, exec, s[2:3]
	s_cbranch_vccnz .LBB22_2661
.LBB22_2660:
	v_cmp_ne_u16_e32 vcc, 0, v6
	v_cndmask_b32_e64 v6, 0, 1, vcc
	s_mov_b64 s[10:11], -1
	global_store_byte v[0:1], v6, off
.LBB22_2661:
	s_mov_b64 s[0:1], 0
.LBB22_2662:
	s_and_b64 vcc, exec, s[0:1]
	s_cbranch_vccz .LBB22_2701
; %bb.2663:
	v_mov_b32_e32 v6, 5
	v_cmp_lt_i16_sdwa s[2:3], v2, v6 src0_sel:BYTE_0 src1_sel:DWORD
	s_mov_b64 s[0:1], -1
	s_and_b64 vcc, exec, s[2:3]
	s_cbranch_vccnz .LBB22_2684
; %bb.2664:
	v_mov_b32_e32 v6, 8
	v_cmp_lt_i16_sdwa s[2:3], v2, v6 src0_sel:BYTE_0 src1_sel:DWORD
	s_and_b64 vcc, exec, s[2:3]
	s_cbranch_vccnz .LBB22_2674
; %bb.2665:
	v_mov_b32_e32 v6, 9
	v_cmp_lt_i16_sdwa s[2:3], v2, v6 src0_sel:BYTE_0 src1_sel:DWORD
	s_and_b64 vcc, exec, s[2:3]
	s_cbranch_vccnz .LBB22_2671
; %bb.2666:
	v_cmp_gt_i16_sdwa s[2:3], v2, v6 src0_sel:BYTE_0 src1_sel:DWORD
	s_and_b64 vcc, exec, s[2:3]
	s_cbranch_vccz .LBB22_2668
; %bb.2667:
	v_cvt_f32_f16_e32 v6, v4
	v_mov_b32_e32 v16, 0
	v_mov_b32_e32 v17, v16
	s_mov_b64 s[0:1], 0
	v_cvt_f64_f32_e32 v[14:15], v6
	global_store_dwordx4 v[0:1], v[14:17], off
.LBB22_2668:
	s_andn2_b64 vcc, exec, s[0:1]
	s_cbranch_vccnz .LBB22_2670
; %bb.2669:
	v_cvt_f32_f16_e32 v6, v4
	v_mov_b32_e32 v7, 0
	global_store_dwordx2 v[0:1], v[6:7], off
.LBB22_2670:
	s_mov_b64 s[0:1], 0
.LBB22_2671:
	s_andn2_b64 vcc, exec, s[0:1]
	s_cbranch_vccnz .LBB22_2673
; %bb.2672:
	v_and_b32_e32 v6, 0xffff, v4
	global_store_dword v[0:1], v6, off
.LBB22_2673:
	s_mov_b64 s[0:1], 0
.LBB22_2674:
	s_andn2_b64 vcc, exec, s[0:1]
	s_cbranch_vccnz .LBB22_2683
; %bb.2675:
	v_mov_b32_e32 v6, 6
	v_cmp_lt_i16_sdwa s[2:3], v2, v6 src0_sel:BYTE_0 src1_sel:DWORD
	s_mov_b64 s[0:1], -1
	s_and_b64 vcc, exec, s[2:3]
	s_cbranch_vccnz .LBB22_2681
; %bb.2676:
	v_cmp_gt_i16_sdwa s[2:3], v2, v6 src0_sel:BYTE_0 src1_sel:DWORD
	s_and_b64 vcc, exec, s[2:3]
	s_cbranch_vccz .LBB22_2678
; %bb.2677:
	v_cvt_f32_f16_e32 v6, v4
	s_mov_b64 s[0:1], 0
	v_cvt_f64_f32_e32 v[6:7], v6
	global_store_dwordx2 v[0:1], v[6:7], off
.LBB22_2678:
	s_andn2_b64 vcc, exec, s[0:1]
	s_cbranch_vccnz .LBB22_2680
; %bb.2679:
	v_cvt_f32_f16_e32 v6, v4
	global_store_dword v[0:1], v6, off
.LBB22_2680:
	s_mov_b64 s[0:1], 0
.LBB22_2681:
	s_andn2_b64 vcc, exec, s[0:1]
	s_cbranch_vccnz .LBB22_2683
; %bb.2682:
	global_store_short v[0:1], v4, off
.LBB22_2683:
	s_mov_b64 s[0:1], 0
.LBB22_2684:
	s_andn2_b64 vcc, exec, s[0:1]
	s_cbranch_vccnz .LBB22_2700
; %bb.2685:
	v_mov_b32_e32 v6, 2
	v_cmp_lt_i16_sdwa s[2:3], v2, v6 src0_sel:BYTE_0 src1_sel:DWORD
	s_mov_b64 s[0:1], -1
	s_and_b64 vcc, exec, s[2:3]
	s_cbranch_vccnz .LBB22_2695
; %bb.2686:
	v_mov_b32_e32 v6, 3
	v_cmp_lt_i16_sdwa s[2:3], v2, v6 src0_sel:BYTE_0 src1_sel:DWORD
	s_and_b64 vcc, exec, s[2:3]
	s_cbranch_vccnz .LBB22_2692
; %bb.2687:
	v_cmp_gt_i16_sdwa s[2:3], v2, v6 src0_sel:BYTE_0 src1_sel:DWORD
	s_and_b64 vcc, exec, s[2:3]
	s_cbranch_vccz .LBB22_2689
; %bb.2688:
	v_cvt_f32_f16_e32 v6, v4
	s_mov_b64 s[0:1], 0
	v_cvt_i32_f32_e32 v6, v6
	v_ashrrev_i32_e32 v7, 31, v6
	global_store_dwordx2 v[0:1], v[6:7], off
.LBB22_2689:
	s_andn2_b64 vcc, exec, s[0:1]
	s_cbranch_vccnz .LBB22_2691
; %bb.2690:
	v_cvt_f32_f16_e32 v6, v4
	v_cvt_i32_f32_e32 v6, v6
	global_store_dword v[0:1], v6, off
.LBB22_2691:
	s_mov_b64 s[0:1], 0
.LBB22_2692:
	s_andn2_b64 vcc, exec, s[0:1]
	s_cbranch_vccnz .LBB22_2694
; %bb.2693:
	v_cvt_i16_f16_e32 v6, v4
	global_store_short v[0:1], v6, off
.LBB22_2694:
	s_mov_b64 s[0:1], 0
.LBB22_2695:
	s_andn2_b64 vcc, exec, s[0:1]
	s_cbranch_vccnz .LBB22_2700
; %bb.2696:
	v_mov_b32_e32 v6, 0
	v_cmp_gt_i16_sdwa s[2:3], v2, v6 src0_sel:BYTE_0 src1_sel:DWORD
	s_mov_b64 s[0:1], -1
	s_and_b64 vcc, exec, s[2:3]
	s_cbranch_vccz .LBB22_2698
; %bb.2697:
	v_cvt_i16_f16_e32 v6, v4
	global_store_byte v[0:1], v6, off
	s_mov_b64 s[0:1], 0
.LBB22_2698:
	s_andn2_b64 vcc, exec, s[0:1]
	s_cbranch_vccnz .LBB22_2700
; %bb.2699:
	v_cvt_f32_f16_e32 v4, v4
	v_cvt_i32_f32_e32 v4, v4
	global_store_byte v[0:1], v4, off
.LBB22_2700:
	s_mov_b64 s[10:11], -1
.LBB22_2701:
	s_andn2_b64 vcc, exec, s[10:11]
	s_cbranch_vccnz .LBB22_3032
; %bb.2702:
	s_lshl_b32 s16, s12, 7
	v_and_b32_e32 v6, 0x7fff, v8
	v_and_b32_e32 v0, 0xffff8000, v9
	v_add_u32_e32 v3, s16, v3
	v_or_b32_e32 v4, v0, v6
	v_ashrrev_i32_e32 v1, 31, v3
	v_mov_b32_e32 v7, s9
	v_add_co_u32_e32 v0, vcc, s8, v3
	v_addc_co_u32_e32 v1, vcc, v7, v1, vcc
	v_mov_b32_e32 v7, 11
	v_cmp_lt_i16_sdwa s[0:1], v2, v7 src0_sel:BYTE_0 src1_sel:DWORD
	s_and_b64 vcc, exec, s[0:1]
	s_cbranch_vccnz .LBB22_2709
; %bb.2703:
	v_mov_b32_e32 v7, 25
	v_cmp_gt_i16_sdwa s[0:1], v2, v7 src0_sel:BYTE_0 src1_sel:DWORD
	s_mov_b64 s[12:13], -1
	s_mov_b64 s[2:3], 0
	s_and_b64 vcc, exec, s[0:1]
	s_mov_b64 s[10:11], 0
	s_mov_b64 s[0:1], 0
	s_cbranch_vccz .LBB22_2745
; %bb.2704:
	v_mov_b32_e32 v7, 28
	v_cmp_gt_i16_sdwa s[0:1], v2, v7 src0_sel:BYTE_0 src1_sel:DWORD
	s_and_b64 vcc, exec, s[0:1]
	s_cbranch_vccz .LBB22_2710
; %bb.2705:
	v_mov_b32_e32 v7, 43
	v_cmp_gt_i16_sdwa s[0:1], v2, v7 src0_sel:BYTE_0 src1_sel:DWORD
	s_and_b64 vcc, exec, s[0:1]
	;; [unrolled: 5-line block ×3, first 2 shown]
	s_cbranch_vccz .LBB22_2717
; %bb.2707:
	v_mov_b32_e32 v7, 46
	v_cmp_eq_u16_sdwa s[10:11], v2, v7 src0_sel:BYTE_0 src1_sel:DWORD
	s_mov_b64 s[0:1], -1
	s_mov_b64 s[12:13], 0
	s_and_b64 vcc, exec, s[10:11]
	s_mov_b64 s[10:11], 0
	s_cbranch_vccz .LBB22_2718
; %bb.2708:
	v_cvt_f32_f16_e32 v7, v4
	s_movk_i32 s0, 0x7fff
	v_mov_b32_e32 v8, 0x7fc0
	v_cmp_o_f16_e32 vcc, v4, v4
	v_bfe_u32 v9, v7, 16, 1
	v_add3_u32 v7, v7, v9, s0
	v_lshrrev_b32_e32 v7, 16, v7
	v_cndmask_b32_e32 v7, v8, v7, vcc
	global_store_dword v[0:1], v7, off
	s_mov_b64 s[0:1], 0
	s_mov_b64 s[10:11], -1
	s_branch .LBB22_2718
.LBB22_2709:
	s_mov_b64 s[0:1], -1
	s_mov_b64 s[10:11], 0
	s_branch .LBB22_2789
.LBB22_2710:
	s_mov_b64 s[0:1], 0
	s_branch .LBB22_2728
.LBB22_2711:
	s_or_saveexec_b64 s[16:17], s[16:17]
                                        ; implicit-def: $sgpr13
	s_xor_b64 exec, exec, s[16:17]
	s_cbranch_execz .LBB22_2612
.LBB22_2712:
	s_mov_b32 s13, 0x46000000
	v_add_f32_e64 v13, |v7|, s13
	v_and_b32_e32 v13, 0xff, v13
	v_cmp_ne_u32_e32 vcc, 0, v13
	s_andn2_b64 s[14:15], s[14:15], exec
	s_and_b64 s[20:21], vcc, exec
	s_mov_b32 s13, 0
	s_or_b64 s[14:15], s[14:15], s[20:21]
	s_or_b64 exec, exec, s[16:17]
	v_mov_b32_e32 v14, s13
	s_and_saveexec_b64 s[16:17], s[14:15]
	s_cbranch_execnz .LBB22_2613
	s_branch .LBB22_2614
.LBB22_2713:
	s_mov_b64 s[0:1], 0
	s_branch .LBB22_2724
.LBB22_2714:
	s_trap 2
	s_or_b64 s[18:19], s[18:19], exec
	s_cbranch_execz .LBB22_2660
	s_branch .LBB22_2661
.LBB22_2715:
	s_or_saveexec_b64 s[14:15], s[14:15]
                                        ; implicit-def: $sgpr13
	s_xor_b64 exec, exec, s[14:15]
	s_cbranch_execz .LBB22_2625
.LBB22_2716:
	s_mov_b32 s13, 0x42800000
	v_add_f32_e64 v13, |v7|, s13
	v_and_b32_e32 v13, 0xff, v13
	v_cmp_ne_u32_e32 vcc, 0, v13
	s_andn2_b64 s[10:11], s[10:11], exec
	s_and_b64 s[16:17], vcc, exec
	s_mov_b32 s13, 0
	s_or_b64 s[10:11], s[10:11], s[16:17]
	s_or_b64 exec, exec, s[14:15]
	v_mov_b32_e32 v14, s13
	s_and_saveexec_b64 s[14:15], s[10:11]
	s_cbranch_execnz .LBB22_2626
	s_branch .LBB22_2627
.LBB22_2717:
	s_mov_b64 s[0:1], 0
.LBB22_2718:
	s_and_b64 vcc, exec, s[12:13]
	s_cbranch_vccz .LBB22_2723
; %bb.2719:
	v_mov_b32_e32 v7, 44
	v_cmp_eq_u16_sdwa s[12:13], v2, v7 src0_sel:BYTE_0 src1_sel:DWORD
	s_mov_b64 s[0:1], -1
	s_and_b64 vcc, exec, s[12:13]
	s_cbranch_vccz .LBB22_2723
; %bb.2720:
	v_cvt_f32_f16_e32 v7, v4
	s_movk_i32 s0, 0xff
	v_mov_b32_e32 v9, 0xff
	v_bfe_u32 v8, v7, 23, 8
	v_cmp_ne_u32_e32 vcc, s0, v8
	s_and_saveexec_b64 s[10:11], vcc
; %bb.2721:
	s_mov_b32 s0, 0x3fffff
	v_lshrrev_b32_e32 v9, 23, v7
	v_and_b32_e32 v13, 0x400000, v7
	v_and_or_b32 v7, v7, s0, v8
	v_cmp_ne_u32_e32 vcc, 0, v13
	v_cmp_ne_u32_e64 s[0:1], 0, v7
	s_and_b64 s[0:1], vcc, s[0:1]
	v_cndmask_b32_e64 v7, 0, 1, s[0:1]
	v_add_u32_e32 v9, v9, v7
; %bb.2722:
	s_or_b64 exec, exec, s[10:11]
	s_mov_b64 s[0:1], 0
	s_mov_b64 s[10:11], -1
	global_store_byte v[0:1], v9, off
.LBB22_2723:
	s_mov_b64 s[12:13], 0
.LBB22_2724:
	s_and_b64 vcc, exec, s[12:13]
	s_cbranch_vccz .LBB22_2727
; %bb.2725:
	v_mov_b32_e32 v7, 29
	v_cmp_eq_u16_sdwa s[12:13], v2, v7 src0_sel:BYTE_0 src1_sel:DWORD
	s_mov_b64 s[0:1], -1
	s_and_b64 vcc, exec, s[12:13]
	s_cbranch_vccz .LBB22_2727
; %bb.2726:
	v_cvt_f32_f16_e32 v7, v4
	v_mov_b32_e32 v9, 0
	s_mov_b64 s[0:1], 0
	s_mov_b64 s[10:11], -1
	v_cvt_u32_f32_e32 v8, v7
	s_mov_b64 s[12:13], 0
	global_store_dwordx2 v[0:1], v[8:9], off
	s_branch .LBB22_2728
.LBB22_2727:
	s_mov_b64 s[12:13], 0
.LBB22_2728:
	s_and_b64 vcc, exec, s[12:13]
	s_cbranch_vccz .LBB22_2744
; %bb.2729:
	v_mov_b32_e32 v7, 27
	v_cmp_lt_i16_sdwa s[12:13], v2, v7 src0_sel:BYTE_0 src1_sel:DWORD
	s_mov_b64 s[10:11], -1
	s_and_b64 vcc, exec, s[12:13]
	s_cbranch_vccnz .LBB22_2735
; %bb.2730:
	v_cmp_gt_i16_sdwa s[12:13], v2, v7 src0_sel:BYTE_0 src1_sel:DWORD
	s_and_b64 vcc, exec, s[12:13]
	s_cbranch_vccz .LBB22_2732
; %bb.2731:
	v_cvt_f32_f16_e32 v7, v4
	s_mov_b64 s[10:11], 0
	v_cvt_u32_f32_e32 v7, v7
	global_store_dword v[0:1], v7, off
.LBB22_2732:
	s_andn2_b64 vcc, exec, s[10:11]
	s_cbranch_vccnz .LBB22_2734
; %bb.2733:
	v_cvt_u16_f16_e32 v7, v4
	global_store_short v[0:1], v7, off
.LBB22_2734:
	s_mov_b64 s[10:11], 0
.LBB22_2735:
	s_andn2_b64 vcc, exec, s[10:11]
	s_cbranch_vccnz .LBB22_2743
; %bb.2736:
	v_cvt_f32_f16_e32 v7, v4
	s_mov_b32 s10, 0x43800000
	v_mov_b32_e32 v9, 0x80
	v_and_b32_e32 v8, 0x7fffffff, v7
	v_cmp_gt_u32_e32 vcc, s10, v8
	s_and_saveexec_b64 s[10:11], vcc
	s_cbranch_execz .LBB22_2742
; %bb.2737:
	s_mov_b32 s12, 0x3bffffff
	v_cmp_lt_u32_e32 vcc, s12, v8
	s_mov_b64 s[12:13], 0
                                        ; implicit-def: $vgpr8
	s_and_saveexec_b64 s[14:15], vcc
	s_xor_b64 s[14:15], exec, s[14:15]
	s_cbranch_execz .LBB22_2838
; %bb.2738:
	v_bfe_u32 v8, v7, 20, 1
	s_mov_b32 s17, 0x487ffff
	v_add3_u32 v8, v7, v8, s17
	s_mov_b64 s[12:13], exec
	v_lshrrev_b32_e32 v8, 20, v8
	s_or_saveexec_b64 s[14:15], s[14:15]
                                        ; implicit-def: $sgpr17
	s_xor_b64 exec, exec, s[14:15]
	s_cbranch_execnz .LBB22_2839
.LBB22_2739:
	s_or_b64 exec, exec, s[14:15]
	v_mov_b32_e32 v9, s17
	s_and_saveexec_b64 s[14:15], s[12:13]
.LBB22_2740:
	v_lshrrev_b32_e32 v7, 24, v7
	s_movk_i32 s12, 0x80
	v_and_or_b32 v9, v7, s12, v8
.LBB22_2741:
	s_or_b64 exec, exec, s[14:15]
.LBB22_2742:
	s_or_b64 exec, exec, s[10:11]
	global_store_byte v[0:1], v9, off
.LBB22_2743:
	s_mov_b64 s[10:11], -1
.LBB22_2744:
	s_mov_b64 s[12:13], 0
.LBB22_2745:
	s_and_b64 vcc, exec, s[12:13]
	s_cbranch_vccz .LBB22_2785
; %bb.2746:
	v_mov_b32_e32 v7, 22
	v_cmp_gt_i16_sdwa s[12:13], v2, v7 src0_sel:BYTE_0 src1_sel:DWORD
	s_mov_b64 s[2:3], -1
	s_and_b64 vcc, exec, s[12:13]
	s_cbranch_vccz .LBB22_2778
; %bb.2747:
	v_mov_b32_e32 v7, 24
	v_cmp_lt_i16_sdwa s[10:11], v2, v7 src0_sel:BYTE_0 src1_sel:DWORD
	s_and_b64 vcc, exec, s[10:11]
	s_cbranch_vccnz .LBB22_2767
; %bb.2748:
	v_cmp_gt_i16_sdwa s[10:11], v2, v7 src0_sel:BYTE_0 src1_sel:DWORD
	s_and_b64 vcc, exec, s[10:11]
	s_cbranch_vccz .LBB22_2756
; %bb.2749:
	v_cvt_f32_f16_e32 v7, v4
	s_mov_b32 s2, 0x47800000
	v_mov_b32_e32 v9, 0x80
	v_and_b32_e32 v8, 0x7fffffff, v7
	v_cmp_gt_u32_e32 vcc, s2, v8
	s_and_saveexec_b64 s[2:3], vcc
	s_cbranch_execz .LBB22_2755
; %bb.2750:
	s_mov_b32 s10, 0x37ffffff
	v_cmp_lt_u32_e32 vcc, s10, v8
	s_mov_b64 s[10:11], 0
                                        ; implicit-def: $vgpr8
	s_and_saveexec_b64 s[12:13], vcc
	s_xor_b64 s[12:13], exec, s[12:13]
	s_cbranch_execz .LBB22_2842
; %bb.2751:
	v_bfe_u32 v8, v7, 21, 1
	s_mov_b32 s14, 0x88fffff
	v_add3_u32 v8, v7, v8, s14
	s_mov_b64 s[10:11], exec
	v_lshrrev_b32_e32 v8, 21, v8
	s_or_saveexec_b64 s[12:13], s[12:13]
                                        ; implicit-def: $sgpr14
	s_xor_b64 exec, exec, s[12:13]
	s_cbranch_execnz .LBB22_2843
.LBB22_2752:
	s_or_b64 exec, exec, s[12:13]
	v_mov_b32_e32 v9, s14
	s_and_saveexec_b64 s[12:13], s[10:11]
.LBB22_2753:
	v_lshrrev_b32_e32 v7, 24, v7
	s_movk_i32 s10, 0x80
	v_and_or_b32 v9, v7, s10, v8
.LBB22_2754:
	s_or_b64 exec, exec, s[12:13]
.LBB22_2755:
	s_or_b64 exec, exec, s[2:3]
	s_mov_b64 s[2:3], 0
	global_store_byte v[0:1], v9, off
.LBB22_2756:
	s_and_b64 vcc, exec, s[2:3]
	s_cbranch_vccz .LBB22_2766
; %bb.2757:
	v_cvt_f32_f16_e32 v7, v4
	s_mov_b32 s2, 0x43f00000
                                        ; implicit-def: $vgpr8
	v_and_b32_e32 v9, 0x7fffffff, v7
	v_cmp_gt_u32_e32 vcc, s2, v9
	s_and_saveexec_b64 s[2:3], vcc
	s_xor_b64 s[2:3], exec, s[2:3]
	s_cbranch_execz .LBB22_2763
; %bb.2758:
	s_mov_b32 s10, 0x3c7fffff
	v_cmp_lt_u32_e32 vcc, s10, v9
                                        ; implicit-def: $vgpr8
	s_and_saveexec_b64 s[10:11], vcc
	s_xor_b64 s[10:11], exec, s[10:11]
; %bb.2759:
	v_bfe_u32 v8, v7, 20, 1
	s_mov_b32 s12, 0x407ffff
	v_add3_u32 v8, v7, v8, s12
	v_lshrrev_b32_e32 v9, 20, v8
	v_and_b32_e32 v8, 0xff00000, v8
	s_mov_b32 s12, 0x7f00000
	v_mov_b32_e32 v13, 0x7e
	v_cmp_ne_u32_e32 vcc, s12, v8
	v_cndmask_b32_e32 v8, v13, v9, vcc
; %bb.2760:
	s_andn2_saveexec_b64 s[10:11], s[10:11]
; %bb.2761:
	s_mov_b32 s12, 0x46800000
	v_add_f32_e64 v8, |v7|, s12
; %bb.2762:
	s_or_b64 exec, exec, s[10:11]
                                        ; implicit-def: $vgpr9
.LBB22_2763:
	s_andn2_saveexec_b64 s[2:3], s[2:3]
; %bb.2764:
	s_mov_b32 s10, 0x7f800000
	v_mov_b32_e32 v8, 0x7e
	v_mov_b32_e32 v13, 0x7f
	v_cmp_lt_u32_e32 vcc, s10, v9
	v_cndmask_b32_e32 v8, v8, v13, vcc
; %bb.2765:
	s_or_b64 exec, exec, s[2:3]
	v_lshrrev_b32_e32 v7, 24, v7
	s_movk_i32 s2, 0x80
	v_and_or_b32 v7, v7, s2, v8
	global_store_byte v[0:1], v7, off
.LBB22_2766:
	s_mov_b64 s[2:3], 0
.LBB22_2767:
	s_andn2_b64 vcc, exec, s[2:3]
	s_cbranch_vccnz .LBB22_2777
; %bb.2768:
	v_cvt_f32_f16_e32 v7, v4
	s_mov_b32 s2, 0x47800000
                                        ; implicit-def: $vgpr8
	v_and_b32_e32 v9, 0x7fffffff, v7
	v_cmp_gt_u32_e32 vcc, s2, v9
	s_and_saveexec_b64 s[2:3], vcc
	s_xor_b64 s[2:3], exec, s[2:3]
	s_cbranch_execz .LBB22_2774
; %bb.2769:
	s_mov_b32 s10, 0x387fffff
	v_cmp_lt_u32_e32 vcc, s10, v9
                                        ; implicit-def: $vgpr8
	s_and_saveexec_b64 s[10:11], vcc
	s_xor_b64 s[10:11], exec, s[10:11]
; %bb.2770:
	v_bfe_u32 v8, v7, 21, 1
	s_mov_b32 s12, 0x80fffff
	v_add3_u32 v8, v7, v8, s12
	v_lshrrev_b32_e32 v8, 21, v8
; %bb.2771:
	s_andn2_saveexec_b64 s[10:11], s[10:11]
; %bb.2772:
	s_mov_b32 s12, 0x43000000
	v_add_f32_e64 v8, |v7|, s12
; %bb.2773:
	s_or_b64 exec, exec, s[10:11]
                                        ; implicit-def: $vgpr9
.LBB22_2774:
	s_andn2_saveexec_b64 s[2:3], s[2:3]
; %bb.2775:
	s_mov_b32 s10, 0x7f800000
	v_mov_b32_e32 v8, 0x7c
	v_mov_b32_e32 v13, 0x7f
	v_cmp_lt_u32_e32 vcc, s10, v9
	v_cndmask_b32_e32 v8, v8, v13, vcc
; %bb.2776:
	s_or_b64 exec, exec, s[2:3]
	v_lshrrev_b32_e32 v7, 24, v7
	s_movk_i32 s2, 0x80
	v_and_or_b32 v7, v7, s2, v8
	global_store_byte v[0:1], v7, off
.LBB22_2777:
	s_mov_b64 s[2:3], 0
	s_mov_b64 s[10:11], -1
.LBB22_2778:
	s_andn2_b64 vcc, exec, s[2:3]
	s_mov_b64 s[2:3], 0
	s_cbranch_vccnz .LBB22_2785
; %bb.2779:
	v_mov_b32_e32 v7, 14
	v_cmp_gt_i16_sdwa s[2:3], v2, v7 src0_sel:BYTE_0 src1_sel:DWORD
	s_mov_b64 s[12:13], -1
	s_and_b64 vcc, exec, s[2:3]
	s_cbranch_vccz .LBB22_2783
; %bb.2780:
	v_mov_b32_e32 v7, 15
	v_cmp_eq_u16_sdwa s[2:3], v2, v7 src0_sel:BYTE_0 src1_sel:DWORD
	s_mov_b64 s[0:1], -1
	s_and_b64 vcc, exec, s[2:3]
	s_cbranch_vccz .LBB22_2782
; %bb.2781:
	v_cvt_f32_f16_e32 v7, v4
	s_movk_i32 s0, 0x7fff
	v_mov_b32_e32 v8, 0x7fc0
	v_cmp_o_f16_e32 vcc, v4, v4
	v_bfe_u32 v9, v7, 16, 1
	v_add3_u32 v7, v7, v9, s0
	v_lshrrev_b32_e32 v7, 16, v7
	v_cndmask_b32_e32 v7, v8, v7, vcc
	global_store_short v[0:1], v7, off
	s_mov_b64 s[0:1], 0
	s_mov_b64 s[10:11], -1
.LBB22_2782:
	s_mov_b64 s[12:13], 0
.LBB22_2783:
	s_mov_b64 s[2:3], 0
	s_and_b64 vcc, exec, s[12:13]
	s_cbranch_vccz .LBB22_2785
; %bb.2784:
	v_mov_b32_e32 v7, 11
	v_cmp_ne_u16_sdwa s[0:1], v2, v7 src0_sel:BYTE_0 src1_sel:DWORD
	s_mov_b64 s[2:3], -1
.LBB22_2785:
	s_and_b64 vcc, exec, s[0:1]
	s_cbranch_vccnz .LBB22_2841
; %bb.2786:
	s_andn2_b64 vcc, exec, s[2:3]
	s_cbranch_vccnz .LBB22_2788
.LBB22_2787:
	v_cmp_ne_u16_e32 vcc, 0, v6
	v_cndmask_b32_e64 v6, 0, 1, vcc
	s_mov_b64 s[10:11], -1
	global_store_byte v[0:1], v6, off
.LBB22_2788:
	s_mov_b64 s[0:1], 0
.LBB22_2789:
	s_and_b64 vcc, exec, s[0:1]
	s_cbranch_vccz .LBB22_2828
; %bb.2790:
	v_mov_b32_e32 v6, 5
	v_cmp_lt_i16_sdwa s[2:3], v2, v6 src0_sel:BYTE_0 src1_sel:DWORD
	s_mov_b64 s[0:1], -1
	s_and_b64 vcc, exec, s[2:3]
	s_cbranch_vccnz .LBB22_2811
; %bb.2791:
	v_mov_b32_e32 v6, 8
	v_cmp_lt_i16_sdwa s[2:3], v2, v6 src0_sel:BYTE_0 src1_sel:DWORD
	s_and_b64 vcc, exec, s[2:3]
	s_cbranch_vccnz .LBB22_2801
; %bb.2792:
	v_mov_b32_e32 v6, 9
	v_cmp_lt_i16_sdwa s[2:3], v2, v6 src0_sel:BYTE_0 src1_sel:DWORD
	s_and_b64 vcc, exec, s[2:3]
	s_cbranch_vccnz .LBB22_2798
; %bb.2793:
	v_cmp_gt_i16_sdwa s[2:3], v2, v6 src0_sel:BYTE_0 src1_sel:DWORD
	s_and_b64 vcc, exec, s[2:3]
	s_cbranch_vccz .LBB22_2795
; %bb.2794:
	v_cvt_f32_f16_e32 v6, v4
	v_mov_b32_e32 v8, 0
	v_mov_b32_e32 v9, v8
	s_mov_b64 s[0:1], 0
	v_cvt_f64_f32_e32 v[6:7], v6
	global_store_dwordx4 v[0:1], v[6:9], off
.LBB22_2795:
	s_andn2_b64 vcc, exec, s[0:1]
	s_cbranch_vccnz .LBB22_2797
; %bb.2796:
	v_cvt_f32_f16_e32 v6, v4
	v_mov_b32_e32 v7, 0
	global_store_dwordx2 v[0:1], v[6:7], off
.LBB22_2797:
	s_mov_b64 s[0:1], 0
.LBB22_2798:
	s_andn2_b64 vcc, exec, s[0:1]
	s_cbranch_vccnz .LBB22_2800
; %bb.2799:
	v_and_b32_e32 v6, 0xffff, v4
	global_store_dword v[0:1], v6, off
.LBB22_2800:
	s_mov_b64 s[0:1], 0
.LBB22_2801:
	s_andn2_b64 vcc, exec, s[0:1]
	s_cbranch_vccnz .LBB22_2810
; %bb.2802:
	v_mov_b32_e32 v6, 6
	v_cmp_lt_i16_sdwa s[2:3], v2, v6 src0_sel:BYTE_0 src1_sel:DWORD
	s_mov_b64 s[0:1], -1
	s_and_b64 vcc, exec, s[2:3]
	s_cbranch_vccnz .LBB22_2808
; %bb.2803:
	v_cmp_gt_i16_sdwa s[2:3], v2, v6 src0_sel:BYTE_0 src1_sel:DWORD
	s_and_b64 vcc, exec, s[2:3]
	s_cbranch_vccz .LBB22_2805
; %bb.2804:
	v_cvt_f32_f16_e32 v6, v4
	s_mov_b64 s[0:1], 0
	v_cvt_f64_f32_e32 v[6:7], v6
	global_store_dwordx2 v[0:1], v[6:7], off
.LBB22_2805:
	s_andn2_b64 vcc, exec, s[0:1]
	s_cbranch_vccnz .LBB22_2807
; %bb.2806:
	v_cvt_f32_f16_e32 v6, v4
	global_store_dword v[0:1], v6, off
.LBB22_2807:
	s_mov_b64 s[0:1], 0
.LBB22_2808:
	s_andn2_b64 vcc, exec, s[0:1]
	s_cbranch_vccnz .LBB22_2810
; %bb.2809:
	global_store_short v[0:1], v4, off
.LBB22_2810:
	s_mov_b64 s[0:1], 0
.LBB22_2811:
	s_andn2_b64 vcc, exec, s[0:1]
	s_cbranch_vccnz .LBB22_2827
; %bb.2812:
	v_mov_b32_e32 v6, 2
	v_cmp_lt_i16_sdwa s[2:3], v2, v6 src0_sel:BYTE_0 src1_sel:DWORD
	s_mov_b64 s[0:1], -1
	s_and_b64 vcc, exec, s[2:3]
	s_cbranch_vccnz .LBB22_2822
; %bb.2813:
	v_mov_b32_e32 v6, 3
	v_cmp_lt_i16_sdwa s[2:3], v2, v6 src0_sel:BYTE_0 src1_sel:DWORD
	s_and_b64 vcc, exec, s[2:3]
	s_cbranch_vccnz .LBB22_2819
; %bb.2814:
	v_cmp_gt_i16_sdwa s[2:3], v2, v6 src0_sel:BYTE_0 src1_sel:DWORD
	s_and_b64 vcc, exec, s[2:3]
	s_cbranch_vccz .LBB22_2816
; %bb.2815:
	v_cvt_f32_f16_e32 v6, v4
	s_mov_b64 s[0:1], 0
	v_cvt_i32_f32_e32 v6, v6
	v_ashrrev_i32_e32 v7, 31, v6
	global_store_dwordx2 v[0:1], v[6:7], off
.LBB22_2816:
	s_andn2_b64 vcc, exec, s[0:1]
	s_cbranch_vccnz .LBB22_2818
; %bb.2817:
	v_cvt_f32_f16_e32 v6, v4
	v_cvt_i32_f32_e32 v6, v6
	global_store_dword v[0:1], v6, off
.LBB22_2818:
	s_mov_b64 s[0:1], 0
.LBB22_2819:
	s_andn2_b64 vcc, exec, s[0:1]
	s_cbranch_vccnz .LBB22_2821
; %bb.2820:
	v_cvt_i16_f16_e32 v6, v4
	global_store_short v[0:1], v6, off
.LBB22_2821:
	s_mov_b64 s[0:1], 0
.LBB22_2822:
	s_andn2_b64 vcc, exec, s[0:1]
	s_cbranch_vccnz .LBB22_2827
; %bb.2823:
	v_mov_b32_e32 v6, 0
	v_cmp_gt_i16_sdwa s[2:3], v2, v6 src0_sel:BYTE_0 src1_sel:DWORD
	s_mov_b64 s[0:1], -1
	s_and_b64 vcc, exec, s[2:3]
	s_cbranch_vccz .LBB22_2825
; %bb.2824:
	v_cvt_i16_f16_e32 v6, v4
	global_store_byte v[0:1], v6, off
	s_mov_b64 s[0:1], 0
.LBB22_2825:
	s_andn2_b64 vcc, exec, s[0:1]
	s_cbranch_vccnz .LBB22_2827
; %bb.2826:
	v_cvt_f32_f16_e32 v4, v4
	v_cvt_i32_f32_e32 v4, v4
	global_store_byte v[0:1], v4, off
.LBB22_2827:
	s_mov_b64 s[10:11], -1
.LBB22_2828:
	s_andn2_b64 vcc, exec, s[10:11]
	s_cbranch_vccnz .LBB22_3032
; %bb.2829:
	v_and_b32_e32 v6, 0x7fff, v10
	v_and_b32_e32 v0, 0xffff8000, v11
	v_add_u32_e32 v3, s16, v3
	v_or_b32_e32 v4, v0, v6
	v_ashrrev_i32_e32 v1, 31, v3
	v_mov_b32_e32 v7, s9
	v_add_co_u32_e32 v0, vcc, s8, v3
	v_addc_co_u32_e32 v1, vcc, v7, v1, vcc
	v_mov_b32_e32 v7, 11
	v_cmp_lt_i16_sdwa s[0:1], v2, v7 src0_sel:BYTE_0 src1_sel:DWORD
	s_and_b64 vcc, exec, s[0:1]
	s_cbranch_vccnz .LBB22_2836
; %bb.2830:
	v_mov_b32_e32 v7, 25
	v_cmp_gt_i16_sdwa s[0:1], v2, v7 src0_sel:BYTE_0 src1_sel:DWORD
	s_mov_b64 s[12:13], -1
	s_mov_b64 s[2:3], 0
	s_and_b64 vcc, exec, s[0:1]
	s_mov_b64 s[10:11], 0
	s_mov_b64 s[0:1], 0
	s_cbranch_vccz .LBB22_2872
; %bb.2831:
	v_mov_b32_e32 v7, 28
	v_cmp_gt_i16_sdwa s[0:1], v2, v7 src0_sel:BYTE_0 src1_sel:DWORD
	s_and_b64 vcc, exec, s[0:1]
	s_cbranch_vccz .LBB22_2837
; %bb.2832:
	v_mov_b32_e32 v7, 43
	v_cmp_gt_i16_sdwa s[0:1], v2, v7 src0_sel:BYTE_0 src1_sel:DWORD
	s_and_b64 vcc, exec, s[0:1]
	;; [unrolled: 5-line block ×3, first 2 shown]
	s_cbranch_vccz .LBB22_2844
; %bb.2834:
	v_mov_b32_e32 v7, 46
	v_cmp_eq_u16_sdwa s[10:11], v2, v7 src0_sel:BYTE_0 src1_sel:DWORD
	s_mov_b64 s[0:1], -1
	s_mov_b64 s[12:13], 0
	s_and_b64 vcc, exec, s[10:11]
	s_mov_b64 s[10:11], 0
	s_cbranch_vccz .LBB22_2845
; %bb.2835:
	v_cvt_f32_f16_e32 v7, v4
	s_movk_i32 s0, 0x7fff
	v_mov_b32_e32 v8, 0x7fc0
	v_cmp_o_f16_e32 vcc, v4, v4
	v_bfe_u32 v9, v7, 16, 1
	v_add3_u32 v7, v7, v9, s0
	v_lshrrev_b32_e32 v7, 16, v7
	v_cndmask_b32_e32 v7, v8, v7, vcc
	global_store_dword v[0:1], v7, off
	s_mov_b64 s[0:1], 0
	s_mov_b64 s[10:11], -1
	s_branch .LBB22_2845
.LBB22_2836:
	s_mov_b64 s[0:1], -1
	s_mov_b64 s[10:11], 0
	s_branch .LBB22_2916
.LBB22_2837:
	s_mov_b64 s[0:1], 0
	s_branch .LBB22_2855
.LBB22_2838:
	s_or_saveexec_b64 s[14:15], s[14:15]
                                        ; implicit-def: $sgpr17
	s_xor_b64 exec, exec, s[14:15]
	s_cbranch_execz .LBB22_2739
.LBB22_2839:
	s_mov_b32 s17, 0x46000000
	v_add_f32_e64 v8, |v7|, s17
	v_and_b32_e32 v8, 0xff, v8
	v_cmp_ne_u32_e32 vcc, 0, v8
	s_andn2_b64 s[12:13], s[12:13], exec
	s_and_b64 s[20:21], vcc, exec
	s_mov_b32 s17, 0
	s_or_b64 s[12:13], s[12:13], s[20:21]
	s_or_b64 exec, exec, s[14:15]
	v_mov_b32_e32 v9, s17
	s_and_saveexec_b64 s[14:15], s[12:13]
	s_cbranch_execnz .LBB22_2740
	s_branch .LBB22_2741
.LBB22_2840:
	s_mov_b64 s[0:1], 0
	s_branch .LBB22_2851
.LBB22_2841:
	s_trap 2
	s_or_b64 s[18:19], s[18:19], exec
	s_cbranch_execz .LBB22_2787
	s_branch .LBB22_2788
.LBB22_2842:
	s_or_saveexec_b64 s[12:13], s[12:13]
                                        ; implicit-def: $sgpr14
	s_xor_b64 exec, exec, s[12:13]
	s_cbranch_execz .LBB22_2752
.LBB22_2843:
	s_mov_b32 s14, 0x42800000
	v_add_f32_e64 v8, |v7|, s14
	v_and_b32_e32 v8, 0xff, v8
	v_cmp_ne_u32_e32 vcc, 0, v8
	s_andn2_b64 s[10:11], s[10:11], exec
	s_and_b64 s[20:21], vcc, exec
	s_mov_b32 s14, 0
	s_or_b64 s[10:11], s[10:11], s[20:21]
	s_or_b64 exec, exec, s[12:13]
	v_mov_b32_e32 v9, s14
	s_and_saveexec_b64 s[12:13], s[10:11]
	s_cbranch_execnz .LBB22_2753
	s_branch .LBB22_2754
.LBB22_2844:
	s_mov_b64 s[0:1], 0
.LBB22_2845:
	s_and_b64 vcc, exec, s[12:13]
	s_cbranch_vccz .LBB22_2850
; %bb.2846:
	v_mov_b32_e32 v7, 44
	v_cmp_eq_u16_sdwa s[12:13], v2, v7 src0_sel:BYTE_0 src1_sel:DWORD
	s_mov_b64 s[0:1], -1
	s_and_b64 vcc, exec, s[12:13]
	s_cbranch_vccz .LBB22_2850
; %bb.2847:
	v_cvt_f32_f16_e32 v7, v4
	s_movk_i32 s0, 0xff
	v_mov_b32_e32 v9, 0xff
	v_bfe_u32 v8, v7, 23, 8
	v_cmp_ne_u32_e32 vcc, s0, v8
	s_and_saveexec_b64 s[10:11], vcc
; %bb.2848:
	s_mov_b32 s0, 0x3fffff
	v_lshrrev_b32_e32 v9, 23, v7
	v_and_b32_e32 v10, 0x400000, v7
	v_and_or_b32 v7, v7, s0, v8
	v_cmp_ne_u32_e32 vcc, 0, v10
	v_cmp_ne_u32_e64 s[0:1], 0, v7
	s_and_b64 s[0:1], vcc, s[0:1]
	v_cndmask_b32_e64 v7, 0, 1, s[0:1]
	v_add_u32_e32 v9, v9, v7
; %bb.2849:
	s_or_b64 exec, exec, s[10:11]
	s_mov_b64 s[0:1], 0
	s_mov_b64 s[10:11], -1
	global_store_byte v[0:1], v9, off
.LBB22_2850:
	s_mov_b64 s[12:13], 0
.LBB22_2851:
	s_and_b64 vcc, exec, s[12:13]
	s_cbranch_vccz .LBB22_2854
; %bb.2852:
	v_mov_b32_e32 v7, 29
	v_cmp_eq_u16_sdwa s[12:13], v2, v7 src0_sel:BYTE_0 src1_sel:DWORD
	s_mov_b64 s[0:1], -1
	s_and_b64 vcc, exec, s[12:13]
	s_cbranch_vccz .LBB22_2854
; %bb.2853:
	v_cvt_f32_f16_e32 v7, v4
	v_mov_b32_e32 v9, 0
	s_mov_b64 s[0:1], 0
	s_mov_b64 s[10:11], -1
	v_cvt_u32_f32_e32 v8, v7
	s_mov_b64 s[12:13], 0
	global_store_dwordx2 v[0:1], v[8:9], off
	s_branch .LBB22_2855
.LBB22_2854:
	s_mov_b64 s[12:13], 0
.LBB22_2855:
	s_and_b64 vcc, exec, s[12:13]
	s_cbranch_vccz .LBB22_2871
; %bb.2856:
	v_mov_b32_e32 v7, 27
	v_cmp_lt_i16_sdwa s[12:13], v2, v7 src0_sel:BYTE_0 src1_sel:DWORD
	s_mov_b64 s[10:11], -1
	s_and_b64 vcc, exec, s[12:13]
	s_cbranch_vccnz .LBB22_2862
; %bb.2857:
	v_cmp_gt_i16_sdwa s[12:13], v2, v7 src0_sel:BYTE_0 src1_sel:DWORD
	s_and_b64 vcc, exec, s[12:13]
	s_cbranch_vccz .LBB22_2859
; %bb.2858:
	v_cvt_f32_f16_e32 v7, v4
	s_mov_b64 s[10:11], 0
	v_cvt_u32_f32_e32 v7, v7
	global_store_dword v[0:1], v7, off
.LBB22_2859:
	s_andn2_b64 vcc, exec, s[10:11]
	s_cbranch_vccnz .LBB22_2861
; %bb.2860:
	v_cvt_u16_f16_e32 v7, v4
	global_store_short v[0:1], v7, off
.LBB22_2861:
	s_mov_b64 s[10:11], 0
.LBB22_2862:
	s_andn2_b64 vcc, exec, s[10:11]
	s_cbranch_vccnz .LBB22_2870
; %bb.2863:
	v_cvt_f32_f16_e32 v7, v4
	s_mov_b32 s10, 0x43800000
	v_mov_b32_e32 v9, 0x80
	v_and_b32_e32 v8, 0x7fffffff, v7
	v_cmp_gt_u32_e32 vcc, s10, v8
	s_and_saveexec_b64 s[10:11], vcc
	s_cbranch_execz .LBB22_2869
; %bb.2864:
	s_mov_b32 s12, 0x3bffffff
	v_cmp_lt_u32_e32 vcc, s12, v8
	s_mov_b64 s[12:13], 0
                                        ; implicit-def: $vgpr8
	s_and_saveexec_b64 s[14:15], vcc
	s_xor_b64 s[14:15], exec, s[14:15]
	s_cbranch_execz .LBB22_3078
; %bb.2865:
	v_bfe_u32 v8, v7, 20, 1
	s_mov_b32 s17, 0x487ffff
	v_add3_u32 v8, v7, v8, s17
	s_mov_b64 s[12:13], exec
	v_lshrrev_b32_e32 v8, 20, v8
	s_or_saveexec_b64 s[14:15], s[14:15]
                                        ; implicit-def: $sgpr17
	s_xor_b64 exec, exec, s[14:15]
	s_cbranch_execnz .LBB22_3079
.LBB22_2866:
	s_or_b64 exec, exec, s[14:15]
	v_mov_b32_e32 v9, s17
	s_and_saveexec_b64 s[14:15], s[12:13]
.LBB22_2867:
	v_lshrrev_b32_e32 v7, 24, v7
	s_movk_i32 s12, 0x80
	v_and_or_b32 v9, v7, s12, v8
.LBB22_2868:
	s_or_b64 exec, exec, s[14:15]
.LBB22_2869:
	s_or_b64 exec, exec, s[10:11]
	global_store_byte v[0:1], v9, off
.LBB22_2870:
	s_mov_b64 s[10:11], -1
.LBB22_2871:
	s_mov_b64 s[12:13], 0
.LBB22_2872:
	s_and_b64 vcc, exec, s[12:13]
	s_cbranch_vccz .LBB22_2912
; %bb.2873:
	v_mov_b32_e32 v7, 22
	v_cmp_gt_i16_sdwa s[12:13], v2, v7 src0_sel:BYTE_0 src1_sel:DWORD
	s_mov_b64 s[2:3], -1
	s_and_b64 vcc, exec, s[12:13]
	s_cbranch_vccz .LBB22_2905
; %bb.2874:
	v_mov_b32_e32 v7, 24
	v_cmp_lt_i16_sdwa s[10:11], v2, v7 src0_sel:BYTE_0 src1_sel:DWORD
	s_and_b64 vcc, exec, s[10:11]
	s_cbranch_vccnz .LBB22_2894
; %bb.2875:
	v_cmp_gt_i16_sdwa s[10:11], v2, v7 src0_sel:BYTE_0 src1_sel:DWORD
	s_and_b64 vcc, exec, s[10:11]
	s_cbranch_vccz .LBB22_2883
; %bb.2876:
	v_cvt_f32_f16_e32 v7, v4
	s_mov_b32 s2, 0x47800000
	v_mov_b32_e32 v9, 0x80
	v_and_b32_e32 v8, 0x7fffffff, v7
	v_cmp_gt_u32_e32 vcc, s2, v8
	s_and_saveexec_b64 s[2:3], vcc
	s_cbranch_execz .LBB22_2882
; %bb.2877:
	s_mov_b32 s10, 0x37ffffff
	v_cmp_lt_u32_e32 vcc, s10, v8
	s_mov_b64 s[10:11], 0
                                        ; implicit-def: $vgpr8
	s_and_saveexec_b64 s[12:13], vcc
	s_xor_b64 s[12:13], exec, s[12:13]
	s_cbranch_execz .LBB22_3081
; %bb.2878:
	v_bfe_u32 v8, v7, 21, 1
	s_mov_b32 s14, 0x88fffff
	v_add3_u32 v8, v7, v8, s14
	s_mov_b64 s[10:11], exec
	v_lshrrev_b32_e32 v8, 21, v8
	s_or_saveexec_b64 s[12:13], s[12:13]
                                        ; implicit-def: $sgpr14
	s_xor_b64 exec, exec, s[12:13]
	s_cbranch_execnz .LBB22_3082
.LBB22_2879:
	s_or_b64 exec, exec, s[12:13]
	v_mov_b32_e32 v9, s14
	s_and_saveexec_b64 s[12:13], s[10:11]
.LBB22_2880:
	v_lshrrev_b32_e32 v7, 24, v7
	s_movk_i32 s10, 0x80
	v_and_or_b32 v9, v7, s10, v8
.LBB22_2881:
	s_or_b64 exec, exec, s[12:13]
.LBB22_2882:
	s_or_b64 exec, exec, s[2:3]
	s_mov_b64 s[2:3], 0
	global_store_byte v[0:1], v9, off
.LBB22_2883:
	s_and_b64 vcc, exec, s[2:3]
	s_cbranch_vccz .LBB22_2893
; %bb.2884:
	v_cvt_f32_f16_e32 v7, v4
	s_mov_b32 s2, 0x43f00000
                                        ; implicit-def: $vgpr8
	v_and_b32_e32 v9, 0x7fffffff, v7
	v_cmp_gt_u32_e32 vcc, s2, v9
	s_and_saveexec_b64 s[2:3], vcc
	s_xor_b64 s[2:3], exec, s[2:3]
	s_cbranch_execz .LBB22_2890
; %bb.2885:
	s_mov_b32 s10, 0x3c7fffff
	v_cmp_lt_u32_e32 vcc, s10, v9
                                        ; implicit-def: $vgpr8
	s_and_saveexec_b64 s[10:11], vcc
	s_xor_b64 s[10:11], exec, s[10:11]
; %bb.2886:
	v_bfe_u32 v8, v7, 20, 1
	s_mov_b32 s12, 0x407ffff
	v_add3_u32 v8, v7, v8, s12
	v_lshrrev_b32_e32 v9, 20, v8
	v_and_b32_e32 v8, 0xff00000, v8
	s_mov_b32 s12, 0x7f00000
	v_mov_b32_e32 v10, 0x7e
	v_cmp_ne_u32_e32 vcc, s12, v8
	v_cndmask_b32_e32 v8, v10, v9, vcc
; %bb.2887:
	s_andn2_saveexec_b64 s[10:11], s[10:11]
; %bb.2888:
	s_mov_b32 s12, 0x46800000
	v_add_f32_e64 v8, |v7|, s12
; %bb.2889:
	s_or_b64 exec, exec, s[10:11]
                                        ; implicit-def: $vgpr9
.LBB22_2890:
	s_andn2_saveexec_b64 s[2:3], s[2:3]
; %bb.2891:
	s_mov_b32 s10, 0x7f800000
	v_mov_b32_e32 v8, 0x7e
	v_mov_b32_e32 v10, 0x7f
	v_cmp_lt_u32_e32 vcc, s10, v9
	v_cndmask_b32_e32 v8, v8, v10, vcc
; %bb.2892:
	s_or_b64 exec, exec, s[2:3]
	v_lshrrev_b32_e32 v7, 24, v7
	s_movk_i32 s2, 0x80
	v_and_or_b32 v7, v7, s2, v8
	global_store_byte v[0:1], v7, off
.LBB22_2893:
	s_mov_b64 s[2:3], 0
.LBB22_2894:
	s_andn2_b64 vcc, exec, s[2:3]
	s_cbranch_vccnz .LBB22_2904
; %bb.2895:
	v_cvt_f32_f16_e32 v7, v4
	s_mov_b32 s2, 0x47800000
                                        ; implicit-def: $vgpr8
	v_and_b32_e32 v9, 0x7fffffff, v7
	v_cmp_gt_u32_e32 vcc, s2, v9
	s_and_saveexec_b64 s[2:3], vcc
	s_xor_b64 s[2:3], exec, s[2:3]
	s_cbranch_execz .LBB22_2901
; %bb.2896:
	s_mov_b32 s10, 0x387fffff
	v_cmp_lt_u32_e32 vcc, s10, v9
                                        ; implicit-def: $vgpr8
	s_and_saveexec_b64 s[10:11], vcc
	s_xor_b64 s[10:11], exec, s[10:11]
; %bb.2897:
	v_bfe_u32 v8, v7, 21, 1
	s_mov_b32 s12, 0x80fffff
	v_add3_u32 v8, v7, v8, s12
	v_lshrrev_b32_e32 v8, 21, v8
; %bb.2898:
	s_andn2_saveexec_b64 s[10:11], s[10:11]
; %bb.2899:
	s_mov_b32 s12, 0x43000000
	v_add_f32_e64 v8, |v7|, s12
; %bb.2900:
	s_or_b64 exec, exec, s[10:11]
                                        ; implicit-def: $vgpr9
.LBB22_2901:
	s_andn2_saveexec_b64 s[2:3], s[2:3]
; %bb.2902:
	s_mov_b32 s10, 0x7f800000
	v_mov_b32_e32 v8, 0x7c
	v_mov_b32_e32 v10, 0x7f
	v_cmp_lt_u32_e32 vcc, s10, v9
	v_cndmask_b32_e32 v8, v8, v10, vcc
; %bb.2903:
	s_or_b64 exec, exec, s[2:3]
	v_lshrrev_b32_e32 v7, 24, v7
	s_movk_i32 s2, 0x80
	v_and_or_b32 v7, v7, s2, v8
	global_store_byte v[0:1], v7, off
.LBB22_2904:
	s_mov_b64 s[2:3], 0
	s_mov_b64 s[10:11], -1
.LBB22_2905:
	s_andn2_b64 vcc, exec, s[2:3]
	s_mov_b64 s[2:3], 0
	s_cbranch_vccnz .LBB22_2912
; %bb.2906:
	v_mov_b32_e32 v7, 14
	v_cmp_gt_i16_sdwa s[2:3], v2, v7 src0_sel:BYTE_0 src1_sel:DWORD
	s_mov_b64 s[12:13], -1
	s_and_b64 vcc, exec, s[2:3]
	s_cbranch_vccz .LBB22_2910
; %bb.2907:
	v_mov_b32_e32 v7, 15
	v_cmp_eq_u16_sdwa s[2:3], v2, v7 src0_sel:BYTE_0 src1_sel:DWORD
	s_mov_b64 s[0:1], -1
	s_and_b64 vcc, exec, s[2:3]
	s_cbranch_vccz .LBB22_2909
; %bb.2908:
	v_cvt_f32_f16_e32 v7, v4
	s_movk_i32 s0, 0x7fff
	v_mov_b32_e32 v8, 0x7fc0
	v_cmp_o_f16_e32 vcc, v4, v4
	v_bfe_u32 v9, v7, 16, 1
	v_add3_u32 v7, v7, v9, s0
	v_lshrrev_b32_e32 v7, 16, v7
	v_cndmask_b32_e32 v7, v8, v7, vcc
	global_store_short v[0:1], v7, off
	s_mov_b64 s[0:1], 0
	s_mov_b64 s[10:11], -1
.LBB22_2909:
	s_mov_b64 s[12:13], 0
.LBB22_2910:
	s_mov_b64 s[2:3], 0
	s_and_b64 vcc, exec, s[12:13]
	s_cbranch_vccz .LBB22_2912
; %bb.2911:
	v_mov_b32_e32 v7, 11
	v_cmp_ne_u16_sdwa s[0:1], v2, v7 src0_sel:BYTE_0 src1_sel:DWORD
	s_mov_b64 s[2:3], -1
.LBB22_2912:
	s_and_b64 vcc, exec, s[0:1]
	s_cbranch_vccnz .LBB22_3080
; %bb.2913:
	s_andn2_b64 vcc, exec, s[2:3]
	s_cbranch_vccnz .LBB22_2915
.LBB22_2914:
	v_cmp_ne_u16_e32 vcc, 0, v6
	v_cndmask_b32_e64 v6, 0, 1, vcc
	s_mov_b64 s[10:11], -1
	global_store_byte v[0:1], v6, off
.LBB22_2915:
	s_mov_b64 s[0:1], 0
.LBB22_2916:
	s_and_b64 vcc, exec, s[0:1]
	s_cbranch_vccz .LBB22_2955
; %bb.2917:
	v_mov_b32_e32 v6, 5
	v_cmp_lt_i16_sdwa s[2:3], v2, v6 src0_sel:BYTE_0 src1_sel:DWORD
	s_mov_b64 s[0:1], -1
	s_and_b64 vcc, exec, s[2:3]
	s_cbranch_vccnz .LBB22_2938
; %bb.2918:
	v_mov_b32_e32 v6, 8
	v_cmp_lt_i16_sdwa s[2:3], v2, v6 src0_sel:BYTE_0 src1_sel:DWORD
	s_and_b64 vcc, exec, s[2:3]
	s_cbranch_vccnz .LBB22_2928
; %bb.2919:
	v_mov_b32_e32 v6, 9
	v_cmp_lt_i16_sdwa s[2:3], v2, v6 src0_sel:BYTE_0 src1_sel:DWORD
	s_and_b64 vcc, exec, s[2:3]
	s_cbranch_vccnz .LBB22_2925
; %bb.2920:
	v_cmp_gt_i16_sdwa s[2:3], v2, v6 src0_sel:BYTE_0 src1_sel:DWORD
	s_and_b64 vcc, exec, s[2:3]
	s_cbranch_vccz .LBB22_2922
; %bb.2921:
	v_cvt_f32_f16_e32 v6, v4
	v_mov_b32_e32 v8, 0
	v_mov_b32_e32 v9, v8
	s_mov_b64 s[0:1], 0
	v_cvt_f64_f32_e32 v[6:7], v6
	global_store_dwordx4 v[0:1], v[6:9], off
.LBB22_2922:
	s_andn2_b64 vcc, exec, s[0:1]
	s_cbranch_vccnz .LBB22_2924
; %bb.2923:
	v_cvt_f32_f16_e32 v6, v4
	v_mov_b32_e32 v7, 0
	global_store_dwordx2 v[0:1], v[6:7], off
.LBB22_2924:
	s_mov_b64 s[0:1], 0
.LBB22_2925:
	s_andn2_b64 vcc, exec, s[0:1]
	s_cbranch_vccnz .LBB22_2927
; %bb.2926:
	v_and_b32_e32 v6, 0xffff, v4
	global_store_dword v[0:1], v6, off
.LBB22_2927:
	s_mov_b64 s[0:1], 0
.LBB22_2928:
	s_andn2_b64 vcc, exec, s[0:1]
	s_cbranch_vccnz .LBB22_2937
; %bb.2929:
	v_mov_b32_e32 v6, 6
	v_cmp_lt_i16_sdwa s[2:3], v2, v6 src0_sel:BYTE_0 src1_sel:DWORD
	s_mov_b64 s[0:1], -1
	s_and_b64 vcc, exec, s[2:3]
	s_cbranch_vccnz .LBB22_2935
; %bb.2930:
	v_cmp_gt_i16_sdwa s[2:3], v2, v6 src0_sel:BYTE_0 src1_sel:DWORD
	s_and_b64 vcc, exec, s[2:3]
	s_cbranch_vccz .LBB22_2932
; %bb.2931:
	v_cvt_f32_f16_e32 v6, v4
	s_mov_b64 s[0:1], 0
	v_cvt_f64_f32_e32 v[6:7], v6
	global_store_dwordx2 v[0:1], v[6:7], off
.LBB22_2932:
	s_andn2_b64 vcc, exec, s[0:1]
	s_cbranch_vccnz .LBB22_2934
; %bb.2933:
	v_cvt_f32_f16_e32 v6, v4
	global_store_dword v[0:1], v6, off
.LBB22_2934:
	s_mov_b64 s[0:1], 0
.LBB22_2935:
	s_andn2_b64 vcc, exec, s[0:1]
	s_cbranch_vccnz .LBB22_2937
; %bb.2936:
	global_store_short v[0:1], v4, off
.LBB22_2937:
	s_mov_b64 s[0:1], 0
.LBB22_2938:
	s_andn2_b64 vcc, exec, s[0:1]
	s_cbranch_vccnz .LBB22_2954
; %bb.2939:
	v_mov_b32_e32 v6, 2
	v_cmp_lt_i16_sdwa s[2:3], v2, v6 src0_sel:BYTE_0 src1_sel:DWORD
	s_mov_b64 s[0:1], -1
	s_and_b64 vcc, exec, s[2:3]
	s_cbranch_vccnz .LBB22_2949
; %bb.2940:
	v_mov_b32_e32 v6, 3
	v_cmp_lt_i16_sdwa s[2:3], v2, v6 src0_sel:BYTE_0 src1_sel:DWORD
	s_and_b64 vcc, exec, s[2:3]
	s_cbranch_vccnz .LBB22_2946
; %bb.2941:
	v_cmp_gt_i16_sdwa s[2:3], v2, v6 src0_sel:BYTE_0 src1_sel:DWORD
	s_and_b64 vcc, exec, s[2:3]
	s_cbranch_vccz .LBB22_2943
; %bb.2942:
	v_cvt_f32_f16_e32 v6, v4
	s_mov_b64 s[0:1], 0
	v_cvt_i32_f32_e32 v6, v6
	v_ashrrev_i32_e32 v7, 31, v6
	global_store_dwordx2 v[0:1], v[6:7], off
.LBB22_2943:
	s_andn2_b64 vcc, exec, s[0:1]
	s_cbranch_vccnz .LBB22_2945
; %bb.2944:
	v_cvt_f32_f16_e32 v6, v4
	v_cvt_i32_f32_e32 v6, v6
	global_store_dword v[0:1], v6, off
.LBB22_2945:
	s_mov_b64 s[0:1], 0
.LBB22_2946:
	s_andn2_b64 vcc, exec, s[0:1]
	s_cbranch_vccnz .LBB22_2948
; %bb.2947:
	v_cvt_i16_f16_e32 v6, v4
	global_store_short v[0:1], v6, off
.LBB22_2948:
	s_mov_b64 s[0:1], 0
.LBB22_2949:
	s_andn2_b64 vcc, exec, s[0:1]
	s_cbranch_vccnz .LBB22_2954
; %bb.2950:
	v_mov_b32_e32 v6, 0
	v_cmp_gt_i16_sdwa s[2:3], v2, v6 src0_sel:BYTE_0 src1_sel:DWORD
	s_mov_b64 s[0:1], -1
	s_and_b64 vcc, exec, s[2:3]
	s_cbranch_vccz .LBB22_2952
; %bb.2951:
	v_cvt_i16_f16_e32 v6, v4
	global_store_byte v[0:1], v6, off
	s_mov_b64 s[0:1], 0
.LBB22_2952:
	s_andn2_b64 vcc, exec, s[0:1]
	s_cbranch_vccnz .LBB22_2954
; %bb.2953:
	v_cvt_f32_f16_e32 v4, v4
	v_cvt_i32_f32_e32 v4, v4
	global_store_byte v[0:1], v4, off
.LBB22_2954:
	s_mov_b64 s[10:11], -1
.LBB22_2955:
	s_andn2_b64 vcc, exec, s[10:11]
	s_cbranch_vccnz .LBB22_3032
; %bb.2956:
	v_and_b32_e32 v8, 0x7fff, v12
	v_and_b32_e32 v0, 0xffff8000, v5
	v_or_b32_e32 v6, v0, v8
	v_add_u32_e32 v0, s16, v3
	v_ashrrev_i32_e32 v1, 31, v0
	v_mov_b32_e32 v3, s9
	v_add_co_u32_e32 v0, vcc, s8, v0
	v_addc_co_u32_e32 v1, vcc, v3, v1, vcc
	v_and_b32_e32 v7, 0xff, v2
	v_cmp_gt_i16_e32 vcc, 11, v7
	s_cbranch_vccnz .LBB22_3077
; %bb.2957:
	v_cmp_lt_i16_e32 vcc, 25, v7
	s_mov_b64 s[8:9], -1
	s_mov_b64 s[2:3], 0
	s_mov_b64 s[0:1], 0
	s_cbranch_vccz .LBB22_2990
; %bb.2958:
	v_cmp_lt_i16_e32 vcc, 28, v7
	s_cbranch_vccz .LBB22_2974
; %bb.2959:
	v_cmp_lt_i16_e32 vcc, 43, v7
	;; [unrolled: 3-line block ×3, first 2 shown]
	s_cbranch_vccz .LBB22_2964
; %bb.2961:
	v_cmp_eq_u16_e32 vcc, 46, v7
	s_mov_b64 s[0:1], -1
	s_cbranch_vccz .LBB22_2963
; %bb.2962:
	v_cvt_f32_f16_e32 v2, v6
	s_movk_i32 s0, 0x7fff
	v_mov_b32_e32 v3, 0x7fc0
	v_cmp_o_f16_e32 vcc, v6, v6
	v_bfe_u32 v4, v2, 16, 1
	v_add3_u32 v2, v2, v4, s0
	v_lshrrev_b32_e32 v2, 16, v2
	v_cndmask_b32_e32 v2, v3, v2, vcc
	global_store_dword v[0:1], v2, off
	s_mov_b64 s[0:1], 0
.LBB22_2963:
	s_mov_b64 s[8:9], 0
.LBB22_2964:
	s_and_b64 vcc, exec, s[8:9]
	s_cbranch_vccz .LBB22_2969
; %bb.2965:
	v_cmp_eq_u16_e32 vcc, 44, v7
	s_mov_b64 s[0:1], -1
	s_cbranch_vccz .LBB22_2969
; %bb.2966:
	v_cvt_f32_f16_e32 v2, v6
	s_movk_i32 s0, 0xff
	v_mov_b32_e32 v4, 0xff
	v_bfe_u32 v3, v2, 23, 8
	v_cmp_ne_u32_e32 vcc, s0, v3
	s_and_saveexec_b64 s[8:9], vcc
; %bb.2967:
	s_mov_b32 s0, 0x3fffff
	v_lshrrev_b32_e32 v4, 23, v2
	v_and_b32_e32 v5, 0x400000, v2
	v_and_or_b32 v2, v2, s0, v3
	v_cmp_ne_u32_e32 vcc, 0, v5
	v_cmp_ne_u32_e64 s[0:1], 0, v2
	s_and_b64 s[0:1], vcc, s[0:1]
	v_cndmask_b32_e64 v2, 0, 1, s[0:1]
	v_add_u32_e32 v4, v4, v2
; %bb.2968:
	s_or_b64 exec, exec, s[8:9]
	s_mov_b64 s[0:1], 0
	global_store_byte v[0:1], v4, off
.LBB22_2969:
	s_mov_b64 s[8:9], 0
.LBB22_2970:
	s_and_b64 vcc, exec, s[8:9]
	s_cbranch_vccz .LBB22_2973
; %bb.2971:
	v_cmp_eq_u16_e32 vcc, 29, v7
	s_mov_b64 s[0:1], -1
	s_cbranch_vccz .LBB22_2973
; %bb.2972:
	v_cvt_f32_f16_e32 v2, v6
	v_mov_b32_e32 v3, 0
	s_mov_b64 s[0:1], 0
	v_cvt_u32_f32_e32 v2, v2
	global_store_dwordx2 v[0:1], v[2:3], off
.LBB22_2973:
	s_mov_b64 s[8:9], 0
.LBB22_2974:
	s_and_b64 vcc, exec, s[8:9]
	s_cbranch_vccz .LBB22_2989
; %bb.2975:
	v_cmp_gt_i16_e32 vcc, 27, v7
	s_mov_b64 s[8:9], -1
	s_cbranch_vccnz .LBB22_2981
; %bb.2976:
	v_cmp_lt_i16_e32 vcc, 27, v7
	s_cbranch_vccz .LBB22_2978
; %bb.2977:
	v_cvt_f32_f16_e32 v2, v6
	s_mov_b64 s[8:9], 0
	v_cvt_u32_f32_e32 v2, v2
	global_store_dword v[0:1], v2, off
.LBB22_2978:
	s_andn2_b64 vcc, exec, s[8:9]
	s_cbranch_vccnz .LBB22_2980
; %bb.2979:
	v_cvt_u16_f16_e32 v2, v6
	global_store_short v[0:1], v2, off
.LBB22_2980:
	s_mov_b64 s[8:9], 0
.LBB22_2981:
	s_andn2_b64 vcc, exec, s[8:9]
	s_cbranch_vccnz .LBB22_2989
; %bb.2982:
	v_cvt_f32_f16_e32 v2, v6
	s_mov_b32 s8, 0x43800000
	v_mov_b32_e32 v4, 0x80
	v_and_b32_e32 v3, 0x7fffffff, v2
	v_cmp_gt_u32_e32 vcc, s8, v3
	s_and_saveexec_b64 s[8:9], vcc
	s_cbranch_execz .LBB22_2988
; %bb.2983:
	s_mov_b32 s10, 0x3bffffff
	v_cmp_lt_u32_e32 vcc, s10, v3
	s_mov_b64 s[10:11], 0
                                        ; implicit-def: $vgpr3
	s_and_saveexec_b64 s[12:13], vcc
	s_xor_b64 s[12:13], exec, s[12:13]
	s_cbranch_execz .LBB22_3083
; %bb.2984:
	v_bfe_u32 v3, v2, 20, 1
	s_mov_b32 s14, 0x487ffff
	v_add3_u32 v3, v2, v3, s14
	s_mov_b64 s[10:11], exec
	v_lshrrev_b32_e32 v3, 20, v3
	s_or_saveexec_b64 s[12:13], s[12:13]
                                        ; implicit-def: $sgpr14
	s_xor_b64 exec, exec, s[12:13]
	s_cbranch_execnz .LBB22_3084
.LBB22_2985:
	s_or_b64 exec, exec, s[12:13]
	v_mov_b32_e32 v4, s14
	s_and_saveexec_b64 s[12:13], s[10:11]
.LBB22_2986:
	v_lshrrev_b32_e32 v2, 24, v2
	s_movk_i32 s10, 0x80
	v_and_or_b32 v4, v2, s10, v3
.LBB22_2987:
	s_or_b64 exec, exec, s[12:13]
.LBB22_2988:
	s_or_b64 exec, exec, s[8:9]
	global_store_byte v[0:1], v4, off
.LBB22_2989:
	s_mov_b64 s[8:9], 0
.LBB22_2990:
	s_and_b64 vcc, exec, s[8:9]
	s_cbranch_vccz .LBB22_3030
; %bb.2991:
	v_cmp_lt_i16_e32 vcc, 22, v7
	s_mov_b64 s[2:3], -1
	s_cbranch_vccz .LBB22_3023
; %bb.2992:
	v_cmp_gt_i16_e32 vcc, 24, v7
	s_cbranch_vccnz .LBB22_3012
; %bb.2993:
	v_cmp_lt_i16_e32 vcc, 24, v7
	s_cbranch_vccz .LBB22_3001
; %bb.2994:
	v_cvt_f32_f16_e32 v2, v6
	s_mov_b32 s2, 0x47800000
	v_mov_b32_e32 v4, 0x80
	v_and_b32_e32 v3, 0x7fffffff, v2
	v_cmp_gt_u32_e32 vcc, s2, v3
	s_and_saveexec_b64 s[2:3], vcc
	s_cbranch_execz .LBB22_3000
; %bb.2995:
	s_mov_b32 s8, 0x37ffffff
	v_cmp_lt_u32_e32 vcc, s8, v3
	s_mov_b64 s[8:9], 0
                                        ; implicit-def: $vgpr3
	s_and_saveexec_b64 s[10:11], vcc
	s_xor_b64 s[10:11], exec, s[10:11]
	s_cbranch_execz .LBB22_3086
; %bb.2996:
	v_bfe_u32 v3, v2, 21, 1
	s_mov_b32 s12, 0x88fffff
	v_add3_u32 v3, v2, v3, s12
	s_mov_b64 s[8:9], exec
	v_lshrrev_b32_e32 v3, 21, v3
	s_or_saveexec_b64 s[10:11], s[10:11]
                                        ; implicit-def: $sgpr12
	s_xor_b64 exec, exec, s[10:11]
	s_cbranch_execnz .LBB22_3087
.LBB22_2997:
	s_or_b64 exec, exec, s[10:11]
	v_mov_b32_e32 v4, s12
	s_and_saveexec_b64 s[10:11], s[8:9]
.LBB22_2998:
	v_lshrrev_b32_e32 v2, 24, v2
	s_movk_i32 s8, 0x80
	v_and_or_b32 v4, v2, s8, v3
.LBB22_2999:
	s_or_b64 exec, exec, s[10:11]
.LBB22_3000:
	s_or_b64 exec, exec, s[2:3]
	s_mov_b64 s[2:3], 0
	global_store_byte v[0:1], v4, off
.LBB22_3001:
	s_and_b64 vcc, exec, s[2:3]
	s_cbranch_vccz .LBB22_3011
; %bb.3002:
	v_cvt_f32_f16_e32 v2, v6
	s_mov_b32 s2, 0x43f00000
                                        ; implicit-def: $vgpr3
	v_and_b32_e32 v4, 0x7fffffff, v2
	v_cmp_gt_u32_e32 vcc, s2, v4
	s_and_saveexec_b64 s[2:3], vcc
	s_xor_b64 s[2:3], exec, s[2:3]
	s_cbranch_execz .LBB22_3008
; %bb.3003:
	s_mov_b32 s8, 0x3c7fffff
	v_cmp_lt_u32_e32 vcc, s8, v4
                                        ; implicit-def: $vgpr3
	s_and_saveexec_b64 s[8:9], vcc
	s_xor_b64 s[8:9], exec, s[8:9]
; %bb.3004:
	v_bfe_u32 v3, v2, 20, 1
	s_mov_b32 s10, 0x407ffff
	v_add3_u32 v3, v2, v3, s10
	v_lshrrev_b32_e32 v4, 20, v3
	v_and_b32_e32 v3, 0xff00000, v3
	s_mov_b32 s10, 0x7f00000
	v_mov_b32_e32 v5, 0x7e
	v_cmp_ne_u32_e32 vcc, s10, v3
	v_cndmask_b32_e32 v3, v5, v4, vcc
; %bb.3005:
	s_andn2_saveexec_b64 s[8:9], s[8:9]
; %bb.3006:
	s_mov_b32 s10, 0x46800000
	v_add_f32_e64 v3, |v2|, s10
; %bb.3007:
	s_or_b64 exec, exec, s[8:9]
                                        ; implicit-def: $vgpr4
.LBB22_3008:
	s_andn2_saveexec_b64 s[2:3], s[2:3]
; %bb.3009:
	s_mov_b32 s8, 0x7f800000
	v_mov_b32_e32 v3, 0x7e
	v_mov_b32_e32 v5, 0x7f
	v_cmp_lt_u32_e32 vcc, s8, v4
	v_cndmask_b32_e32 v3, v3, v5, vcc
; %bb.3010:
	s_or_b64 exec, exec, s[2:3]
	v_lshrrev_b32_e32 v2, 24, v2
	s_movk_i32 s2, 0x80
	v_and_or_b32 v2, v2, s2, v3
	global_store_byte v[0:1], v2, off
.LBB22_3011:
	s_mov_b64 s[2:3], 0
.LBB22_3012:
	s_andn2_b64 vcc, exec, s[2:3]
	s_cbranch_vccnz .LBB22_3022
; %bb.3013:
	v_cvt_f32_f16_e32 v2, v6
	s_mov_b32 s2, 0x47800000
                                        ; implicit-def: $vgpr3
	v_and_b32_e32 v4, 0x7fffffff, v2
	v_cmp_gt_u32_e32 vcc, s2, v4
	s_and_saveexec_b64 s[2:3], vcc
	s_xor_b64 s[2:3], exec, s[2:3]
	s_cbranch_execz .LBB22_3019
; %bb.3014:
	s_mov_b32 s8, 0x387fffff
	v_cmp_lt_u32_e32 vcc, s8, v4
                                        ; implicit-def: $vgpr3
	s_and_saveexec_b64 s[8:9], vcc
	s_xor_b64 s[8:9], exec, s[8:9]
; %bb.3015:
	v_bfe_u32 v3, v2, 21, 1
	s_mov_b32 s10, 0x80fffff
	v_add3_u32 v3, v2, v3, s10
	v_lshrrev_b32_e32 v3, 21, v3
; %bb.3016:
	s_andn2_saveexec_b64 s[8:9], s[8:9]
; %bb.3017:
	s_mov_b32 s10, 0x43000000
	v_add_f32_e64 v3, |v2|, s10
; %bb.3018:
	s_or_b64 exec, exec, s[8:9]
                                        ; implicit-def: $vgpr4
.LBB22_3019:
	s_andn2_saveexec_b64 s[2:3], s[2:3]
; %bb.3020:
	s_mov_b32 s8, 0x7f800000
	v_mov_b32_e32 v3, 0x7c
	v_mov_b32_e32 v5, 0x7f
	v_cmp_lt_u32_e32 vcc, s8, v4
	v_cndmask_b32_e32 v3, v3, v5, vcc
; %bb.3021:
	s_or_b64 exec, exec, s[2:3]
	v_lshrrev_b32_e32 v2, 24, v2
	s_movk_i32 s2, 0x80
	v_and_or_b32 v2, v2, s2, v3
	global_store_byte v[0:1], v2, off
.LBB22_3022:
	s_mov_b64 s[2:3], 0
.LBB22_3023:
	s_andn2_b64 vcc, exec, s[2:3]
	s_mov_b64 s[2:3], 0
	s_cbranch_vccnz .LBB22_3030
; %bb.3024:
	v_cmp_lt_i16_e32 vcc, 14, v7
	s_mov_b64 s[8:9], -1
	s_cbranch_vccz .LBB22_3028
; %bb.3025:
	v_cmp_eq_u16_e32 vcc, 15, v7
	s_mov_b64 s[0:1], -1
	s_cbranch_vccz .LBB22_3027
; %bb.3026:
	v_cvt_f32_f16_e32 v2, v6
	s_movk_i32 s0, 0x7fff
	v_mov_b32_e32 v3, 0x7fc0
	v_cmp_o_f16_e32 vcc, v6, v6
	v_bfe_u32 v4, v2, 16, 1
	v_add3_u32 v2, v2, v4, s0
	v_lshrrev_b32_e32 v2, 16, v2
	v_cndmask_b32_e32 v2, v3, v2, vcc
	global_store_short v[0:1], v2, off
	s_mov_b64 s[0:1], 0
.LBB22_3027:
	s_mov_b64 s[8:9], 0
.LBB22_3028:
	s_and_b64 vcc, exec, s[8:9]
	s_cbranch_vccz .LBB22_3030
; %bb.3029:
	v_cmp_ne_u16_e64 s[0:1], 11, v7
	s_mov_b64 s[2:3], -1
.LBB22_3030:
	s_and_b64 vcc, exec, s[0:1]
	s_cbranch_vccnz .LBB22_3085
.LBB22_3031:
	s_mov_b64 s[0:1], 0
	s_branch .LBB22_3033
.LBB22_3032:
	s_mov_b64 s[0:1], 0
	s_mov_b64 s[2:3], 0
                                        ; implicit-def: $vgpr7
                                        ; implicit-def: $vgpr0_vgpr1
                                        ; implicit-def: $vgpr6
                                        ; implicit-def: $vgpr8
.LBB22_3033:
	s_and_b64 s[16:17], s[2:3], exec
	s_andn2_b64 s[2:3], s[6:7], exec
	s_and_b64 s[6:7], s[18:19], exec
	s_and_b64 s[0:1], s[0:1], exec
	s_or_b64 s[6:7], s[2:3], s[6:7]
.LBB22_3034:
	s_or_b64 exec, exec, s[4:5]
	s_and_saveexec_b64 s[2:3], s[6:7]
	s_cbranch_execz .LBB22_3037
; %bb.3035:
	; divergent unreachable
	s_or_b64 exec, exec, s[2:3]
	s_and_saveexec_b64 s[2:3], s[16:17]
	s_xor_b64 s[2:3], exec, s[2:3]
	s_cbranch_execnz .LBB22_3038
.LBB22_3036:
	s_or_b64 exec, exec, s[2:3]
	s_and_saveexec_b64 s[2:3], s[0:1]
	s_cbranch_execnz .LBB22_3039
	s_branch .LBB22_3076
.LBB22_3037:
	s_or_b64 exec, exec, s[2:3]
	s_and_saveexec_b64 s[2:3], s[16:17]
	s_xor_b64 s[2:3], exec, s[2:3]
	s_cbranch_execz .LBB22_3036
.LBB22_3038:
	s_waitcnt vmcnt(0)
	v_cmp_ne_u16_e32 vcc, 0, v8
	v_cndmask_b32_e64 v2, 0, 1, vcc
	global_store_byte v[0:1], v2, off
	s_or_b64 exec, exec, s[2:3]
	s_and_saveexec_b64 s[2:3], s[0:1]
	s_cbranch_execz .LBB22_3076
.LBB22_3039:
	s_waitcnt vmcnt(0)
	v_cmp_gt_i16_e32 vcc, 5, v7
	s_mov_b64 s[0:1], -1
	s_cbranch_vccnz .LBB22_3060
; %bb.3040:
	v_cmp_gt_i16_e32 vcc, 8, v7
	s_cbranch_vccnz .LBB22_3050
; %bb.3041:
	v_cmp_gt_i16_e32 vcc, 9, v7
	s_cbranch_vccnz .LBB22_3047
; %bb.3042:
	v_cmp_lt_i16_e32 vcc, 9, v7
	s_cbranch_vccz .LBB22_3044
; %bb.3043:
	v_cvt_f32_f16_e32 v2, v6
	v_mov_b32_e32 v4, 0
	v_mov_b32_e32 v5, v4
	s_mov_b64 s[0:1], 0
	v_cvt_f64_f32_e32 v[2:3], v2
	global_store_dwordx4 v[0:1], v[2:5], off
.LBB22_3044:
	s_andn2_b64 vcc, exec, s[0:1]
	s_cbranch_vccnz .LBB22_3046
; %bb.3045:
	v_cvt_f32_f16_e32 v2, v6
	v_mov_b32_e32 v3, 0
	global_store_dwordx2 v[0:1], v[2:3], off
.LBB22_3046:
	s_mov_b64 s[0:1], 0
.LBB22_3047:
	s_andn2_b64 vcc, exec, s[0:1]
	s_cbranch_vccnz .LBB22_3049
; %bb.3048:
	v_and_b32_e32 v2, 0xffff, v6
	global_store_dword v[0:1], v2, off
.LBB22_3049:
	s_mov_b64 s[0:1], 0
.LBB22_3050:
	s_andn2_b64 vcc, exec, s[0:1]
	s_cbranch_vccnz .LBB22_3059
; %bb.3051:
	v_cmp_gt_i16_e32 vcc, 6, v7
	s_mov_b64 s[0:1], -1
	s_cbranch_vccnz .LBB22_3057
; %bb.3052:
	v_cmp_lt_i16_e32 vcc, 6, v7
	s_cbranch_vccz .LBB22_3054
; %bb.3053:
	v_cvt_f32_f16_e32 v2, v6
	s_mov_b64 s[0:1], 0
	v_cvt_f64_f32_e32 v[2:3], v2
	global_store_dwordx2 v[0:1], v[2:3], off
.LBB22_3054:
	s_andn2_b64 vcc, exec, s[0:1]
	s_cbranch_vccnz .LBB22_3056
; %bb.3055:
	v_cvt_f32_f16_e32 v2, v6
	global_store_dword v[0:1], v2, off
.LBB22_3056:
	s_mov_b64 s[0:1], 0
.LBB22_3057:
	s_andn2_b64 vcc, exec, s[0:1]
	s_cbranch_vccnz .LBB22_3059
; %bb.3058:
	global_store_short v[0:1], v6, off
.LBB22_3059:
	s_mov_b64 s[0:1], 0
.LBB22_3060:
	s_andn2_b64 vcc, exec, s[0:1]
	s_cbranch_vccnz .LBB22_3076
; %bb.3061:
	v_cmp_gt_i16_e32 vcc, 2, v7
	s_mov_b64 s[0:1], -1
	s_cbranch_vccnz .LBB22_3071
; %bb.3062:
	v_cmp_gt_i16_e32 vcc, 3, v7
	s_cbranch_vccnz .LBB22_3068
; %bb.3063:
	v_cmp_lt_i16_e32 vcc, 3, v7
	s_cbranch_vccz .LBB22_3065
; %bb.3064:
	v_cvt_f32_f16_e32 v2, v6
	s_mov_b64 s[0:1], 0
	v_cvt_i32_f32_e32 v2, v2
	v_ashrrev_i32_e32 v3, 31, v2
	global_store_dwordx2 v[0:1], v[2:3], off
.LBB22_3065:
	s_andn2_b64 vcc, exec, s[0:1]
	s_cbranch_vccnz .LBB22_3067
; %bb.3066:
	v_cvt_f32_f16_e32 v2, v6
	v_cvt_i32_f32_e32 v2, v2
	global_store_dword v[0:1], v2, off
.LBB22_3067:
	s_mov_b64 s[0:1], 0
.LBB22_3068:
	s_andn2_b64 vcc, exec, s[0:1]
	s_cbranch_vccnz .LBB22_3070
; %bb.3069:
	v_cvt_i16_f16_e32 v2, v6
	global_store_short v[0:1], v2, off
.LBB22_3070:
	s_mov_b64 s[0:1], 0
.LBB22_3071:
	s_andn2_b64 vcc, exec, s[0:1]
	s_cbranch_vccnz .LBB22_3076
; %bb.3072:
	v_cmp_lt_i16_e32 vcc, 0, v7
	s_mov_b64 s[0:1], -1
	s_cbranch_vccz .LBB22_3074
; %bb.3073:
	v_cvt_i16_f16_e32 v2, v6
	global_store_byte v[0:1], v2, off
	s_mov_b64 s[0:1], 0
.LBB22_3074:
	s_andn2_b64 vcc, exec, s[0:1]
	s_cbranch_vccnz .LBB22_3076
; %bb.3075:
	v_cvt_f32_f16_e32 v2, v6
	v_cvt_i32_f32_e32 v2, v2
	global_store_byte v[0:1], v2, off
	s_endpgm
.LBB22_3076:
	s_endpgm
.LBB22_3077:
	s_mov_b64 s[2:3], 0
	s_mov_b64 s[0:1], -1
	s_branch .LBB22_3033
.LBB22_3078:
	s_or_saveexec_b64 s[14:15], s[14:15]
                                        ; implicit-def: $sgpr17
	s_xor_b64 exec, exec, s[14:15]
	s_cbranch_execz .LBB22_2866
.LBB22_3079:
	s_mov_b32 s17, 0x46000000
	v_add_f32_e64 v8, |v7|, s17
	v_and_b32_e32 v8, 0xff, v8
	v_cmp_ne_u32_e32 vcc, 0, v8
	s_andn2_b64 s[12:13], s[12:13], exec
	s_and_b64 s[20:21], vcc, exec
	s_mov_b32 s17, 0
	s_or_b64 s[12:13], s[12:13], s[20:21]
	s_or_b64 exec, exec, s[14:15]
	v_mov_b32_e32 v9, s17
	s_and_saveexec_b64 s[14:15], s[12:13]
	s_cbranch_execnz .LBB22_2867
	s_branch .LBB22_2868
.LBB22_3080:
	s_trap 2
	s_or_b64 s[18:19], s[18:19], exec
	s_cbranch_execz .LBB22_2914
	s_branch .LBB22_2915
.LBB22_3081:
	s_or_saveexec_b64 s[12:13], s[12:13]
                                        ; implicit-def: $sgpr14
	s_xor_b64 exec, exec, s[12:13]
	s_cbranch_execz .LBB22_2879
.LBB22_3082:
	s_mov_b32 s14, 0x42800000
	v_add_f32_e64 v8, |v7|, s14
	v_and_b32_e32 v8, 0xff, v8
	v_cmp_ne_u32_e32 vcc, 0, v8
	s_andn2_b64 s[10:11], s[10:11], exec
	s_and_b64 s[20:21], vcc, exec
	s_mov_b32 s14, 0
	s_or_b64 s[10:11], s[10:11], s[20:21]
	s_or_b64 exec, exec, s[12:13]
	v_mov_b32_e32 v9, s14
	s_and_saveexec_b64 s[12:13], s[10:11]
	s_cbranch_execnz .LBB22_2880
	s_branch .LBB22_2881
.LBB22_3083:
	s_or_saveexec_b64 s[12:13], s[12:13]
                                        ; implicit-def: $sgpr14
	s_xor_b64 exec, exec, s[12:13]
	s_cbranch_execz .LBB22_2985
.LBB22_3084:
	s_mov_b32 s14, 0x46000000
	v_add_f32_e64 v3, |v2|, s14
	v_and_b32_e32 v3, 0xff, v3
	v_cmp_ne_u32_e32 vcc, 0, v3
	s_andn2_b64 s[10:11], s[10:11], exec
	s_and_b64 s[16:17], vcc, exec
	s_mov_b32 s14, 0
	s_or_b64 s[10:11], s[10:11], s[16:17]
	s_or_b64 exec, exec, s[12:13]
	v_mov_b32_e32 v4, s14
	s_and_saveexec_b64 s[12:13], s[10:11]
	s_cbranch_execnz .LBB22_2986
	s_branch .LBB22_2987
.LBB22_3085:
	s_mov_b64 s[2:3], 0
	s_or_b64 s[18:19], s[18:19], exec
	s_trap 2
	s_branch .LBB22_3031
.LBB22_3086:
	s_or_saveexec_b64 s[10:11], s[10:11]
                                        ; implicit-def: $sgpr12
	s_xor_b64 exec, exec, s[10:11]
	s_cbranch_execz .LBB22_2997
.LBB22_3087:
	s_mov_b32 s12, 0x42800000
	v_add_f32_e64 v3, |v2|, s12
	v_and_b32_e32 v3, 0xff, v3
	v_cmp_ne_u32_e32 vcc, 0, v3
	s_andn2_b64 s[8:9], s[8:9], exec
	s_and_b64 s[14:15], vcc, exec
	s_mov_b32 s12, 0
	s_or_b64 s[8:9], s[8:9], s[14:15]
	s_or_b64 exec, exec, s[10:11]
	v_mov_b32_e32 v4, s12
	s_and_saveexec_b64 s[10:11], s[8:9]
	s_cbranch_execnz .LBB22_2998
	s_branch .LBB22_2999
	.section	.rodata,"a",@progbits
	.p2align	6, 0x0
	.amdhsa_kernel _ZN2at6native32elementwise_kernel_manual_unrollILi128ELi4EZNS0_15gpu_kernel_implINS0_13BinaryFunctorIN3c104HalfES5_S5_ZNS0_20copysign_kernel_cudaERNS_18TensorIteratorBaseEEUlS5_S5_E_EEEEvS7_RKT_EUlibE_EEviT1_
		.amdhsa_group_segment_fixed_size 0
		.amdhsa_private_segment_fixed_size 0
		.amdhsa_kernarg_size 48
		.amdhsa_user_sgpr_count 6
		.amdhsa_user_sgpr_private_segment_buffer 1
		.amdhsa_user_sgpr_dispatch_ptr 0
		.amdhsa_user_sgpr_queue_ptr 0
		.amdhsa_user_sgpr_kernarg_segment_ptr 1
		.amdhsa_user_sgpr_dispatch_id 0
		.amdhsa_user_sgpr_flat_scratch_init 0
		.amdhsa_user_sgpr_kernarg_preload_length 0
		.amdhsa_user_sgpr_kernarg_preload_offset 0
		.amdhsa_user_sgpr_private_segment_size 0
		.amdhsa_uses_dynamic_stack 0
		.amdhsa_system_sgpr_private_segment_wavefront_offset 0
		.amdhsa_system_sgpr_workgroup_id_x 1
		.amdhsa_system_sgpr_workgroup_id_y 0
		.amdhsa_system_sgpr_workgroup_id_z 0
		.amdhsa_system_sgpr_workgroup_info 0
		.amdhsa_system_vgpr_workitem_id 0
		.amdhsa_next_free_vgpr 19
		.amdhsa_next_free_sgpr 54
		.amdhsa_accum_offset 20
		.amdhsa_reserve_vcc 1
		.amdhsa_reserve_flat_scratch 0
		.amdhsa_float_round_mode_32 0
		.amdhsa_float_round_mode_16_64 0
		.amdhsa_float_denorm_mode_32 3
		.amdhsa_float_denorm_mode_16_64 3
		.amdhsa_dx10_clamp 1
		.amdhsa_ieee_mode 1
		.amdhsa_fp16_overflow 0
		.amdhsa_tg_split 0
		.amdhsa_exception_fp_ieee_invalid_op 0
		.amdhsa_exception_fp_denorm_src 0
		.amdhsa_exception_fp_ieee_div_zero 0
		.amdhsa_exception_fp_ieee_overflow 0
		.amdhsa_exception_fp_ieee_underflow 0
		.amdhsa_exception_fp_ieee_inexact 0
		.amdhsa_exception_int_div_zero 0
	.end_amdhsa_kernel
	.section	.text._ZN2at6native32elementwise_kernel_manual_unrollILi128ELi4EZNS0_15gpu_kernel_implINS0_13BinaryFunctorIN3c104HalfES5_S5_ZNS0_20copysign_kernel_cudaERNS_18TensorIteratorBaseEEUlS5_S5_E_EEEEvS7_RKT_EUlibE_EEviT1_,"axG",@progbits,_ZN2at6native32elementwise_kernel_manual_unrollILi128ELi4EZNS0_15gpu_kernel_implINS0_13BinaryFunctorIN3c104HalfES5_S5_ZNS0_20copysign_kernel_cudaERNS_18TensorIteratorBaseEEUlS5_S5_E_EEEEvS7_RKT_EUlibE_EEviT1_,comdat
.Lfunc_end22:
	.size	_ZN2at6native32elementwise_kernel_manual_unrollILi128ELi4EZNS0_15gpu_kernel_implINS0_13BinaryFunctorIN3c104HalfES5_S5_ZNS0_20copysign_kernel_cudaERNS_18TensorIteratorBaseEEUlS5_S5_E_EEEEvS7_RKT_EUlibE_EEviT1_, .Lfunc_end22-_ZN2at6native32elementwise_kernel_manual_unrollILi128ELi4EZNS0_15gpu_kernel_implINS0_13BinaryFunctorIN3c104HalfES5_S5_ZNS0_20copysign_kernel_cudaERNS_18TensorIteratorBaseEEUlS5_S5_E_EEEEvS7_RKT_EUlibE_EEviT1_
                                        ; -- End function
	.section	.AMDGPU.csdata,"",@progbits
; Kernel info:
; codeLenInByte = 53940
; NumSgprs: 58
; NumVgprs: 19
; NumAgprs: 0
; TotalNumVgprs: 19
; ScratchSize: 0
; MemoryBound: 0
; FloatMode: 240
; IeeeMode: 1
; LDSByteSize: 0 bytes/workgroup (compile time only)
; SGPRBlocks: 7
; VGPRBlocks: 2
; NumSGPRsForWavesPerEU: 58
; NumVGPRsForWavesPerEU: 19
; AccumOffset: 20
; Occupancy: 8
; WaveLimiterHint : 0
; COMPUTE_PGM_RSRC2:SCRATCH_EN: 0
; COMPUTE_PGM_RSRC2:USER_SGPR: 6
; COMPUTE_PGM_RSRC2:TRAP_HANDLER: 0
; COMPUTE_PGM_RSRC2:TGID_X_EN: 1
; COMPUTE_PGM_RSRC2:TGID_Y_EN: 0
; COMPUTE_PGM_RSRC2:TGID_Z_EN: 0
; COMPUTE_PGM_RSRC2:TIDIG_COMP_CNT: 0
; COMPUTE_PGM_RSRC3_GFX90A:ACCUM_OFFSET: 4
; COMPUTE_PGM_RSRC3_GFX90A:TG_SPLIT: 0
	.section	.text._ZN2at6native32elementwise_kernel_manual_unrollILi128ELi4EZNS0_15gpu_kernel_implINS0_13BinaryFunctorIN3c104HalfES5_S5_ZNS0_20copysign_kernel_cudaERNS_18TensorIteratorBaseEEUlS5_S5_E_EEEEvS7_RKT_EUlibE0_EEviT1_,"axG",@progbits,_ZN2at6native32elementwise_kernel_manual_unrollILi128ELi4EZNS0_15gpu_kernel_implINS0_13BinaryFunctorIN3c104HalfES5_S5_ZNS0_20copysign_kernel_cudaERNS_18TensorIteratorBaseEEUlS5_S5_E_EEEEvS7_RKT_EUlibE0_EEviT1_,comdat
	.globl	_ZN2at6native32elementwise_kernel_manual_unrollILi128ELi4EZNS0_15gpu_kernel_implINS0_13BinaryFunctorIN3c104HalfES5_S5_ZNS0_20copysign_kernel_cudaERNS_18TensorIteratorBaseEEUlS5_S5_E_EEEEvS7_RKT_EUlibE0_EEviT1_ ; -- Begin function _ZN2at6native32elementwise_kernel_manual_unrollILi128ELi4EZNS0_15gpu_kernel_implINS0_13BinaryFunctorIN3c104HalfES5_S5_ZNS0_20copysign_kernel_cudaERNS_18TensorIteratorBaseEEUlS5_S5_E_EEEEvS7_RKT_EUlibE0_EEviT1_
	.p2align	8
	.type	_ZN2at6native32elementwise_kernel_manual_unrollILi128ELi4EZNS0_15gpu_kernel_implINS0_13BinaryFunctorIN3c104HalfES5_S5_ZNS0_20copysign_kernel_cudaERNS_18TensorIteratorBaseEEUlS5_S5_E_EEEEvS7_RKT_EUlibE0_EEviT1_,@function
_ZN2at6native32elementwise_kernel_manual_unrollILi128ELi4EZNS0_15gpu_kernel_implINS0_13BinaryFunctorIN3c104HalfES5_S5_ZNS0_20copysign_kernel_cudaERNS_18TensorIteratorBaseEEUlS5_S5_E_EEEEvS7_RKT_EUlibE0_EEviT1_: ; @_ZN2at6native32elementwise_kernel_manual_unrollILi128ELi4EZNS0_15gpu_kernel_implINS0_13BinaryFunctorIN3c104HalfES5_S5_ZNS0_20copysign_kernel_cudaERNS_18TensorIteratorBaseEEUlS5_S5_E_EEEEvS7_RKT_EUlibE0_EEviT1_
; %bb.0:
	s_load_dword s66, s[4:5], 0x0
	s_load_dword s33, s[4:5], 0x8
	s_or_b32 s2, s4, 8
	v_lshl_or_b32 v8, s6, 9, v0
	v_or_b32_e32 v24, 0x180, v8
	s_mov_b32 s3, s5
	s_waitcnt lgkmcnt(0)
	s_add_i32 s68, s33, -1
	s_cmp_gt_u32 s68, 1
	v_cmp_le_i32_e32 vcc, s66, v24
	s_cselect_b64 s[20:21], -1, 0
	s_mov_b64 s[6:7], 0
	s_mov_b64 s[12:13], 0
	s_and_saveexec_b64 s[0:1], vcc
	s_xor_b64 s[22:23], exec, s[0:1]
	s_cbranch_execz .LBB23_1585
; %bb.1:
	v_mov_b32_e32 v0, 0
	global_load_ushort v6, v0, s[2:3] offset:417
	global_load_sbyte v7, v0, s[2:3] offset:419
	s_load_dwordx4 s[16:19], s[2:3], 0x4
	s_load_dwordx2 s[28:29], s[2:3], 0x14
	s_load_dwordx4 s[12:15], s[2:3], 0xc4
	s_load_dwordx2 s[26:27], s[2:3], 0xd4
	s_load_dwordx2 s[24:25], s[2:3], 0x198
	s_load_dwordx4 s[8:11], s[2:3], 0x188
	s_cmp_lg_u32 s33, 0
	s_cselect_b64 s[34:35], -1, 0
	s_min_u32 s69, s68, 15
	s_cmp_gt_u32 s33, 1
	v_cmp_gt_i32_e32 vcc, s66, v8
	s_mov_b64 s[0:1], -1
	s_mov_b64 s[46:47], 0
	s_mov_b64 s[40:41], 0
	;; [unrolled: 1-line block ×3, first 2 shown]
	s_cselect_b64 s[30:31], -1, 0
	s_mov_b64 s[36:37], 0
	s_waitcnt vmcnt(1)
	v_lshrrev_b32_e32 v9, 8, v6
	s_and_saveexec_b64 s[42:43], vcc
	s_cbranch_execz .LBB23_393
; %bb.2:
	s_andn2_b64 vcc, exec, s[20:21]
	s_cbranch_vccnz .LBB23_9
; %bb.3:
	s_andn2_b64 vcc, exec, s[34:35]
	v_mov_b32_e32 v2, 0
	v_mov_b32_e32 v4, 0
	;; [unrolled: 1-line block ×3, first 2 shown]
	s_cbranch_vccnz .LBB23_8
; %bb.4:
	s_add_i32 s0, s69, 1
	s_and_b32 s36, s0, 30
	s_add_u32 s0, s2, 0xffffffec
	s_addc_u32 s1, s3, -1
	v_mov_b32_e32 v0, 0
	v_mov_b32_e32 v1, v8
	;; [unrolled: 1-line block ×4, first 2 shown]
.LBB23_5:                               ; =>This Inner Loop Header: Depth=1
	s_mov_b64 s[38:39], s[0:1]
	s_load_dwordx4 s[48:51], s[38:39], 0x18
	s_load_dwordx2 s[40:41], s[38:39], 0x28
	s_load_dwordx2 s[44:45], s[38:39], 0xe8
	s_load_dwordx4 s[52:55], s[38:39], 0xd8
	s_add_u32 s0, s38, 24
	s_waitcnt lgkmcnt(0)
	v_mul_hi_u32 v3, s49, v1
	v_add_u32_e32 v3, v1, v3
	v_lshrrev_b32_e32 v3, s50, v3
	v_mul_lo_u32 v5, v3, s48
	v_mul_hi_u32 v10, s40, v3
	v_sub_u32_e32 v1, v1, v5
	v_add_u32_e32 v5, v3, v10
	v_mul_lo_u32 v10, v1, s52
	v_mul_lo_u32 v11, v1, s53
	;; [unrolled: 1-line block ×3, first 2 shown]
	v_lshrrev_b32_e32 v1, s41, v5
	v_mul_lo_u32 v5, v1, s51
	v_sub_u32_e32 v3, v3, v5
	s_addc_u32 s1, s39, 0
	s_add_i32 s36, s36, -2
	v_mul_lo_u32 v5, v3, s55
	v_mul_lo_u32 v13, v3, s44
	;; [unrolled: 1-line block ×3, first 2 shown]
	s_cmp_lg_u32 s36, 0
	v_add3_u32 v0, v10, v0, v5
	v_add3_u32 v2, v12, v2, v3
	;; [unrolled: 1-line block ×3, first 2 shown]
	s_cbranch_scc1 .LBB23_5
; %bb.6:
	s_bitcmp1_b32 s69, 0
	s_cselect_b64 s[36:37], -1, 0
	s_and_b64 vcc, exec, s[36:37]
	s_cbranch_vccnz .LBB23_8
; %bb.7:
	s_load_dwordx2 s[36:37], s[0:1], 0x18
	s_load_dword s38, s[0:1], 0x20
	s_load_dword s39, s[0:1], 0xe0
	s_nop 0
	s_load_dwordx2 s[0:1], s[0:1], 0xd8
	s_waitcnt lgkmcnt(0)
	v_mul_hi_u32 v3, s37, v1
	v_add_u32_e32 v3, v1, v3
	v_lshrrev_b32_e32 v3, s38, v3
	v_mul_lo_u32 v3, v3, s36
	v_sub_u32_e32 v3, v1, v3
	v_mad_u64_u32 v[0:1], s[36:37], v3, s0, v[0:1]
	v_mad_u64_u32 v[4:5], s[0:1], v3, s1, v[4:5]
	;; [unrolled: 1-line block ×3, first 2 shown]
.LBB23_8:
	s_cbranch_execz .LBB23_10
	s_branch .LBB23_12
.LBB23_9:
                                        ; implicit-def: $vgpr2
                                        ; implicit-def: $vgpr4
                                        ; implicit-def: $vgpr0
	s_andn2_b64 vcc, exec, s[0:1]
	s_cbranch_vccnz .LBB23_12
.LBB23_10:
	s_waitcnt lgkmcnt(0)
	v_mul_hi_u32 v0, s17, v8
	v_add_u32_e32 v0, v8, v0
	v_lshrrev_b32_e32 v1, s18, v0
	v_mul_lo_u32 v0, v1, s16
	v_sub_u32_e32 v3, v8, v0
	v_mul_lo_u32 v0, v3, s12
	v_mul_lo_u32 v2, v3, s14
	s_andn2_b64 vcc, exec, s[30:31]
	v_mul_lo_u32 v4, v3, s13
	s_cbranch_vccnz .LBB23_12
; %bb.11:
	v_mul_hi_u32 v3, s28, v1
	v_add_u32_e32 v3, v1, v3
	v_lshrrev_b32_e32 v3, s29, v3
	v_mul_lo_u32 v3, v3, s19
	v_sub_u32_e32 v3, v1, v3
	v_mad_u64_u32 v[0:1], s[0:1], v3, s15, v[0:1]
	v_mad_u64_u32 v[4:5], s[0:1], v3, s26, v[4:5]
	;; [unrolled: 1-line block ×3, first 2 shown]
.LBB23_12:
	s_waitcnt lgkmcnt(0)
	v_mov_b32_e32 v1, s11
	v_add_co_u32_e32 v4, vcc, s10, v4
	v_addc_co_u32_e32 v5, vcc, 0, v1, vcc
	v_mov_b32_e32 v1, 11
	v_cmp_lt_i16_sdwa s[0:1], v9, v1 src0_sel:BYTE_0 src1_sel:DWORD
	s_and_b64 vcc, exec, s[0:1]
	s_cbranch_vccnz .LBB23_19
; %bb.13:
	v_mov_b32_e32 v1, 25
	v_cmp_gt_i16_sdwa s[0:1], v9, v1 src0_sel:BYTE_0 src1_sel:DWORD
	s_and_b64 vcc, exec, s[0:1]
	s_cbranch_vccz .LBB23_28
; %bb.14:
	v_mov_b32_e32 v1, 28
	v_cmp_gt_i16_sdwa s[0:1], v9, v1 src0_sel:BYTE_0 src1_sel:DWORD
	s_and_b64 vcc, exec, s[0:1]
	s_cbranch_vccz .LBB23_38
	;; [unrolled: 5-line block ×4, first 2 shown]
; %bb.17:
	v_mov_b32_e32 v1, 46
	v_cmp_eq_u16_sdwa s[0:1], v9, v1 src0_sel:BYTE_0 src1_sel:DWORD
	s_mov_b64 s[36:37], 0
	s_and_b64 vcc, exec, s[0:1]
	s_cbranch_vccz .LBB23_47
; %bb.18:
	global_load_dword v1, v[4:5], off
	s_mov_b64 s[0:1], -1
	s_mov_b64 s[40:41], 0
	s_waitcnt vmcnt(0)
	v_lshlrev_b32_e32 v1, 16, v1
	v_cvt_f16_f32_e32 v1, v1
	s_branch .LBB23_49
.LBB23_19:
	s_mov_b64 s[40:41], 0
                                        ; implicit-def: $vgpr1
	s_mov_b64 s[0:1], 0
	s_cbranch_execnz .LBB23_115
.LBB23_20:
	s_andn2_b64 vcc, exec, s[0:1]
	s_cbranch_vccnz .LBB23_162
.LBB23_21:
	v_mov_b32_e32 v3, s25
	v_add_co_u32_e32 v2, vcc, s24, v2
	v_mov_b32_e32 v4, 11
	v_addc_co_u32_e32 v3, vcc, 0, v3, vcc
	s_waitcnt vmcnt(0)
	v_cmp_lt_i16_sdwa s[0:1], v7, v4 src0_sel:BYTE_0 src1_sel:DWORD
	s_and_b64 vcc, exec, s[0:1]
	s_cbranch_vccnz .LBB23_29
; %bb.22:
	v_mov_b32_e32 v4, 25
	v_cmp_gt_i16_sdwa s[0:1], v7, v4 src0_sel:BYTE_0 src1_sel:DWORD
	s_and_b64 vcc, exec, s[0:1]
	s_cbranch_vccz .LBB23_39
; %bb.23:
	v_mov_b32_e32 v4, 28
	v_cmp_gt_i16_sdwa s[0:1], v7, v4 src0_sel:BYTE_0 src1_sel:DWORD
	s_and_b64 vcc, exec, s[0:1]
	s_cbranch_vccz .LBB23_42
	;; [unrolled: 5-line block ×4, first 2 shown]
; %bb.26:
	v_mov_b32_e32 v4, 46
	v_cmp_eq_u16_sdwa s[0:1], v7, v4 src0_sel:BYTE_0 src1_sel:DWORD
	s_mov_b64 s[36:37], 0
	s_and_b64 vcc, exec, s[0:1]
	s_cbranch_vccz .LBB23_163
; %bb.27:
	global_load_dword v4, v[2:3], off
	s_mov_b64 s[0:1], -1
	s_mov_b64 s[38:39], 0
	s_waitcnt vmcnt(0)
	v_lshlrev_b32_e32 v4, 16, v4
	v_cvt_f16_f32_e32 v4, v4
	s_branch .LBB23_165
.LBB23_28:
	s_mov_b64 s[40:41], 0
	s_mov_b64 s[0:1], 0
                                        ; implicit-def: $vgpr1
	s_cbranch_execnz .LBB23_80
	s_branch .LBB23_114
.LBB23_29:
	s_mov_b64 s[38:39], 0
                                        ; implicit-def: $vgpr4
	s_mov_b64 s[0:1], 0
	s_cbranch_execnz .LBB23_342
.LBB23_30:
	s_andn2_b64 vcc, exec, s[0:1]
	s_cbranch_vccnz .LBB23_390
.LBB23_31:
	v_and_b32_e32 v3, 0x7fff, v1
	s_waitcnt vmcnt(0)
	v_and_b32_e32 v1, 0xffff8000, v4
	v_or_b32_e32 v2, v1, v3
	v_mov_b32_e32 v1, s9
	v_add_co_u32_e32 v0, vcc, s8, v0
	v_mov_b32_e32 v4, 11
	v_addc_co_u32_e32 v1, vcc, 0, v1, vcc
	v_cmp_lt_i16_sdwa s[0:1], v6, v4 src0_sel:BYTE_0 src1_sel:DWORD
	s_and_b64 vcc, exec, s[0:1]
	s_cbranch_vccnz .LBB23_40
; %bb.32:
	v_mov_b32_e32 v4, 25
	v_cmp_gt_i16_sdwa s[0:1], v6, v4 src0_sel:BYTE_0 src1_sel:DWORD
	s_and_b64 vcc, exec, s[0:1]
	s_cbranch_vccz .LBB23_43
; %bb.33:
	v_mov_b32_e32 v4, 28
	v_cmp_gt_i16_sdwa s[0:1], v6, v4 src0_sel:BYTE_0 src1_sel:DWORD
	s_and_b64 vcc, exec, s[0:1]
	s_cbranch_vccz .LBB23_46
	;; [unrolled: 5-line block ×4, first 2 shown]
; %bb.36:
	v_mov_b32_e32 v4, 46
	v_cmp_eq_u16_sdwa s[36:37], v6, v4 src0_sel:BYTE_0 src1_sel:DWORD
	s_mov_b64 s[44:45], 0
	s_mov_b64 s[0:1], -1
	s_and_b64 vcc, exec, s[36:37]
	s_mov_b64 s[36:37], 0
	s_cbranch_vccz .LBB23_169
; %bb.37:
	v_cvt_f32_f16_e32 v4, v2
	s_movk_i32 s0, 0x7fff
	v_mov_b32_e32 v5, 0x7fc0
	v_cmp_o_f16_e32 vcc, v2, v2
	v_bfe_u32 v10, v4, 16, 1
	v_add3_u32 v4, v4, v10, s0
	v_lshrrev_b32_e32 v4, 16, v4
	v_cndmask_b32_e32 v4, v5, v4, vcc
	global_store_dword v[0:1], v4, off
	s_mov_b64 s[36:37], -1
	s_mov_b64 s[0:1], 0
	s_branch .LBB23_169
.LBB23_38:
	s_mov_b64 s[36:37], -1
	s_mov_b64 s[40:41], 0
	s_mov_b64 s[0:1], 0
                                        ; implicit-def: $vgpr1
	s_branch .LBB23_61
.LBB23_39:
	s_mov_b64 s[36:37], -1
	s_mov_b64 s[38:39], 0
	s_mov_b64 s[0:1], 0
                                        ; implicit-def: $vgpr4
	s_branch .LBB23_306
.LBB23_40:
	s_mov_b64 s[44:45], -1
	s_mov_b64 s[0:1], 0
	s_mov_b64 s[36:37], 0
	s_branch .LBB23_238
.LBB23_41:
	s_mov_b64 s[36:37], -1
	s_mov_b64 s[40:41], 0
	s_mov_b64 s[0:1], 0
                                        ; implicit-def: $vgpr1
	s_branch .LBB23_56
.LBB23_42:
	s_mov_b64 s[36:37], -1
	s_mov_b64 s[38:39], 0
	s_mov_b64 s[0:1], 0
                                        ; implicit-def: $vgpr4
	s_branch .LBB23_287
.LBB23_43:
	s_mov_b64 s[44:45], -1
	s_mov_b64 s[0:1], 0
	s_mov_b64 s[36:37], 0
	s_branch .LBB23_196
.LBB23_44:
	s_mov_b64 s[36:37], -1
	s_mov_b64 s[40:41], 0
	s_branch .LBB23_48
.LBB23_45:
	s_mov_b64 s[36:37], -1
	s_mov_b64 s[38:39], 0
	s_mov_b64 s[0:1], 0
                                        ; implicit-def: $vgpr4
	s_branch .LBB23_282
.LBB23_46:
	s_mov_b64 s[44:45], -1
	s_mov_b64 s[0:1], 0
	s_mov_b64 s[36:37], 0
	s_branch .LBB23_179
.LBB23_47:
	s_mov_b64 s[40:41], -1
.LBB23_48:
	s_mov_b64 s[0:1], 0
                                        ; implicit-def: $vgpr1
.LBB23_49:
	s_and_b64 vcc, exec, s[36:37]
	s_cbranch_vccz .LBB23_55
; %bb.50:
	v_mov_b32_e32 v1, 44
	v_cmp_eq_u16_sdwa s[36:37], v9, v1 src0_sel:BYTE_0 src1_sel:DWORD
	s_and_b64 vcc, exec, s[36:37]
	s_cbranch_vccz .LBB23_54
; %bb.51:
	global_load_ubyte v1, v[4:5], off
	s_movk_i32 s36, 0xff
	v_mov_b32_e32 v10, 0x7e00
	s_mov_b64 s[0:1], -1
	s_mov_b64 s[40:41], 0
	s_waitcnt vmcnt(0)
	v_lshlrev_b32_e32 v3, 23, v1
	v_cvt_f16_f32_e32 v3, v3
	v_cmp_ne_u32_e32 vcc, s36, v1
	v_cndmask_b32_e32 v3, v10, v3, vcc
	v_cmp_ne_u32_e32 vcc, 0, v1
	v_cndmask_b32_e32 v1, 0, v3, vcc
	s_branch .LBB23_55
.LBB23_52:
	s_mov_b64 s[36:37], -1
	s_mov_b64 s[38:39], 0
	s_branch .LBB23_164
.LBB23_53:
	s_mov_b64 s[44:45], -1
	s_mov_b64 s[0:1], 0
	s_mov_b64 s[36:37], 0
	s_branch .LBB23_175
.LBB23_54:
	s_mov_b64 s[40:41], -1
                                        ; implicit-def: $vgpr1
.LBB23_55:
	s_mov_b64 s[36:37], 0
.LBB23_56:
	s_and_b64 vcc, exec, s[36:37]
	s_cbranch_vccz .LBB23_60
; %bb.57:
	v_mov_b32_e32 v1, 29
	v_cmp_eq_u16_sdwa s[36:37], v9, v1 src0_sel:BYTE_0 src1_sel:DWORD
	s_and_b64 vcc, exec, s[36:37]
	s_cbranch_vccz .LBB23_59
; %bb.58:
	global_load_dwordx2 v[10:11], v[4:5], off
	s_mov_b64 s[0:1], -1
	s_mov_b64 s[40:41], 0
	s_mov_b64 s[36:37], 0
	s_waitcnt vmcnt(0)
	v_ffbh_u32_e32 v1, v11
	v_min_u32_e32 v1, 32, v1
	v_lshlrev_b64 v[10:11], v1, v[10:11]
	v_min_u32_e32 v3, 1, v10
	v_or_b32_e32 v3, v11, v3
	v_cvt_f32_u32_e32 v3, v3
	v_sub_u32_e32 v1, 32, v1
	v_ldexp_f32 v1, v3, v1
	v_cvt_f16_f32_e32 v1, v1
	s_branch .LBB23_61
.LBB23_59:
	s_mov_b64 s[40:41], -1
                                        ; implicit-def: $vgpr1
.LBB23_60:
	s_mov_b64 s[36:37], 0
.LBB23_61:
	s_and_b64 vcc, exec, s[36:37]
	s_cbranch_vccz .LBB23_79
; %bb.62:
	v_mov_b32_e32 v1, 27
	v_cmp_lt_i16_sdwa s[0:1], v9, v1 src0_sel:BYTE_0 src1_sel:DWORD
	s_and_b64 vcc, exec, s[0:1]
	s_cbranch_vccnz .LBB23_65
; %bb.63:
	v_cmp_gt_i16_sdwa s[0:1], v9, v1 src0_sel:BYTE_0 src1_sel:DWORD
	s_and_b64 vcc, exec, s[0:1]
	s_cbranch_vccz .LBB23_66
; %bb.64:
	global_load_dword v1, v[4:5], off
	s_mov_b64 s[0:1], 0
	s_waitcnt vmcnt(0)
	v_cvt_f32_u32_e32 v1, v1
	v_cvt_f16_f32_e32 v1, v1
	s_branch .LBB23_67
.LBB23_65:
	s_mov_b64 s[0:1], -1
                                        ; implicit-def: $vgpr1
	s_branch .LBB23_70
.LBB23_66:
	s_mov_b64 s[0:1], -1
                                        ; implicit-def: $vgpr1
.LBB23_67:
	s_andn2_b64 vcc, exec, s[0:1]
	s_cbranch_vccnz .LBB23_69
; %bb.68:
	global_load_ushort v1, v[4:5], off
	s_waitcnt vmcnt(0)
	v_cvt_f16_u16_e32 v1, v1
.LBB23_69:
	s_mov_b64 s[0:1], 0
.LBB23_70:
	s_andn2_b64 vcc, exec, s[0:1]
	s_cbranch_vccnz .LBB23_78
; %bb.71:
	global_load_ubyte v3, v[4:5], off
	s_movk_i32 s0, 0x7f
                                        ; implicit-def: $sgpr44
	s_waitcnt vmcnt(0)
	v_cmp_lt_i16_e32 vcc, s0, v3
	s_mov_b64 s[0:1], 0
	s_and_saveexec_b64 s[36:37], vcc
	s_xor_b64 s[36:37], exec, s[36:37]
	s_cbranch_execz .LBB23_91
; %bb.72:
	s_movk_i32 s0, 0x80
	v_cmp_eq_u16_e32 vcc, s0, v3
	s_mov_b64 s[0:1], -1
                                        ; implicit-def: $sgpr44
	s_and_saveexec_b64 s[38:39], vcc
; %bb.73:
	s_movk_i32 s44, 0x7e00
	s_xor_b64 s[0:1], exec, -1
; %bb.74:
	s_or_b64 exec, exec, s[38:39]
	s_and_b64 s[0:1], s[0:1], exec
	s_or_saveexec_b64 s[36:37], s[36:37]
	v_mov_b32_e32 v1, s44
	s_xor_b64 exec, exec, s[36:37]
	s_cbranch_execnz .LBB23_92
.LBB23_75:
	s_or_b64 exec, exec, s[36:37]
	s_and_saveexec_b64 s[36:37], s[0:1]
	s_cbranch_execz .LBB23_77
.LBB23_76:
	v_lshlrev_b32_e32 v1, 24, v3
	v_and_b32_e32 v3, 0xffff, v3
	v_and_b32_e32 v10, 7, v3
	v_ffbh_u32_e32 v12, v10
	v_min_u32_e32 v12, 32, v12
	v_subrev_u32_e32 v13, 28, v12
	v_bfe_u32 v11, v3, 3, 4
	v_lshlrev_b32_e32 v3, v13, v3
	v_sub_u32_e32 v12, 29, v12
	v_and_b32_e32 v3, 7, v3
	v_cmp_eq_u32_e32 vcc, 0, v11
	v_cndmask_b32_e32 v11, v11, v12, vcc
	v_cndmask_b32_e32 v3, v10, v3, vcc
	v_mov_b32_e32 v10, 0x3b800000
	v_lshlrev_b32_e32 v3, 20, v3
	v_and_b32_e32 v1, 0x80000000, v1
	v_lshl_add_u32 v10, v11, 23, v10
	v_or3_b32 v1, v1, v10, v3
	v_cvt_f16_f32_e32 v1, v1
.LBB23_77:
	s_or_b64 exec, exec, s[36:37]
.LBB23_78:
	s_mov_b64 s[0:1], -1
.LBB23_79:
	s_branch .LBB23_114
.LBB23_80:
	v_mov_b32_e32 v1, 22
	v_cmp_gt_i16_sdwa s[36:37], v9, v1 src0_sel:BYTE_0 src1_sel:DWORD
	s_and_b64 vcc, exec, s[36:37]
	s_cbranch_vccz .LBB23_90
; %bb.81:
	v_mov_b32_e32 v1, 24
	v_cmp_lt_i16_sdwa s[0:1], v9, v1 src0_sel:BYTE_0 src1_sel:DWORD
	s_and_b64 vcc, exec, s[0:1]
	s_cbranch_vccnz .LBB23_93
; %bb.82:
	v_cmp_gt_i16_sdwa s[0:1], v9, v1 src0_sel:BYTE_0 src1_sel:DWORD
	s_and_b64 vcc, exec, s[0:1]
	s_cbranch_vccz .LBB23_94
; %bb.83:
	global_load_ubyte v3, v[4:5], off
	s_movk_i32 s0, 0x7f
                                        ; implicit-def: $sgpr44
	s_waitcnt vmcnt(0)
	v_cmp_lt_i16_e32 vcc, s0, v3
	s_mov_b64 s[0:1], 0
	s_and_saveexec_b64 s[36:37], vcc
	s_xor_b64 s[36:37], exec, s[36:37]
	s_cbranch_execz .LBB23_106
; %bb.84:
	s_movk_i32 s0, 0x80
	v_cmp_eq_u16_e32 vcc, s0, v3
	s_mov_b64 s[0:1], -1
                                        ; implicit-def: $sgpr44
	s_and_saveexec_b64 s[38:39], vcc
; %bb.85:
	s_movk_i32 s44, 0x7e00
	s_xor_b64 s[0:1], exec, -1
; %bb.86:
	s_or_b64 exec, exec, s[38:39]
	s_and_b64 s[0:1], s[0:1], exec
	s_or_saveexec_b64 s[36:37], s[36:37]
	v_mov_b32_e32 v1, s44
	s_xor_b64 exec, exec, s[36:37]
	s_cbranch_execnz .LBB23_107
.LBB23_87:
	s_or_b64 exec, exec, s[36:37]
	s_and_saveexec_b64 s[36:37], s[0:1]
	s_cbranch_execz .LBB23_89
.LBB23_88:
	v_lshlrev_b32_e32 v1, 24, v3
	v_and_b32_e32 v3, 0xffff, v3
	v_and_b32_e32 v10, 3, v3
	v_ffbh_u32_e32 v12, v10
	v_min_u32_e32 v12, 32, v12
	v_subrev_u32_e32 v13, 29, v12
	v_bfe_u32 v11, v3, 2, 5
	v_lshlrev_b32_e32 v3, v13, v3
	v_sub_u32_e32 v12, 30, v12
	v_and_b32_e32 v3, 3, v3
	v_cmp_eq_u32_e32 vcc, 0, v11
	v_cndmask_b32_e32 v11, v11, v12, vcc
	v_cndmask_b32_e32 v3, v10, v3, vcc
	v_mov_b32_e32 v10, 0x37800000
	v_lshlrev_b32_e32 v3, 21, v3
	v_and_b32_e32 v1, 0x80000000, v1
	v_lshl_add_u32 v10, v11, 23, v10
	v_or3_b32 v1, v1, v10, v3
	v_cvt_f16_f32_e32 v1, v1
.LBB23_89:
	s_or_b64 exec, exec, s[36:37]
	s_mov_b64 s[0:1], 0
	s_branch .LBB23_95
.LBB23_90:
	s_mov_b64 s[36:37], -1
                                        ; implicit-def: $vgpr1
	s_branch .LBB23_101
.LBB23_91:
	s_or_saveexec_b64 s[36:37], s[36:37]
	v_mov_b32_e32 v1, s44
	s_xor_b64 exec, exec, s[36:37]
	s_cbranch_execz .LBB23_75
.LBB23_92:
	v_cmp_ne_u16_e32 vcc, 0, v3
	s_andn2_b64 s[0:1], s[0:1], exec
	s_and_b64 s[38:39], vcc, exec
	s_or_b64 s[0:1], s[0:1], s[38:39]
	v_mov_b32_e32 v1, v3
	s_or_b64 exec, exec, s[36:37]
	s_and_saveexec_b64 s[36:37], s[0:1]
	s_cbranch_execnz .LBB23_76
	s_branch .LBB23_77
.LBB23_93:
	s_mov_b64 s[0:1], -1
                                        ; implicit-def: $vgpr1
	s_branch .LBB23_98
.LBB23_94:
	s_mov_b64 s[0:1], -1
                                        ; implicit-def: $vgpr1
.LBB23_95:
	s_and_b64 vcc, exec, s[0:1]
	s_cbranch_vccz .LBB23_97
; %bb.96:
	global_load_ubyte v1, v[4:5], off
	s_mov_b32 s0, 0x7f800000
	s_waitcnt vmcnt(0)
	v_lshlrev_b32_e32 v1, 24, v1
	v_and_b32_e32 v3, 0x7f000000, v1
	v_ffbh_u32_e32 v10, v3
	v_min_u32_e32 v10, 32, v10
	v_sub_u32_e64 v10, v10, 4 clamp
	v_lshlrev_b32_e32 v12, v10, v3
	v_lshlrev_b32_e32 v10, 23, v10
	v_lshrrev_b32_e32 v12, 4, v12
	v_add_u32_e32 v11, 0x1000000, v3
	v_sub_u32_e32 v10, v12, v10
	v_ashrrev_i32_e32 v11, 8, v11
	v_add_u32_e32 v10, 0x3c000000, v10
	v_and_or_b32 v10, v11, s0, v10
	v_cmp_ne_u32_e32 vcc, 0, v3
	v_cndmask_b32_e32 v3, 0, v10, vcc
	s_brev_b32 s0, 1
	v_and_or_b32 v1, v1, s0, v3
	v_cvt_f16_f32_e32 v1, v1
.LBB23_97:
	s_mov_b64 s[0:1], 0
.LBB23_98:
	s_andn2_b64 vcc, exec, s[0:1]
	s_cbranch_vccnz .LBB23_100
; %bb.99:
	global_load_ubyte v1, v[4:5], off
	s_movk_i32 s0, 0x7f00
	s_brev_b32 s1, 16
	s_waitcnt vmcnt(0)
	v_lshlrev_b16_e32 v3, 8, v1
	v_lshlrev_b32_e32 v1, 25, v1
	v_lshrrev_b32_e32 v10, 4, v1
	v_and_or_b32 v11, v3, s0, 0.5
	v_or_b32_e32 v10, 0x70000000, v10
	v_add_f32_e32 v11, -0.5, v11
	v_mul_f32_e32 v10, 0x7800000, v10
	v_cmp_gt_u32_e32 vcc, s1, v1
	v_bfe_i32 v3, v3, 0, 16
	v_cndmask_b32_e32 v1, v10, v11, vcc
	s_brev_b32 s0, 1
	v_and_or_b32 v1, v3, s0, v1
	v_cvt_f16_f32_e32 v1, v1
.LBB23_100:
	s_mov_b64 s[36:37], 0
	s_mov_b64 s[0:1], -1
.LBB23_101:
	s_andn2_b64 vcc, exec, s[36:37]
	s_cbranch_vccnz .LBB23_114
; %bb.102:
	v_mov_b32_e32 v1, 14
	v_cmp_gt_i16_sdwa s[36:37], v9, v1 src0_sel:BYTE_0 src1_sel:DWORD
	s_and_b64 vcc, exec, s[36:37]
	s_cbranch_vccz .LBB23_105
; %bb.103:
	v_mov_b32_e32 v1, 15
	v_cmp_eq_u16_sdwa s[36:37], v9, v1 src0_sel:BYTE_0 src1_sel:DWORD
	s_and_b64 vcc, exec, s[36:37]
	s_cbranch_vccz .LBB23_108
; %bb.104:
	global_load_ushort v1, v[4:5], off
	s_mov_b64 s[0:1], -1
	s_mov_b64 s[40:41], 0
	s_waitcnt vmcnt(0)
	v_lshlrev_b32_e32 v1, 16, v1
	v_cvt_f16_f32_e32 v1, v1
	s_branch .LBB23_109
.LBB23_105:
	s_mov_b64 s[36:37], -1
                                        ; implicit-def: $vgpr1
	s_branch .LBB23_110
.LBB23_106:
	s_or_saveexec_b64 s[36:37], s[36:37]
	v_mov_b32_e32 v1, s44
	s_xor_b64 exec, exec, s[36:37]
	s_cbranch_execz .LBB23_87
.LBB23_107:
	v_cmp_ne_u16_e32 vcc, 0, v3
	s_andn2_b64 s[0:1], s[0:1], exec
	s_and_b64 s[38:39], vcc, exec
	s_or_b64 s[0:1], s[0:1], s[38:39]
	v_mov_b32_e32 v1, v3
	s_or_b64 exec, exec, s[36:37]
	s_and_saveexec_b64 s[36:37], s[0:1]
	s_cbranch_execnz .LBB23_88
	s_branch .LBB23_89
.LBB23_108:
	s_mov_b64 s[40:41], -1
                                        ; implicit-def: $vgpr1
.LBB23_109:
	s_mov_b64 s[36:37], 0
.LBB23_110:
	s_and_b64 vcc, exec, s[36:37]
	s_cbranch_vccz .LBB23_114
; %bb.111:
	v_mov_b32_e32 v1, 11
	v_cmp_eq_u16_sdwa s[36:37], v9, v1 src0_sel:BYTE_0 src1_sel:DWORD
	s_and_b64 vcc, exec, s[36:37]
	s_cbranch_vccz .LBB23_113
; %bb.112:
	global_load_ubyte v1, v[4:5], off
	v_mov_b32_e32 v3, 0x3c00
	s_mov_b64 s[0:1], -1
	s_mov_b64 s[40:41], 0
	s_waitcnt vmcnt(0)
	v_cmp_ne_u16_e32 vcc, 0, v1
	v_cndmask_b32_e32 v1, 0, v3, vcc
	s_branch .LBB23_114
.LBB23_113:
	s_mov_b64 s[40:41], -1
                                        ; implicit-def: $vgpr1
.LBB23_114:
	s_branch .LBB23_20
.LBB23_115:
	v_mov_b32_e32 v1, 5
	v_cmp_lt_i16_sdwa s[0:1], v9, v1 src0_sel:BYTE_0 src1_sel:DWORD
	s_and_b64 vcc, exec, s[0:1]
	s_cbranch_vccnz .LBB23_120
; %bb.116:
	v_mov_b32_e32 v1, 8
	v_cmp_lt_i16_sdwa s[0:1], v9, v1 src0_sel:BYTE_0 src1_sel:DWORD
	s_and_b64 vcc, exec, s[0:1]
	s_cbranch_vccnz .LBB23_121
; %bb.117:
	;; [unrolled: 5-line block ×3, first 2 shown]
	v_cmp_gt_i16_sdwa s[0:1], v9, v1 src0_sel:BYTE_0 src1_sel:DWORD
	s_and_b64 vcc, exec, s[0:1]
	s_cbranch_vccz .LBB23_123
; %bb.119:
	global_load_dwordx2 v[10:11], v[4:5], off
	s_mov_b64 s[0:1], 0
	s_waitcnt vmcnt(0)
	v_cvt_f32_f64_e32 v1, v[10:11]
	v_cvt_f16_f32_e32 v1, v1
	s_branch .LBB23_124
.LBB23_120:
                                        ; implicit-def: $vgpr1
	s_branch .LBB23_142
.LBB23_121:
	s_mov_b64 s[0:1], -1
                                        ; implicit-def: $vgpr1
	s_branch .LBB23_130
.LBB23_122:
	s_mov_b64 s[0:1], -1
                                        ; implicit-def: $vgpr1
	s_branch .LBB23_127
.LBB23_123:
	s_mov_b64 s[0:1], -1
                                        ; implicit-def: $vgpr1
.LBB23_124:
	s_andn2_b64 vcc, exec, s[0:1]
	s_cbranch_vccnz .LBB23_126
; %bb.125:
	global_load_dword v1, v[4:5], off
	s_waitcnt vmcnt(0)
	v_cvt_f16_f32_e32 v1, v1
.LBB23_126:
	s_mov_b64 s[0:1], 0
.LBB23_127:
	s_andn2_b64 vcc, exec, s[0:1]
	s_cbranch_vccnz .LBB23_129
; %bb.128:
	global_load_dword v1, v[4:5], off
.LBB23_129:
	s_mov_b64 s[0:1], 0
.LBB23_130:
	s_andn2_b64 vcc, exec, s[0:1]
	s_cbranch_vccnz .LBB23_141
; %bb.131:
	s_waitcnt vmcnt(0)
	v_mov_b32_e32 v1, 6
	v_cmp_lt_i16_sdwa s[0:1], v9, v1 src0_sel:BYTE_0 src1_sel:DWORD
	s_and_b64 vcc, exec, s[0:1]
	s_cbranch_vccnz .LBB23_134
; %bb.132:
	v_cmp_gt_i16_sdwa s[0:1], v9, v1 src0_sel:BYTE_0 src1_sel:DWORD
	s_and_b64 vcc, exec, s[0:1]
	s_cbranch_vccz .LBB23_135
; %bb.133:
	global_load_dwordx2 v[10:11], v[4:5], off
	s_mov_b64 s[0:1], 0
	s_waitcnt vmcnt(0)
	v_cvt_f32_f64_e32 v1, v[10:11]
	v_cvt_f16_f32_e32 v1, v1
	s_branch .LBB23_136
.LBB23_134:
	s_mov_b64 s[0:1], -1
                                        ; implicit-def: $vgpr1
	s_branch .LBB23_139
.LBB23_135:
	s_mov_b64 s[0:1], -1
                                        ; implicit-def: $vgpr1
.LBB23_136:
	s_andn2_b64 vcc, exec, s[0:1]
	s_cbranch_vccnz .LBB23_138
; %bb.137:
	global_load_dword v1, v[4:5], off
	s_waitcnt vmcnt(0)
	v_cvt_f16_f32_e32 v1, v1
.LBB23_138:
	s_mov_b64 s[0:1], 0
.LBB23_139:
	s_andn2_b64 vcc, exec, s[0:1]
	s_cbranch_vccnz .LBB23_141
; %bb.140:
	global_load_ushort v1, v[4:5], off
.LBB23_141:
	s_cbranch_execnz .LBB23_161
.LBB23_142:
	s_waitcnt vmcnt(0)
	v_mov_b32_e32 v1, 2
	v_cmp_lt_i16_sdwa s[0:1], v9, v1 src0_sel:BYTE_0 src1_sel:DWORD
	s_and_b64 vcc, exec, s[0:1]
	s_cbranch_vccnz .LBB23_146
; %bb.143:
	v_mov_b32_e32 v1, 3
	v_cmp_lt_i16_sdwa s[0:1], v9, v1 src0_sel:BYTE_0 src1_sel:DWORD
	s_and_b64 vcc, exec, s[0:1]
	s_cbranch_vccnz .LBB23_147
; %bb.144:
	v_cmp_gt_i16_sdwa s[0:1], v9, v1 src0_sel:BYTE_0 src1_sel:DWORD
	s_and_b64 vcc, exec, s[0:1]
	s_cbranch_vccz .LBB23_148
; %bb.145:
	global_load_dwordx2 v[10:11], v[4:5], off
	s_mov_b64 s[0:1], 0
	s_waitcnt vmcnt(0)
	v_xor_b32_e32 v3, v10, v11
	v_ffbh_i32_e32 v1, v11
	v_ashrrev_i32_e32 v3, 31, v3
	v_add_u32_e32 v1, -1, v1
	v_add_u32_e32 v3, 32, v3
	v_min_u32_e32 v1, v1, v3
	v_lshlrev_b64 v[10:11], v1, v[10:11]
	v_min_u32_e32 v3, 1, v10
	v_or_b32_e32 v3, v11, v3
	v_cvt_f32_i32_e32 v3, v3
	v_sub_u32_e32 v1, 32, v1
	v_ldexp_f32 v1, v3, v1
	v_cvt_f16_f32_e32 v1, v1
	s_branch .LBB23_149
.LBB23_146:
	s_mov_b64 s[0:1], -1
                                        ; implicit-def: $vgpr1
	s_branch .LBB23_155
.LBB23_147:
	s_mov_b64 s[0:1], -1
                                        ; implicit-def: $vgpr1
	s_branch .LBB23_152
.LBB23_148:
	s_mov_b64 s[0:1], -1
                                        ; implicit-def: $vgpr1
.LBB23_149:
	s_andn2_b64 vcc, exec, s[0:1]
	s_cbranch_vccnz .LBB23_151
; %bb.150:
	global_load_dword v1, v[4:5], off
	s_waitcnt vmcnt(0)
	v_cvt_f32_i32_e32 v1, v1
	v_cvt_f16_f32_e32 v1, v1
.LBB23_151:
	s_mov_b64 s[0:1], 0
.LBB23_152:
	s_andn2_b64 vcc, exec, s[0:1]
	s_cbranch_vccnz .LBB23_154
; %bb.153:
	global_load_ushort v1, v[4:5], off
	s_waitcnt vmcnt(0)
	v_cvt_f16_i16_e32 v1, v1
.LBB23_154:
	s_mov_b64 s[0:1], 0
.LBB23_155:
	s_andn2_b64 vcc, exec, s[0:1]
	s_cbranch_vccnz .LBB23_161
; %bb.156:
	v_mov_b32_e32 v1, 0
	v_cmp_gt_i16_sdwa s[0:1], v9, v1 src0_sel:BYTE_0 src1_sel:DWORD
	s_and_b64 vcc, exec, s[0:1]
	s_cbranch_vccz .LBB23_158
; %bb.157:
	global_load_sbyte v1, v[4:5], off
	s_mov_b64 s[0:1], 0
	s_waitcnt vmcnt(0)
	v_cvt_f16_i16_e32 v1, v1
	s_branch .LBB23_159
.LBB23_158:
	s_mov_b64 s[0:1], -1
                                        ; implicit-def: $vgpr1
.LBB23_159:
	s_andn2_b64 vcc, exec, s[0:1]
	s_cbranch_vccnz .LBB23_161
; %bb.160:
	global_load_ubyte v1, v[4:5], off
	s_waitcnt vmcnt(0)
	v_cvt_f16_u16_e32 v1, v1
.LBB23_161:
	s_branch .LBB23_21
.LBB23_162:
	s_mov_b64 s[0:1], 0
	s_mov_b64 s[38:39], 0
	s_branch .LBB23_391
.LBB23_163:
	s_mov_b64 s[38:39], -1
.LBB23_164:
	s_mov_b64 s[0:1], 0
                                        ; implicit-def: $vgpr4
.LBB23_165:
	s_and_b64 vcc, exec, s[36:37]
	s_cbranch_vccz .LBB23_281
; %bb.166:
	v_mov_b32_e32 v4, 44
	v_cmp_eq_u16_sdwa s[36:37], v7, v4 src0_sel:BYTE_0 src1_sel:DWORD
	s_and_b64 vcc, exec, s[36:37]
	s_cbranch_vccz .LBB23_280
; %bb.167:
	global_load_ubyte v4, v[2:3], off
	s_movk_i32 s36, 0xff
	v_mov_b32_e32 v10, 0x7e00
	s_mov_b64 s[0:1], -1
	s_mov_b64 s[38:39], 0
	s_waitcnt vmcnt(0)
	v_lshlrev_b32_e32 v5, 23, v4
	v_cvt_f16_f32_e32 v5, v5
	v_cmp_ne_u32_e32 vcc, s36, v4
	v_cndmask_b32_e32 v5, v10, v5, vcc
	v_cmp_ne_u32_e32 vcc, 0, v4
	v_cndmask_b32_e32 v4, 0, v5, vcc
	s_branch .LBB23_281
.LBB23_168:
	s_mov_b64 s[44:45], -1
	s_mov_b64 s[0:1], 0
	s_mov_b64 s[36:37], 0
.LBB23_169:
	s_and_b64 vcc, exec, s[44:45]
	s_cbranch_vccz .LBB23_174
; %bb.170:
	v_mov_b32_e32 v4, 44
	v_cmp_eq_u16_sdwa s[44:45], v6, v4 src0_sel:BYTE_0 src1_sel:DWORD
	s_mov_b64 s[0:1], -1
	s_and_b64 vcc, exec, s[44:45]
	s_cbranch_vccz .LBB23_174
; %bb.171:
	v_cvt_f32_f16_e32 v4, v2
	s_movk_i32 s0, 0xff
	v_mov_b32_e32 v10, 0xff
	v_bfe_u32 v5, v4, 23, 8
	v_cmp_ne_u32_e32 vcc, s0, v5
	s_and_saveexec_b64 s[36:37], vcc
; %bb.172:
	s_mov_b32 s0, 0x3fffff
	v_lshrrev_b32_e32 v10, 23, v4
	v_and_b32_e32 v11, 0x400000, v4
	v_and_or_b32 v4, v4, s0, v5
	v_cmp_ne_u32_e32 vcc, 0, v11
	v_cmp_ne_u32_e64 s[0:1], 0, v4
	s_and_b64 s[0:1], vcc, s[0:1]
	v_cndmask_b32_e64 v4, 0, 1, s[0:1]
	v_add_u32_e32 v10, v10, v4
; %bb.173:
	s_or_b64 exec, exec, s[36:37]
	s_mov_b64 s[36:37], -1
	s_mov_b64 s[0:1], 0
	global_store_byte v[0:1], v10, off
.LBB23_174:
	s_mov_b64 s[44:45], 0
.LBB23_175:
	s_and_b64 vcc, exec, s[44:45]
	s_cbranch_vccz .LBB23_178
; %bb.176:
	v_mov_b32_e32 v4, 29
	v_cmp_eq_u16_sdwa s[44:45], v6, v4 src0_sel:BYTE_0 src1_sel:DWORD
	s_mov_b64 s[0:1], -1
	s_and_b64 vcc, exec, s[44:45]
	s_cbranch_vccz .LBB23_178
; %bb.177:
	v_cvt_f32_f16_e32 v4, v2
	v_mov_b32_e32 v5, 0
	s_mov_b64 s[36:37], -1
	s_mov_b64 s[0:1], 0
	v_cvt_u32_f32_e32 v4, v4
	s_mov_b64 s[44:45], 0
	global_store_dwordx2 v[0:1], v[4:5], off
	s_branch .LBB23_179
.LBB23_178:
	s_mov_b64 s[44:45], 0
.LBB23_179:
	s_and_b64 vcc, exec, s[44:45]
	s_cbranch_vccz .LBB23_195
; %bb.180:
	v_mov_b32_e32 v4, 27
	v_cmp_lt_i16_sdwa s[44:45], v6, v4 src0_sel:BYTE_0 src1_sel:DWORD
	s_mov_b64 s[36:37], -1
	s_and_b64 vcc, exec, s[44:45]
	s_cbranch_vccnz .LBB23_186
; %bb.181:
	v_cmp_gt_i16_sdwa s[44:45], v6, v4 src0_sel:BYTE_0 src1_sel:DWORD
	s_and_b64 vcc, exec, s[44:45]
	s_cbranch_vccz .LBB23_183
; %bb.182:
	v_cvt_f32_f16_e32 v4, v2
	s_mov_b64 s[36:37], 0
	v_cvt_u32_f32_e32 v4, v4
	global_store_dword v[0:1], v4, off
.LBB23_183:
	s_andn2_b64 vcc, exec, s[36:37]
	s_cbranch_vccnz .LBB23_185
; %bb.184:
	v_cvt_u16_f16_e32 v4, v2
	global_store_short v[0:1], v4, off
.LBB23_185:
	s_mov_b64 s[36:37], 0
.LBB23_186:
	s_andn2_b64 vcc, exec, s[36:37]
	s_cbranch_vccnz .LBB23_194
; %bb.187:
	v_cvt_f32_f16_e32 v4, v2
	s_mov_b32 s36, 0x43800000
	v_mov_b32_e32 v10, 0x80
	v_and_b32_e32 v5, 0x7fffffff, v4
	v_cmp_gt_u32_e32 vcc, s36, v5
	s_and_saveexec_b64 s[36:37], vcc
	s_cbranch_execz .LBB23_193
; %bb.188:
	s_mov_b32 s44, 0x3bffffff
	v_cmp_lt_u32_e32 vcc, s44, v5
	s_mov_b64 s[44:45], 0
                                        ; implicit-def: $vgpr5
	s_and_saveexec_b64 s[48:49], vcc
	s_xor_b64 s[48:49], exec, s[48:49]
	s_cbranch_execz .LBB23_432
; %bb.189:
	v_bfe_u32 v5, v4, 20, 1
	s_mov_b32 s50, 0x487ffff
	v_add3_u32 v5, v4, v5, s50
	s_mov_b64 s[44:45], exec
	v_lshrrev_b32_e32 v5, 20, v5
	s_or_saveexec_b64 s[48:49], s[48:49]
                                        ; implicit-def: $sgpr50
	s_xor_b64 exec, exec, s[48:49]
	s_cbranch_execnz .LBB23_433
.LBB23_190:
	s_or_b64 exec, exec, s[48:49]
	v_mov_b32_e32 v10, s50
	s_and_saveexec_b64 s[48:49], s[44:45]
.LBB23_191:
	v_lshrrev_b32_e32 v4, 24, v4
	s_movk_i32 s44, 0x80
	v_and_or_b32 v10, v4, s44, v5
.LBB23_192:
	s_or_b64 exec, exec, s[48:49]
.LBB23_193:
	s_or_b64 exec, exec, s[36:37]
	global_store_byte v[0:1], v10, off
.LBB23_194:
	s_mov_b64 s[36:37], -1
.LBB23_195:
	s_mov_b64 s[44:45], 0
.LBB23_196:
	s_and_b64 vcc, exec, s[44:45]
	s_cbranch_vccz .LBB23_237
; %bb.197:
	v_mov_b32_e32 v4, 22
	v_cmp_gt_i16_sdwa s[48:49], v6, v4 src0_sel:BYTE_0 src1_sel:DWORD
	s_mov_b64 s[44:45], -1
	s_and_b64 vcc, exec, s[48:49]
	s_cbranch_vccz .LBB23_229
; %bb.198:
	v_mov_b32_e32 v4, 24
	v_cmp_lt_i16_sdwa s[44:45], v6, v4 src0_sel:BYTE_0 src1_sel:DWORD
	s_mov_b64 s[36:37], -1
	s_and_b64 vcc, exec, s[44:45]
	s_cbranch_vccnz .LBB23_218
; %bb.199:
	v_cmp_gt_i16_sdwa s[44:45], v6, v4 src0_sel:BYTE_0 src1_sel:DWORD
	s_and_b64 vcc, exec, s[44:45]
	s_cbranch_vccz .LBB23_207
; %bb.200:
	v_cvt_f32_f16_e32 v4, v2
	s_mov_b32 s36, 0x47800000
	v_mov_b32_e32 v10, 0x80
	v_and_b32_e32 v5, 0x7fffffff, v4
	v_cmp_gt_u32_e32 vcc, s36, v5
	s_and_saveexec_b64 s[36:37], vcc
	s_cbranch_execz .LBB23_206
; %bb.201:
	s_mov_b32 s44, 0x37ffffff
	v_cmp_lt_u32_e32 vcc, s44, v5
	s_mov_b64 s[44:45], 0
                                        ; implicit-def: $vgpr5
	s_and_saveexec_b64 s[48:49], vcc
	s_xor_b64 s[48:49], exec, s[48:49]
	s_cbranch_execz .LBB23_551
; %bb.202:
	v_bfe_u32 v5, v4, 21, 1
	s_mov_b32 s50, 0x88fffff
	v_add3_u32 v5, v4, v5, s50
	s_mov_b64 s[44:45], exec
	v_lshrrev_b32_e32 v5, 21, v5
	s_or_saveexec_b64 s[48:49], s[48:49]
                                        ; implicit-def: $sgpr50
	s_xor_b64 exec, exec, s[48:49]
	s_cbranch_execnz .LBB23_552
.LBB23_203:
	s_or_b64 exec, exec, s[48:49]
	v_mov_b32_e32 v10, s50
	s_and_saveexec_b64 s[48:49], s[44:45]
.LBB23_204:
	v_lshrrev_b32_e32 v4, 24, v4
	s_movk_i32 s44, 0x80
	v_and_or_b32 v10, v4, s44, v5
.LBB23_205:
	s_or_b64 exec, exec, s[48:49]
.LBB23_206:
	s_or_b64 exec, exec, s[36:37]
	s_mov_b64 s[36:37], 0
	global_store_byte v[0:1], v10, off
.LBB23_207:
	s_and_b64 vcc, exec, s[36:37]
	s_cbranch_vccz .LBB23_217
; %bb.208:
	v_cvt_f32_f16_e32 v4, v2
	s_mov_b32 s36, 0x43f00000
                                        ; implicit-def: $vgpr5
	v_and_b32_e32 v10, 0x7fffffff, v4
	v_cmp_gt_u32_e32 vcc, s36, v10
	s_and_saveexec_b64 s[36:37], vcc
	s_xor_b64 s[36:37], exec, s[36:37]
	s_cbranch_execz .LBB23_214
; %bb.209:
	s_mov_b32 s44, 0x3c7fffff
	v_cmp_lt_u32_e32 vcc, s44, v10
                                        ; implicit-def: $vgpr5
	s_and_saveexec_b64 s[44:45], vcc
	s_xor_b64 s[44:45], exec, s[44:45]
; %bb.210:
	v_bfe_u32 v5, v4, 20, 1
	s_mov_b32 s48, 0x407ffff
	v_add3_u32 v5, v4, v5, s48
	v_lshrrev_b32_e32 v10, 20, v5
	v_and_b32_e32 v5, 0xff00000, v5
	s_mov_b32 s48, 0x7f00000
	v_mov_b32_e32 v11, 0x7e
	v_cmp_ne_u32_e32 vcc, s48, v5
	v_cndmask_b32_e32 v5, v11, v10, vcc
; %bb.211:
	s_andn2_saveexec_b64 s[44:45], s[44:45]
; %bb.212:
	s_mov_b32 s48, 0x46800000
	v_add_f32_e64 v5, |v4|, s48
; %bb.213:
	s_or_b64 exec, exec, s[44:45]
                                        ; implicit-def: $vgpr10
.LBB23_214:
	s_andn2_saveexec_b64 s[36:37], s[36:37]
; %bb.215:
	s_mov_b32 s44, 0x7f800000
	v_mov_b32_e32 v5, 0x7e
	v_mov_b32_e32 v11, 0x7f
	v_cmp_lt_u32_e32 vcc, s44, v10
	v_cndmask_b32_e32 v5, v5, v11, vcc
; %bb.216:
	s_or_b64 exec, exec, s[36:37]
	v_lshrrev_b32_e32 v4, 24, v4
	s_movk_i32 s36, 0x80
	v_and_or_b32 v4, v4, s36, v5
	global_store_byte v[0:1], v4, off
.LBB23_217:
	s_mov_b64 s[36:37], 0
.LBB23_218:
	s_andn2_b64 vcc, exec, s[36:37]
	s_cbranch_vccnz .LBB23_228
; %bb.219:
	v_cvt_f32_f16_e32 v4, v2
	s_mov_b32 s36, 0x47800000
                                        ; implicit-def: $vgpr5
	v_and_b32_e32 v10, 0x7fffffff, v4
	v_cmp_gt_u32_e32 vcc, s36, v10
	s_and_saveexec_b64 s[36:37], vcc
	s_xor_b64 s[36:37], exec, s[36:37]
	s_cbranch_execz .LBB23_225
; %bb.220:
	s_mov_b32 s44, 0x387fffff
	v_cmp_lt_u32_e32 vcc, s44, v10
                                        ; implicit-def: $vgpr5
	s_and_saveexec_b64 s[44:45], vcc
	s_xor_b64 s[44:45], exec, s[44:45]
; %bb.221:
	v_bfe_u32 v5, v4, 21, 1
	s_mov_b32 s48, 0x80fffff
	v_add3_u32 v5, v4, v5, s48
	v_lshrrev_b32_e32 v5, 21, v5
; %bb.222:
	s_andn2_saveexec_b64 s[44:45], s[44:45]
; %bb.223:
	s_mov_b32 s48, 0x43000000
	v_add_f32_e64 v5, |v4|, s48
; %bb.224:
	s_or_b64 exec, exec, s[44:45]
                                        ; implicit-def: $vgpr10
.LBB23_225:
	s_andn2_saveexec_b64 s[36:37], s[36:37]
; %bb.226:
	s_mov_b32 s44, 0x7f800000
	v_mov_b32_e32 v5, 0x7c
	v_mov_b32_e32 v11, 0x7f
	v_cmp_lt_u32_e32 vcc, s44, v10
	v_cndmask_b32_e32 v5, v5, v11, vcc
; %bb.227:
	s_or_b64 exec, exec, s[36:37]
	v_lshrrev_b32_e32 v4, 24, v4
	s_movk_i32 s36, 0x80
	v_and_or_b32 v4, v4, s36, v5
	global_store_byte v[0:1], v4, off
.LBB23_228:
	s_mov_b64 s[44:45], 0
	s_mov_b64 s[36:37], -1
.LBB23_229:
	s_andn2_b64 vcc, exec, s[44:45]
	s_cbranch_vccnz .LBB23_237
; %bb.230:
	v_mov_b32_e32 v4, 14
	v_cmp_gt_i16_sdwa s[48:49], v6, v4 src0_sel:BYTE_0 src1_sel:DWORD
	s_mov_b64 s[44:45], -1
	s_and_b64 vcc, exec, s[48:49]
	s_cbranch_vccz .LBB23_234
; %bb.231:
	v_mov_b32_e32 v4, 15
	v_cmp_eq_u16_sdwa s[44:45], v6, v4 src0_sel:BYTE_0 src1_sel:DWORD
	s_mov_b64 s[0:1], -1
	s_and_b64 vcc, exec, s[44:45]
	s_cbranch_vccz .LBB23_233
; %bb.232:
	v_cvt_f32_f16_e32 v4, v2
	s_movk_i32 s0, 0x7fff
	v_mov_b32_e32 v5, 0x7fc0
	v_cmp_o_f16_e32 vcc, v2, v2
	v_bfe_u32 v10, v4, 16, 1
	v_add3_u32 v4, v4, v10, s0
	v_lshrrev_b32_e32 v4, 16, v4
	v_cndmask_b32_e32 v4, v5, v4, vcc
	global_store_short v[0:1], v4, off
	s_mov_b64 s[36:37], -1
	s_mov_b64 s[0:1], 0
.LBB23_233:
	s_mov_b64 s[44:45], 0
.LBB23_234:
	s_and_b64 vcc, exec, s[44:45]
	s_cbranch_vccz .LBB23_237
; %bb.235:
	v_mov_b32_e32 v4, 11
	v_cmp_eq_u16_sdwa s[44:45], v6, v4 src0_sel:BYTE_0 src1_sel:DWORD
	s_mov_b64 s[0:1], -1
	s_and_b64 vcc, exec, s[44:45]
	s_cbranch_vccz .LBB23_237
; %bb.236:
	v_cmp_ne_u16_e32 vcc, 0, v3
	v_cndmask_b32_e64 v3, 0, 1, vcc
	s_mov_b64 s[36:37], -1
	s_mov_b64 s[0:1], 0
	global_store_byte v[0:1], v3, off
.LBB23_237:
	s_mov_b64 s[44:45], 0
.LBB23_238:
	s_and_b64 vcc, exec, s[44:45]
	s_cbranch_vccz .LBB23_277
; %bb.239:
	v_mov_b32_e32 v3, 5
	v_cmp_lt_i16_sdwa s[44:45], v6, v3 src0_sel:BYTE_0 src1_sel:DWORD
	s_mov_b64 s[36:37], -1
	s_and_b64 vcc, exec, s[44:45]
	s_cbranch_vccnz .LBB23_260
; %bb.240:
	v_mov_b32_e32 v3, 8
	v_cmp_lt_i16_sdwa s[44:45], v6, v3 src0_sel:BYTE_0 src1_sel:DWORD
	s_and_b64 vcc, exec, s[44:45]
	s_cbranch_vccnz .LBB23_250
; %bb.241:
	v_mov_b32_e32 v3, 9
	v_cmp_lt_i16_sdwa s[44:45], v6, v3 src0_sel:BYTE_0 src1_sel:DWORD
	s_and_b64 vcc, exec, s[44:45]
	s_cbranch_vccnz .LBB23_247
; %bb.242:
	v_cmp_gt_i16_sdwa s[44:45], v6, v3 src0_sel:BYTE_0 src1_sel:DWORD
	s_and_b64 vcc, exec, s[44:45]
	s_cbranch_vccz .LBB23_244
; %bb.243:
	v_cvt_f32_f16_e32 v3, v2
	v_mov_b32_e32 v12, 0
	v_mov_b32_e32 v13, v12
	s_mov_b64 s[36:37], 0
	v_cvt_f64_f32_e32 v[10:11], v3
	global_store_dwordx4 v[0:1], v[10:13], off
.LBB23_244:
	s_andn2_b64 vcc, exec, s[36:37]
	s_cbranch_vccnz .LBB23_246
; %bb.245:
	v_cvt_f32_f16_e32 v4, v2
	v_mov_b32_e32 v5, 0
	global_store_dwordx2 v[0:1], v[4:5], off
.LBB23_246:
	s_mov_b64 s[36:37], 0
.LBB23_247:
	s_andn2_b64 vcc, exec, s[36:37]
	s_cbranch_vccnz .LBB23_249
; %bb.248:
	v_and_b32_e32 v3, 0xffff, v2
	global_store_dword v[0:1], v3, off
.LBB23_249:
	s_mov_b64 s[36:37], 0
.LBB23_250:
	s_andn2_b64 vcc, exec, s[36:37]
	s_cbranch_vccnz .LBB23_259
; %bb.251:
	v_mov_b32_e32 v3, 6
	v_cmp_lt_i16_sdwa s[44:45], v6, v3 src0_sel:BYTE_0 src1_sel:DWORD
	s_mov_b64 s[36:37], -1
	s_and_b64 vcc, exec, s[44:45]
	s_cbranch_vccnz .LBB23_257
; %bb.252:
	v_cmp_gt_i16_sdwa s[44:45], v6, v3 src0_sel:BYTE_0 src1_sel:DWORD
	s_and_b64 vcc, exec, s[44:45]
	s_cbranch_vccz .LBB23_254
; %bb.253:
	v_cvt_f32_f16_e32 v3, v2
	s_mov_b64 s[36:37], 0
	v_cvt_f64_f32_e32 v[4:5], v3
	global_store_dwordx2 v[0:1], v[4:5], off
.LBB23_254:
	s_andn2_b64 vcc, exec, s[36:37]
	s_cbranch_vccnz .LBB23_256
; %bb.255:
	v_cvt_f32_f16_e32 v3, v2
	global_store_dword v[0:1], v3, off
.LBB23_256:
	s_mov_b64 s[36:37], 0
.LBB23_257:
	s_andn2_b64 vcc, exec, s[36:37]
	s_cbranch_vccnz .LBB23_259
; %bb.258:
	global_store_short v[0:1], v2, off
.LBB23_259:
	s_mov_b64 s[36:37], 0
.LBB23_260:
	s_andn2_b64 vcc, exec, s[36:37]
	s_cbranch_vccnz .LBB23_276
; %bb.261:
	v_mov_b32_e32 v3, 2
	v_cmp_lt_i16_sdwa s[44:45], v6, v3 src0_sel:BYTE_0 src1_sel:DWORD
	s_mov_b64 s[36:37], -1
	s_and_b64 vcc, exec, s[44:45]
	s_cbranch_vccnz .LBB23_271
; %bb.262:
	v_mov_b32_e32 v3, 3
	v_cmp_lt_i16_sdwa s[44:45], v6, v3 src0_sel:BYTE_0 src1_sel:DWORD
	s_and_b64 vcc, exec, s[44:45]
	s_cbranch_vccnz .LBB23_268
; %bb.263:
	v_cmp_gt_i16_sdwa s[44:45], v6, v3 src0_sel:BYTE_0 src1_sel:DWORD
	s_and_b64 vcc, exec, s[44:45]
	s_cbranch_vccz .LBB23_265
; %bb.264:
	v_cvt_f32_f16_e32 v3, v2
	s_mov_b64 s[36:37], 0
	v_cvt_i32_f32_e32 v4, v3
	v_ashrrev_i32_e32 v5, 31, v4
	global_store_dwordx2 v[0:1], v[4:5], off
.LBB23_265:
	s_andn2_b64 vcc, exec, s[36:37]
	s_cbranch_vccnz .LBB23_267
; %bb.266:
	v_cvt_f32_f16_e32 v3, v2
	v_cvt_i32_f32_e32 v3, v3
	global_store_dword v[0:1], v3, off
.LBB23_267:
	s_mov_b64 s[36:37], 0
.LBB23_268:
	s_andn2_b64 vcc, exec, s[36:37]
	s_cbranch_vccnz .LBB23_270
; %bb.269:
	v_cvt_i16_f16_e32 v3, v2
	global_store_short v[0:1], v3, off
.LBB23_270:
	s_mov_b64 s[36:37], 0
.LBB23_271:
	s_andn2_b64 vcc, exec, s[36:37]
	s_cbranch_vccnz .LBB23_276
; %bb.272:
	v_mov_b32_e32 v3, 0
	v_cmp_gt_i16_sdwa s[44:45], v6, v3 src0_sel:BYTE_0 src1_sel:DWORD
	s_mov_b64 s[36:37], -1
	s_and_b64 vcc, exec, s[44:45]
	s_cbranch_vccz .LBB23_274
; %bb.273:
	v_cvt_i16_f16_e32 v3, v2
	global_store_byte v[0:1], v3, off
	s_mov_b64 s[36:37], 0
.LBB23_274:
	s_andn2_b64 vcc, exec, s[36:37]
	s_cbranch_vccnz .LBB23_276
; %bb.275:
	v_cvt_f32_f16_e32 v2, v2
	v_cvt_i32_f32_e32 v2, v2
	global_store_byte v[0:1], v2, off
.LBB23_276:
	s_mov_b64 s[36:37], -1
.LBB23_277:
	s_andn2_b64 vcc, exec, s[36:37]
	s_cbranch_vccnz .LBB23_279
; %bb.278:
	v_add_u32_e32 v8, 0x80, v8
	s_mov_b64 s[44:45], -1
	s_branch .LBB23_392
.LBB23_279:
	s_mov_b64 s[44:45], 0
                                        ; implicit-def: $vgpr8
	s_branch .LBB23_392
.LBB23_280:
	s_mov_b64 s[38:39], -1
                                        ; implicit-def: $vgpr4
.LBB23_281:
	s_mov_b64 s[36:37], 0
.LBB23_282:
	s_and_b64 vcc, exec, s[36:37]
	s_cbranch_vccz .LBB23_286
; %bb.283:
	v_mov_b32_e32 v4, 29
	v_cmp_eq_u16_sdwa s[36:37], v7, v4 src0_sel:BYTE_0 src1_sel:DWORD
	s_and_b64 vcc, exec, s[36:37]
	s_cbranch_vccz .LBB23_285
; %bb.284:
	global_load_dwordx2 v[4:5], v[2:3], off
	s_mov_b64 s[0:1], -1
	s_mov_b64 s[38:39], 0
	s_mov_b64 s[36:37], 0
	s_waitcnt vmcnt(0)
	v_ffbh_u32_e32 v10, v5
	v_min_u32_e32 v10, 32, v10
	v_lshlrev_b64 v[4:5], v10, v[4:5]
	v_min_u32_e32 v4, 1, v4
	v_or_b32_e32 v4, v5, v4
	v_cvt_f32_u32_e32 v4, v4
	v_sub_u32_e32 v5, 32, v10
	v_ldexp_f32 v4, v4, v5
	v_cvt_f16_f32_e32 v4, v4
	s_branch .LBB23_287
.LBB23_285:
	s_mov_b64 s[38:39], -1
                                        ; implicit-def: $vgpr4
.LBB23_286:
	s_mov_b64 s[36:37], 0
.LBB23_287:
	s_and_b64 vcc, exec, s[36:37]
	s_cbranch_vccz .LBB23_305
; %bb.288:
	v_mov_b32_e32 v4, 27
	v_cmp_lt_i16_sdwa s[0:1], v7, v4 src0_sel:BYTE_0 src1_sel:DWORD
	s_and_b64 vcc, exec, s[0:1]
	s_cbranch_vccnz .LBB23_291
; %bb.289:
	v_cmp_gt_i16_sdwa s[0:1], v7, v4 src0_sel:BYTE_0 src1_sel:DWORD
	s_and_b64 vcc, exec, s[0:1]
	s_cbranch_vccz .LBB23_292
; %bb.290:
	global_load_dword v4, v[2:3], off
	s_mov_b64 s[0:1], 0
	s_waitcnt vmcnt(0)
	v_cvt_f32_u32_e32 v4, v4
	v_cvt_f16_f32_e32 v4, v4
	s_branch .LBB23_293
.LBB23_291:
	s_mov_b64 s[0:1], -1
                                        ; implicit-def: $vgpr4
	s_branch .LBB23_296
.LBB23_292:
	s_mov_b64 s[0:1], -1
                                        ; implicit-def: $vgpr4
.LBB23_293:
	s_andn2_b64 vcc, exec, s[0:1]
	s_cbranch_vccnz .LBB23_295
; %bb.294:
	global_load_ushort v4, v[2:3], off
	s_waitcnt vmcnt(0)
	v_cvt_f16_u16_e32 v4, v4
.LBB23_295:
	s_mov_b64 s[0:1], 0
.LBB23_296:
	s_andn2_b64 vcc, exec, s[0:1]
	s_cbranch_vccnz .LBB23_304
; %bb.297:
	global_load_ubyte v5, v[2:3], off
	s_movk_i32 s0, 0x7f
                                        ; implicit-def: $sgpr48
	s_waitcnt vmcnt(0)
	v_cmp_lt_i16_e32 vcc, s0, v5
	s_mov_b64 s[0:1], 0
	s_and_saveexec_b64 s[36:37], vcc
	s_xor_b64 s[36:37], exec, s[36:37]
	s_cbranch_execz .LBB23_318
; %bb.298:
	s_movk_i32 s0, 0x80
	v_cmp_eq_u16_e32 vcc, s0, v5
	s_mov_b64 s[0:1], -1
                                        ; implicit-def: $sgpr48
	s_and_saveexec_b64 s[44:45], vcc
; %bb.299:
	s_movk_i32 s48, 0x7e00
	s_xor_b64 s[0:1], exec, -1
; %bb.300:
	s_or_b64 exec, exec, s[44:45]
	s_and_b64 s[0:1], s[0:1], exec
	s_or_saveexec_b64 s[36:37], s[36:37]
	v_mov_b32_e32 v4, s48
	s_xor_b64 exec, exec, s[36:37]
	s_cbranch_execnz .LBB23_319
.LBB23_301:
	s_or_b64 exec, exec, s[36:37]
	s_and_saveexec_b64 s[36:37], s[0:1]
	s_cbranch_execz .LBB23_303
.LBB23_302:
	v_lshlrev_b32_e32 v4, 24, v5
	v_and_b32_e32 v5, 0xffff, v5
	v_and_b32_e32 v10, 7, v5
	v_ffbh_u32_e32 v12, v10
	v_min_u32_e32 v12, 32, v12
	v_subrev_u32_e32 v13, 28, v12
	v_bfe_u32 v11, v5, 3, 4
	v_lshlrev_b32_e32 v5, v13, v5
	v_sub_u32_e32 v12, 29, v12
	v_and_b32_e32 v5, 7, v5
	v_cmp_eq_u32_e32 vcc, 0, v11
	v_cndmask_b32_e32 v11, v11, v12, vcc
	v_cndmask_b32_e32 v5, v10, v5, vcc
	v_mov_b32_e32 v10, 0x3b800000
	v_lshlrev_b32_e32 v5, 20, v5
	v_and_b32_e32 v4, 0x80000000, v4
	v_lshl_add_u32 v10, v11, 23, v10
	v_or3_b32 v4, v4, v10, v5
	v_cvt_f16_f32_e32 v4, v4
.LBB23_303:
	s_or_b64 exec, exec, s[36:37]
.LBB23_304:
	s_mov_b64 s[0:1], -1
.LBB23_305:
	s_mov_b64 s[36:37], 0
.LBB23_306:
	s_and_b64 vcc, exec, s[36:37]
	s_cbranch_vccz .LBB23_341
; %bb.307:
	v_mov_b32_e32 v4, 22
	v_cmp_gt_i16_sdwa s[36:37], v7, v4 src0_sel:BYTE_0 src1_sel:DWORD
	s_and_b64 vcc, exec, s[36:37]
	s_cbranch_vccz .LBB23_317
; %bb.308:
	v_mov_b32_e32 v4, 24
	v_cmp_lt_i16_sdwa s[0:1], v7, v4 src0_sel:BYTE_0 src1_sel:DWORD
	s_and_b64 vcc, exec, s[0:1]
	s_cbranch_vccnz .LBB23_320
; %bb.309:
	v_cmp_gt_i16_sdwa s[0:1], v7, v4 src0_sel:BYTE_0 src1_sel:DWORD
	s_and_b64 vcc, exec, s[0:1]
	s_cbranch_vccz .LBB23_321
; %bb.310:
	global_load_ubyte v5, v[2:3], off
	s_movk_i32 s0, 0x7f
                                        ; implicit-def: $sgpr48
	s_waitcnt vmcnt(0)
	v_cmp_lt_i16_e32 vcc, s0, v5
	s_mov_b64 s[0:1], 0
	s_and_saveexec_b64 s[36:37], vcc
	s_xor_b64 s[36:37], exec, s[36:37]
	s_cbranch_execz .LBB23_333
; %bb.311:
	s_movk_i32 s0, 0x80
	v_cmp_eq_u16_e32 vcc, s0, v5
	s_mov_b64 s[0:1], -1
                                        ; implicit-def: $sgpr48
	s_and_saveexec_b64 s[44:45], vcc
; %bb.312:
	s_movk_i32 s48, 0x7e00
	s_xor_b64 s[0:1], exec, -1
; %bb.313:
	s_or_b64 exec, exec, s[44:45]
	s_and_b64 s[0:1], s[0:1], exec
	s_or_saveexec_b64 s[36:37], s[36:37]
	v_mov_b32_e32 v4, s48
	s_xor_b64 exec, exec, s[36:37]
	s_cbranch_execnz .LBB23_334
.LBB23_314:
	s_or_b64 exec, exec, s[36:37]
	s_and_saveexec_b64 s[36:37], s[0:1]
	s_cbranch_execz .LBB23_316
.LBB23_315:
	v_lshlrev_b32_e32 v4, 24, v5
	v_and_b32_e32 v5, 0xffff, v5
	v_and_b32_e32 v10, 3, v5
	v_ffbh_u32_e32 v12, v10
	v_min_u32_e32 v12, 32, v12
	v_subrev_u32_e32 v13, 29, v12
	v_bfe_u32 v11, v5, 2, 5
	v_lshlrev_b32_e32 v5, v13, v5
	v_sub_u32_e32 v12, 30, v12
	v_and_b32_e32 v5, 3, v5
	v_cmp_eq_u32_e32 vcc, 0, v11
	v_cndmask_b32_e32 v11, v11, v12, vcc
	v_cndmask_b32_e32 v5, v10, v5, vcc
	v_mov_b32_e32 v10, 0x37800000
	v_lshlrev_b32_e32 v5, 21, v5
	v_and_b32_e32 v4, 0x80000000, v4
	v_lshl_add_u32 v10, v11, 23, v10
	v_or3_b32 v4, v4, v10, v5
	v_cvt_f16_f32_e32 v4, v4
.LBB23_316:
	s_or_b64 exec, exec, s[36:37]
	s_mov_b64 s[0:1], 0
	s_branch .LBB23_322
.LBB23_317:
	s_mov_b64 s[36:37], -1
                                        ; implicit-def: $vgpr4
	s_branch .LBB23_328
.LBB23_318:
	s_or_saveexec_b64 s[36:37], s[36:37]
	v_mov_b32_e32 v4, s48
	s_xor_b64 exec, exec, s[36:37]
	s_cbranch_execz .LBB23_301
.LBB23_319:
	v_cmp_ne_u16_e32 vcc, 0, v5
	s_andn2_b64 s[0:1], s[0:1], exec
	s_and_b64 s[44:45], vcc, exec
	s_or_b64 s[0:1], s[0:1], s[44:45]
	v_mov_b32_e32 v4, v5
	s_or_b64 exec, exec, s[36:37]
	s_and_saveexec_b64 s[36:37], s[0:1]
	s_cbranch_execnz .LBB23_302
	s_branch .LBB23_303
.LBB23_320:
	s_mov_b64 s[0:1], -1
                                        ; implicit-def: $vgpr4
	s_branch .LBB23_325
.LBB23_321:
	s_mov_b64 s[0:1], -1
                                        ; implicit-def: $vgpr4
.LBB23_322:
	s_and_b64 vcc, exec, s[0:1]
	s_cbranch_vccz .LBB23_324
; %bb.323:
	global_load_ubyte v4, v[2:3], off
	s_mov_b32 s0, 0x7f800000
	s_waitcnt vmcnt(0)
	v_lshlrev_b32_e32 v4, 24, v4
	v_and_b32_e32 v5, 0x7f000000, v4
	v_ffbh_u32_e32 v10, v5
	v_min_u32_e32 v10, 32, v10
	v_sub_u32_e64 v10, v10, 4 clamp
	v_lshlrev_b32_e32 v12, v10, v5
	v_lshlrev_b32_e32 v10, 23, v10
	v_lshrrev_b32_e32 v12, 4, v12
	v_add_u32_e32 v11, 0x1000000, v5
	v_sub_u32_e32 v10, v12, v10
	v_ashrrev_i32_e32 v11, 8, v11
	v_add_u32_e32 v10, 0x3c000000, v10
	v_and_or_b32 v10, v11, s0, v10
	v_cmp_ne_u32_e32 vcc, 0, v5
	v_cndmask_b32_e32 v5, 0, v10, vcc
	s_brev_b32 s0, 1
	v_and_or_b32 v4, v4, s0, v5
	v_cvt_f16_f32_e32 v4, v4
.LBB23_324:
	s_mov_b64 s[0:1], 0
.LBB23_325:
	s_andn2_b64 vcc, exec, s[0:1]
	s_cbranch_vccnz .LBB23_327
; %bb.326:
	global_load_ubyte v4, v[2:3], off
	s_movk_i32 s0, 0x7f00
	s_brev_b32 s1, 16
	s_waitcnt vmcnt(0)
	v_lshlrev_b16_e32 v5, 8, v4
	v_lshlrev_b32_e32 v4, 25, v4
	v_lshrrev_b32_e32 v10, 4, v4
	v_and_or_b32 v11, v5, s0, 0.5
	v_or_b32_e32 v10, 0x70000000, v10
	v_add_f32_e32 v11, -0.5, v11
	v_mul_f32_e32 v10, 0x7800000, v10
	v_cmp_gt_u32_e32 vcc, s1, v4
	v_bfe_i32 v5, v5, 0, 16
	v_cndmask_b32_e32 v4, v10, v11, vcc
	s_brev_b32 s0, 1
	v_and_or_b32 v4, v5, s0, v4
	v_cvt_f16_f32_e32 v4, v4
.LBB23_327:
	s_mov_b64 s[36:37], 0
	s_mov_b64 s[0:1], -1
.LBB23_328:
	s_andn2_b64 vcc, exec, s[36:37]
	s_cbranch_vccnz .LBB23_341
; %bb.329:
	v_mov_b32_e32 v4, 14
	v_cmp_gt_i16_sdwa s[36:37], v7, v4 src0_sel:BYTE_0 src1_sel:DWORD
	s_and_b64 vcc, exec, s[36:37]
	s_cbranch_vccz .LBB23_332
; %bb.330:
	v_mov_b32_e32 v4, 15
	v_cmp_eq_u16_sdwa s[36:37], v7, v4 src0_sel:BYTE_0 src1_sel:DWORD
	s_and_b64 vcc, exec, s[36:37]
	s_cbranch_vccz .LBB23_335
; %bb.331:
	global_load_ushort v4, v[2:3], off
	s_mov_b64 s[0:1], -1
	s_mov_b64 s[38:39], 0
	s_waitcnt vmcnt(0)
	v_lshlrev_b32_e32 v4, 16, v4
	v_cvt_f16_f32_e32 v4, v4
	s_branch .LBB23_336
.LBB23_332:
	s_mov_b64 s[36:37], -1
                                        ; implicit-def: $vgpr4
	s_branch .LBB23_337
.LBB23_333:
	s_or_saveexec_b64 s[36:37], s[36:37]
	v_mov_b32_e32 v4, s48
	s_xor_b64 exec, exec, s[36:37]
	s_cbranch_execz .LBB23_314
.LBB23_334:
	v_cmp_ne_u16_e32 vcc, 0, v5
	s_andn2_b64 s[0:1], s[0:1], exec
	s_and_b64 s[44:45], vcc, exec
	s_or_b64 s[0:1], s[0:1], s[44:45]
	v_mov_b32_e32 v4, v5
	s_or_b64 exec, exec, s[36:37]
	s_and_saveexec_b64 s[36:37], s[0:1]
	s_cbranch_execnz .LBB23_315
	s_branch .LBB23_316
.LBB23_335:
	s_mov_b64 s[38:39], -1
                                        ; implicit-def: $vgpr4
.LBB23_336:
	s_mov_b64 s[36:37], 0
.LBB23_337:
	s_and_b64 vcc, exec, s[36:37]
	s_cbranch_vccz .LBB23_341
; %bb.338:
	v_mov_b32_e32 v4, 11
	v_cmp_eq_u16_sdwa s[36:37], v7, v4 src0_sel:BYTE_0 src1_sel:DWORD
	s_and_b64 vcc, exec, s[36:37]
	s_cbranch_vccz .LBB23_340
; %bb.339:
	global_load_ubyte v4, v[2:3], off
	v_mov_b32_e32 v5, 0x3c00
	s_mov_b64 s[0:1], -1
	s_mov_b64 s[38:39], 0
	s_waitcnt vmcnt(0)
	v_cmp_ne_u16_e32 vcc, 0, v4
	v_cndmask_b32_e32 v4, 0, v5, vcc
	s_branch .LBB23_341
.LBB23_340:
	s_mov_b64 s[38:39], -1
                                        ; implicit-def: $vgpr4
.LBB23_341:
	s_branch .LBB23_30
.LBB23_342:
	v_mov_b32_e32 v4, 5
	v_cmp_lt_i16_sdwa s[0:1], v7, v4 src0_sel:BYTE_0 src1_sel:DWORD
	s_and_b64 vcc, exec, s[0:1]
	s_cbranch_vccnz .LBB23_347
; %bb.343:
	v_mov_b32_e32 v4, 8
	v_cmp_lt_i16_sdwa s[0:1], v7, v4 src0_sel:BYTE_0 src1_sel:DWORD
	s_and_b64 vcc, exec, s[0:1]
	s_cbranch_vccnz .LBB23_348
; %bb.344:
	;; [unrolled: 5-line block ×3, first 2 shown]
	v_cmp_gt_i16_sdwa s[0:1], v7, v4 src0_sel:BYTE_0 src1_sel:DWORD
	s_and_b64 vcc, exec, s[0:1]
	s_cbranch_vccz .LBB23_350
; %bb.346:
	global_load_dwordx2 v[4:5], v[2:3], off
	s_mov_b64 s[0:1], 0
	s_waitcnt vmcnt(0)
	v_cvt_f32_f64_e32 v4, v[4:5]
	v_cvt_f16_f32_e32 v4, v4
	s_branch .LBB23_351
.LBB23_347:
	s_mov_b64 s[0:1], -1
                                        ; implicit-def: $vgpr4
	s_branch .LBB23_369
.LBB23_348:
	s_mov_b64 s[0:1], -1
                                        ; implicit-def: $vgpr4
	s_branch .LBB23_357
.LBB23_349:
	s_mov_b64 s[0:1], -1
                                        ; implicit-def: $vgpr4
	s_branch .LBB23_354
.LBB23_350:
	s_mov_b64 s[0:1], -1
                                        ; implicit-def: $vgpr4
.LBB23_351:
	s_andn2_b64 vcc, exec, s[0:1]
	s_cbranch_vccnz .LBB23_353
; %bb.352:
	global_load_dword v4, v[2:3], off
	s_waitcnt vmcnt(0)
	v_cvt_f16_f32_e32 v4, v4
.LBB23_353:
	s_mov_b64 s[0:1], 0
.LBB23_354:
	s_andn2_b64 vcc, exec, s[0:1]
	s_cbranch_vccnz .LBB23_356
; %bb.355:
	global_load_dword v4, v[2:3], off
.LBB23_356:
	s_mov_b64 s[0:1], 0
.LBB23_357:
	s_andn2_b64 vcc, exec, s[0:1]
	s_cbranch_vccnz .LBB23_368
; %bb.358:
	s_waitcnt vmcnt(0)
	v_mov_b32_e32 v4, 6
	v_cmp_lt_i16_sdwa s[0:1], v7, v4 src0_sel:BYTE_0 src1_sel:DWORD
	s_and_b64 vcc, exec, s[0:1]
	s_cbranch_vccnz .LBB23_361
; %bb.359:
	v_cmp_gt_i16_sdwa s[0:1], v7, v4 src0_sel:BYTE_0 src1_sel:DWORD
	s_and_b64 vcc, exec, s[0:1]
	s_cbranch_vccz .LBB23_362
; %bb.360:
	global_load_dwordx2 v[4:5], v[2:3], off
	s_mov_b64 s[0:1], 0
	s_waitcnt vmcnt(0)
	v_cvt_f32_f64_e32 v4, v[4:5]
	v_cvt_f16_f32_e32 v4, v4
	s_branch .LBB23_363
.LBB23_361:
	s_mov_b64 s[0:1], -1
                                        ; implicit-def: $vgpr4
	s_branch .LBB23_366
.LBB23_362:
	s_mov_b64 s[0:1], -1
                                        ; implicit-def: $vgpr4
.LBB23_363:
	s_andn2_b64 vcc, exec, s[0:1]
	s_cbranch_vccnz .LBB23_365
; %bb.364:
	global_load_dword v4, v[2:3], off
	s_waitcnt vmcnt(0)
	v_cvt_f16_f32_e32 v4, v4
.LBB23_365:
	s_mov_b64 s[0:1], 0
.LBB23_366:
	s_andn2_b64 vcc, exec, s[0:1]
	s_cbranch_vccnz .LBB23_368
; %bb.367:
	global_load_ushort v4, v[2:3], off
.LBB23_368:
	s_mov_b64 s[0:1], 0
.LBB23_369:
	s_andn2_b64 vcc, exec, s[0:1]
	s_cbranch_vccnz .LBB23_389
; %bb.370:
	s_waitcnt vmcnt(0)
	v_mov_b32_e32 v4, 2
	v_cmp_lt_i16_sdwa s[0:1], v7, v4 src0_sel:BYTE_0 src1_sel:DWORD
	s_and_b64 vcc, exec, s[0:1]
	s_cbranch_vccnz .LBB23_374
; %bb.371:
	v_mov_b32_e32 v4, 3
	v_cmp_lt_i16_sdwa s[0:1], v7, v4 src0_sel:BYTE_0 src1_sel:DWORD
	s_and_b64 vcc, exec, s[0:1]
	s_cbranch_vccnz .LBB23_375
; %bb.372:
	v_cmp_gt_i16_sdwa s[0:1], v7, v4 src0_sel:BYTE_0 src1_sel:DWORD
	s_and_b64 vcc, exec, s[0:1]
	s_cbranch_vccz .LBB23_376
; %bb.373:
	global_load_dwordx2 v[4:5], v[2:3], off
	s_mov_b64 s[0:1], 0
	s_waitcnt vmcnt(0)
	v_xor_b32_e32 v11, v4, v5
	v_ffbh_i32_e32 v10, v5
	v_ashrrev_i32_e32 v11, 31, v11
	v_add_u32_e32 v10, -1, v10
	v_add_u32_e32 v11, 32, v11
	v_min_u32_e32 v10, v10, v11
	v_lshlrev_b64 v[4:5], v10, v[4:5]
	v_min_u32_e32 v4, 1, v4
	v_or_b32_e32 v4, v5, v4
	v_cvt_f32_i32_e32 v4, v4
	v_sub_u32_e32 v5, 32, v10
	v_ldexp_f32 v4, v4, v5
	v_cvt_f16_f32_e32 v4, v4
	s_branch .LBB23_377
.LBB23_374:
	s_mov_b64 s[0:1], -1
                                        ; implicit-def: $vgpr4
	s_branch .LBB23_383
.LBB23_375:
	s_mov_b64 s[0:1], -1
                                        ; implicit-def: $vgpr4
	s_branch .LBB23_380
.LBB23_376:
	s_mov_b64 s[0:1], -1
                                        ; implicit-def: $vgpr4
.LBB23_377:
	s_andn2_b64 vcc, exec, s[0:1]
	s_cbranch_vccnz .LBB23_379
; %bb.378:
	global_load_dword v4, v[2:3], off
	s_waitcnt vmcnt(0)
	v_cvt_f32_i32_e32 v4, v4
	v_cvt_f16_f32_e32 v4, v4
.LBB23_379:
	s_mov_b64 s[0:1], 0
.LBB23_380:
	s_andn2_b64 vcc, exec, s[0:1]
	s_cbranch_vccnz .LBB23_382
; %bb.381:
	global_load_ushort v4, v[2:3], off
	s_waitcnt vmcnt(0)
	v_cvt_f16_i16_e32 v4, v4
.LBB23_382:
	s_mov_b64 s[0:1], 0
.LBB23_383:
	s_andn2_b64 vcc, exec, s[0:1]
	s_cbranch_vccnz .LBB23_389
; %bb.384:
	v_mov_b32_e32 v4, 0
	v_cmp_gt_i16_sdwa s[0:1], v7, v4 src0_sel:BYTE_0 src1_sel:DWORD
	s_and_b64 vcc, exec, s[0:1]
	s_cbranch_vccz .LBB23_386
; %bb.385:
	global_load_sbyte v4, v[2:3], off
	s_mov_b64 s[0:1], 0
	s_waitcnt vmcnt(0)
	v_cvt_f16_i16_e32 v4, v4
	s_branch .LBB23_387
.LBB23_386:
	s_mov_b64 s[0:1], -1
                                        ; implicit-def: $vgpr4
.LBB23_387:
	s_andn2_b64 vcc, exec, s[0:1]
	s_cbranch_vccnz .LBB23_389
; %bb.388:
	global_load_ubyte v2, v[2:3], off
	s_waitcnt vmcnt(0)
	v_cvt_f16_u16_e32 v4, v2
.LBB23_389:
	s_branch .LBB23_31
.LBB23_390:
	s_mov_b64 s[0:1], 0
.LBB23_391:
                                        ; implicit-def: $vgpr8
	s_mov_b64 s[44:45], 0
.LBB23_392:
	s_and_b64 s[36:37], s[0:1], exec
	s_and_b64 s[38:39], s[38:39], exec
	;; [unrolled: 1-line block ×3, first 2 shown]
	s_orn2_b64 s[0:1], s[44:45], exec
.LBB23_393:
	s_or_b64 exec, exec, s[42:43]
	s_mov_b64 s[50:51], 0
	s_mov_b64 s[48:49], 0
                                        ; implicit-def: $vgpr3
                                        ; implicit-def: $vgpr4_vgpr5
                                        ; implicit-def: $vgpr2
                                        ; implicit-def: $vgpr0
                                        ; implicit-def: $vgpr1
	s_and_saveexec_b64 s[42:43], s[0:1]
	s_cbranch_execz .LBB23_402
; %bb.394:
	v_cmp_gt_i32_e32 vcc, s66, v8
	s_mov_b64 s[0:1], -1
	s_mov_b64 s[44:45], s[40:41]
	s_mov_b64 s[46:47], s[38:39]
	;; [unrolled: 1-line block ×3, first 2 shown]
	s_and_saveexec_b64 s[50:51], vcc
	s_cbranch_execz .LBB23_793
; %bb.395:
	s_andn2_b64 vcc, exec, s[20:21]
	s_cbranch_vccnz .LBB23_405
; %bb.396:
	s_andn2_b64 vcc, exec, s[34:35]
	v_mov_b32_e32 v2, 0
	s_waitcnt vmcnt(0)
	v_mov_b32_e32 v4, 0
	v_mov_b32_e32 v0, 0
	s_cbranch_vccnz .LBB23_401
; %bb.397:
	s_add_i32 s0, s69, 1
	s_and_b32 s44, s0, 30
	s_add_u32 s0, s2, 0xffffffec
	s_addc_u32 s1, s3, -1
	v_mov_b32_e32 v0, 0
	v_mov_b32_e32 v1, v8
	;; [unrolled: 1-line block ×4, first 2 shown]
.LBB23_398:                             ; =>This Inner Loop Header: Depth=1
	s_mov_b64 s[46:47], s[0:1]
	s_load_dwordx4 s[52:55], s[46:47], 0x18
	s_load_dwordx2 s[48:49], s[46:47], 0x28
	s_load_dwordx2 s[60:61], s[46:47], 0xe8
	s_load_dwordx4 s[56:59], s[46:47], 0xd8
	s_add_u32 s0, s46, 24
	s_waitcnt lgkmcnt(0)
	v_mul_hi_u32 v3, s53, v1
	v_add_u32_e32 v3, v1, v3
	v_lshrrev_b32_e32 v3, s54, v3
	v_mul_lo_u32 v5, v3, s52
	v_mul_hi_u32 v10, s48, v3
	v_sub_u32_e32 v1, v1, v5
	v_add_u32_e32 v5, v3, v10
	v_mul_lo_u32 v10, v1, s56
	v_mul_lo_u32 v11, v1, s57
	;; [unrolled: 1-line block ×3, first 2 shown]
	v_lshrrev_b32_e32 v1, s49, v5
	v_mul_lo_u32 v5, v1, s55
	v_sub_u32_e32 v3, v3, v5
	s_addc_u32 s1, s47, 0
	s_add_i32 s44, s44, -2
	v_mul_lo_u32 v5, v3, s59
	v_mul_lo_u32 v13, v3, s60
	;; [unrolled: 1-line block ×3, first 2 shown]
	s_cmp_eq_u32 s44, 0
	v_add3_u32 v0, v10, v0, v5
	v_add3_u32 v2, v12, v2, v3
	v_add3_u32 v4, v11, v4, v13
	s_cbranch_scc0 .LBB23_398
; %bb.399:
	s_bitcmp1_b32 s69, 0
	s_cselect_b64 s[44:45], -1, 0
	s_and_b64 vcc, exec, s[44:45]
	s_cbranch_vccnz .LBB23_401
; %bb.400:
	s_load_dwordx2 s[44:45], s[0:1], 0x18
	s_load_dword s46, s[0:1], 0x20
	s_load_dword s47, s[0:1], 0xe0
	s_nop 0
	s_load_dwordx2 s[0:1], s[0:1], 0xd8
	s_waitcnt lgkmcnt(0)
	v_mul_hi_u32 v3, s45, v1
	v_add_u32_e32 v3, v1, v3
	v_lshrrev_b32_e32 v3, s46, v3
	v_mul_lo_u32 v3, v3, s44
	v_sub_u32_e32 v3, v1, v3
	v_mad_u64_u32 v[0:1], s[44:45], v3, s0, v[0:1]
	v_mad_u64_u32 v[4:5], s[0:1], v3, s1, v[4:5]
	v_mad_u64_u32 v[2:3], s[0:1], v3, s47, v[2:3]
.LBB23_401:
	s_cbranch_execz .LBB23_406
	s_branch .LBB23_408
.LBB23_402:
	s_or_b64 exec, exec, s[42:43]
	s_waitcnt lgkmcnt(0)
	s_mov_b64 s[10:11], 0
	s_and_saveexec_b64 s[0:1], s[40:41]
	s_cbranch_execnz .LBB23_1289
.LBB23_403:
	s_or_b64 exec, exec, s[0:1]
	s_and_saveexec_b64 s[0:1], s[46:47]
	s_xor_b64 s[0:1], exec, s[0:1]
	s_cbranch_execz .LBB23_1290
.LBB23_404:
	s_waitcnt vmcnt(0)
	global_load_ubyte v1, v[4:5], off
	v_mov_b32_e32 v8, 0x3c00
	s_or_b64 s[48:49], s[48:49], exec
	s_waitcnt vmcnt(0)
	v_cmp_ne_u16_e32 vcc, 0, v1
	v_cndmask_b32_e32 v1, 0, v8, vcc
	s_or_b64 exec, exec, s[0:1]
	s_and_saveexec_b64 s[0:1], s[50:51]
	s_cbranch_execz .LBB23_1336
	s_branch .LBB23_1291
.LBB23_405:
                                        ; implicit-def: $vgpr2
                                        ; implicit-def: $vgpr4
                                        ; implicit-def: $vgpr0
	s_andn2_b64 vcc, exec, s[0:1]
	s_cbranch_vccnz .LBB23_408
.LBB23_406:
	s_waitcnt lgkmcnt(0)
	v_mul_hi_u32 v0, s17, v8
	v_add_u32_e32 v0, v8, v0
	s_waitcnt vmcnt(0)
	v_lshrrev_b32_e32 v1, s18, v0
	v_mul_lo_u32 v0, v1, s16
	v_sub_u32_e32 v3, v8, v0
	v_mul_lo_u32 v0, v3, s12
	v_mul_lo_u32 v2, v3, s14
	s_andn2_b64 vcc, exec, s[30:31]
	v_mul_lo_u32 v4, v3, s13
	s_cbranch_vccnz .LBB23_408
; %bb.407:
	v_mul_hi_u32 v3, s28, v1
	v_add_u32_e32 v3, v1, v3
	v_lshrrev_b32_e32 v3, s29, v3
	v_mul_lo_u32 v3, v3, s19
	v_sub_u32_e32 v3, v1, v3
	v_mad_u64_u32 v[0:1], s[0:1], v3, s15, v[0:1]
	v_mad_u64_u32 v[4:5], s[0:1], v3, s26, v[4:5]
	;; [unrolled: 1-line block ×3, first 2 shown]
.LBB23_408:
	s_waitcnt vmcnt(0) lgkmcnt(0)
	v_mov_b32_e32 v1, s11
	v_add_co_u32_e32 v4, vcc, s10, v4
	v_addc_co_u32_e32 v5, vcc, 0, v1, vcc
	v_mov_b32_e32 v1, 11
	v_cmp_lt_i16_sdwa s[0:1], v9, v1 src0_sel:BYTE_0 src1_sel:DWORD
	s_and_b64 vcc, exec, s[0:1]
	s_cbranch_vccnz .LBB23_415
; %bb.409:
	v_mov_b32_e32 v1, 25
	v_cmp_gt_i16_sdwa s[0:1], v9, v1 src0_sel:BYTE_0 src1_sel:DWORD
	s_and_b64 vcc, exec, s[0:1]
	s_cbranch_vccz .LBB23_424
; %bb.410:
	v_mov_b32_e32 v1, 28
	v_cmp_gt_i16_sdwa s[0:1], v9, v1 src0_sel:BYTE_0 src1_sel:DWORD
	s_and_b64 vcc, exec, s[0:1]
	s_cbranch_vccz .LBB23_426
; %bb.411:
	v_mov_b32_e32 v1, 43
	v_cmp_gt_i16_sdwa s[0:1], v9, v1 src0_sel:BYTE_0 src1_sel:DWORD
	s_and_b64 vcc, exec, s[0:1]
	s_cbranch_vccz .LBB23_428
; %bb.412:
	v_mov_b32_e32 v1, 45
	v_cmp_gt_i16_sdwa s[0:1], v9, v1 src0_sel:BYTE_0 src1_sel:DWORD
	s_and_b64 vcc, exec, s[0:1]
	s_cbranch_vccz .LBB23_430
; %bb.413:
	v_mov_b32_e32 v1, 46
	v_cmp_eq_u16_sdwa s[0:1], v9, v1 src0_sel:BYTE_0 src1_sel:DWORD
	s_mov_b64 s[46:47], 0
	s_and_b64 vcc, exec, s[0:1]
	s_cbranch_vccz .LBB23_434
; %bb.414:
	global_load_dword v1, v[4:5], off
	s_mov_b64 s[0:1], -1
	s_mov_b64 s[44:45], 0
	s_waitcnt vmcnt(0)
	v_lshlrev_b32_e32 v1, 16, v1
	v_cvt_f16_f32_e32 v1, v1
	s_branch .LBB23_435
.LBB23_415:
	s_mov_b64 s[0:1], 0
                                        ; implicit-def: $vgpr1
	s_mov_b64 s[44:45], s[40:41]
	s_cbranch_execnz .LBB23_501
.LBB23_416:
	s_andn2_b64 vcc, exec, s[0:1]
	s_cbranch_vccnz .LBB23_549
.LBB23_417:
	v_mov_b32_e32 v3, s25
	v_add_co_u32_e32 v2, vcc, s24, v2
	v_mov_b32_e32 v4, 11
	v_addc_co_u32_e32 v3, vcc, 0, v3, vcc
	v_cmp_lt_i16_sdwa s[0:1], v7, v4 src0_sel:BYTE_0 src1_sel:DWORD
	s_and_b64 vcc, exec, s[0:1]
	s_cbranch_vccnz .LBB23_425
; %bb.418:
	v_mov_b32_e32 v4, 25
	v_cmp_gt_i16_sdwa s[0:1], v7, v4 src0_sel:BYTE_0 src1_sel:DWORD
	s_and_b64 vcc, exec, s[0:1]
	s_cbranch_vccz .LBB23_427
; %bb.419:
	v_mov_b32_e32 v4, 28
	v_cmp_gt_i16_sdwa s[0:1], v7, v4 src0_sel:BYTE_0 src1_sel:DWORD
	s_and_b64 vcc, exec, s[0:1]
	s_cbranch_vccz .LBB23_429
	;; [unrolled: 5-line block ×4, first 2 shown]
; %bb.422:
	v_mov_b32_e32 v4, 46
	v_cmp_eq_u16_sdwa s[0:1], v7, v4 src0_sel:BYTE_0 src1_sel:DWORD
	s_mov_b64 s[48:49], 0
	s_and_b64 vcc, exec, s[0:1]
	s_cbranch_vccz .LBB23_553
; %bb.423:
	global_load_dword v4, v[2:3], off
	s_mov_b64 s[0:1], -1
	s_mov_b64 s[46:47], 0
	s_waitcnt vmcnt(0)
	v_lshlrev_b32_e32 v4, 16, v4
	v_cvt_f16_f32_e32 v4, v4
	s_branch .LBB23_554
.LBB23_424:
	s_mov_b64 s[46:47], -1
	s_mov_b64 s[0:1], 0
	s_mov_b64 s[44:45], s[40:41]
                                        ; implicit-def: $vgpr1
	s_branch .LBB23_465
.LBB23_425:
	s_mov_b64 s[48:49], -1
	s_mov_b64 s[0:1], 0
                                        ; implicit-def: $vgpr4
	s_mov_b64 s[46:47], s[38:39]
	s_branch .LBB23_619
.LBB23_426:
	s_mov_b64 s[46:47], -1
	s_mov_b64 s[0:1], 0
	s_mov_b64 s[44:45], s[40:41]
                                        ; implicit-def: $vgpr1
	s_branch .LBB23_446
.LBB23_427:
	s_mov_b64 s[48:49], -1
	s_mov_b64 s[0:1], 0
	s_mov_b64 s[46:47], s[38:39]
                                        ; implicit-def: $vgpr4
	s_branch .LBB23_583
.LBB23_428:
	s_mov_b64 s[46:47], -1
	s_mov_b64 s[0:1], 0
	s_mov_b64 s[44:45], s[40:41]
                                        ; implicit-def: $vgpr1
	s_branch .LBB23_441
.LBB23_429:
	s_mov_b64 s[48:49], -1
	s_mov_b64 s[0:1], 0
	s_mov_b64 s[46:47], s[38:39]
                                        ; implicit-def: $vgpr4
	s_branch .LBB23_564
.LBB23_430:
	s_mov_b64 s[46:47], -1
	s_mov_b64 s[0:1], 0
	s_mov_b64 s[44:45], s[40:41]
                                        ; implicit-def: $vgpr1
	s_branch .LBB23_435
.LBB23_431:
	s_mov_b64 s[48:49], -1
	s_mov_b64 s[0:1], 0
	s_mov_b64 s[46:47], s[38:39]
                                        ; implicit-def: $vgpr4
	s_branch .LBB23_559
.LBB23_432:
	s_or_saveexec_b64 s[48:49], s[48:49]
                                        ; implicit-def: $sgpr50
	s_xor_b64 exec, exec, s[48:49]
	s_cbranch_execz .LBB23_190
.LBB23_433:
	s_mov_b32 s50, 0x46000000
	v_add_f32_e64 v5, |v4|, s50
	v_and_b32_e32 v5, 0xff, v5
	v_cmp_ne_u32_e32 vcc, 0, v5
	s_andn2_b64 s[44:45], s[44:45], exec
	s_and_b64 s[52:53], vcc, exec
	s_mov_b32 s50, 0
	s_or_b64 s[44:45], s[44:45], s[52:53]
	s_or_b64 exec, exec, s[48:49]
	v_mov_b32_e32 v10, s50
	s_and_saveexec_b64 s[48:49], s[44:45]
	s_cbranch_execnz .LBB23_191
	s_branch .LBB23_192
.LBB23_434:
	s_mov_b64 s[44:45], -1
                                        ; implicit-def: $vgpr1
	s_mov_b64 s[0:1], 0
.LBB23_435:
	s_and_b64 vcc, exec, s[46:47]
	s_cbranch_vccz .LBB23_440
; %bb.436:
	v_mov_b32_e32 v1, 44
	v_cmp_eq_u16_sdwa s[44:45], v9, v1 src0_sel:BYTE_0 src1_sel:DWORD
	s_and_b64 vcc, exec, s[44:45]
	s_cbranch_vccz .LBB23_439
; %bb.437:
	global_load_ubyte v1, v[4:5], off
	s_movk_i32 s44, 0xff
	v_mov_b32_e32 v10, 0x7e00
	s_mov_b64 s[0:1], -1
	s_waitcnt vmcnt(0)
	v_lshlrev_b32_e32 v3, 23, v1
	v_cvt_f16_f32_e32 v3, v3
	v_cmp_ne_u32_e32 vcc, s44, v1
	s_mov_b64 s[44:45], 0
	v_cndmask_b32_e32 v3, v10, v3, vcc
	v_cmp_ne_u32_e32 vcc, 0, v1
	v_cndmask_b32_e32 v1, 0, v3, vcc
	s_branch .LBB23_440
.LBB23_438:
	s_mov_b64 s[48:49], -1
	s_mov_b64 s[0:1], 0
	s_mov_b64 s[46:47], s[38:39]
                                        ; implicit-def: $vgpr4
	s_branch .LBB23_554
.LBB23_439:
	s_mov_b64 s[44:45], -1
                                        ; implicit-def: $vgpr1
.LBB23_440:
	s_mov_b64 s[46:47], 0
.LBB23_441:
	s_and_b64 vcc, exec, s[46:47]
	s_cbranch_vccz .LBB23_445
; %bb.442:
	v_mov_b32_e32 v1, 29
	v_cmp_eq_u16_sdwa s[44:45], v9, v1 src0_sel:BYTE_0 src1_sel:DWORD
	s_and_b64 vcc, exec, s[44:45]
	s_cbranch_vccz .LBB23_444
; %bb.443:
	global_load_dwordx2 v[10:11], v[4:5], off
	s_mov_b64 s[0:1], -1
	s_mov_b64 s[44:45], 0
	s_mov_b64 s[46:47], 0
	s_waitcnt vmcnt(0)
	v_ffbh_u32_e32 v1, v11
	v_min_u32_e32 v1, 32, v1
	v_lshlrev_b64 v[10:11], v1, v[10:11]
	v_min_u32_e32 v3, 1, v10
	v_or_b32_e32 v3, v11, v3
	v_cvt_f32_u32_e32 v3, v3
	v_sub_u32_e32 v1, 32, v1
	v_ldexp_f32 v1, v3, v1
	v_cvt_f16_f32_e32 v1, v1
	s_branch .LBB23_446
.LBB23_444:
	s_mov_b64 s[44:45], -1
                                        ; implicit-def: $vgpr1
.LBB23_445:
	s_mov_b64 s[46:47], 0
.LBB23_446:
	s_and_b64 vcc, exec, s[46:47]
	s_cbranch_vccz .LBB23_464
; %bb.447:
	v_mov_b32_e32 v1, 27
	v_cmp_lt_i16_sdwa s[0:1], v9, v1 src0_sel:BYTE_0 src1_sel:DWORD
	s_and_b64 vcc, exec, s[0:1]
	s_cbranch_vccnz .LBB23_450
; %bb.448:
	v_cmp_gt_i16_sdwa s[0:1], v9, v1 src0_sel:BYTE_0 src1_sel:DWORD
	s_and_b64 vcc, exec, s[0:1]
	s_cbranch_vccz .LBB23_451
; %bb.449:
	global_load_dword v1, v[4:5], off
	s_mov_b64 s[0:1], 0
	s_waitcnt vmcnt(0)
	v_cvt_f32_u32_e32 v1, v1
	v_cvt_f16_f32_e32 v1, v1
	s_branch .LBB23_452
.LBB23_450:
	s_mov_b64 s[0:1], -1
                                        ; implicit-def: $vgpr1
	s_branch .LBB23_455
.LBB23_451:
	s_mov_b64 s[0:1], -1
                                        ; implicit-def: $vgpr1
.LBB23_452:
	s_andn2_b64 vcc, exec, s[0:1]
	s_cbranch_vccnz .LBB23_454
; %bb.453:
	global_load_ushort v1, v[4:5], off
	s_waitcnt vmcnt(0)
	v_cvt_f16_u16_e32 v1, v1
.LBB23_454:
	s_mov_b64 s[0:1], 0
.LBB23_455:
	s_andn2_b64 vcc, exec, s[0:1]
	s_cbranch_vccnz .LBB23_463
; %bb.456:
	global_load_ubyte v3, v[4:5], off
	s_movk_i32 s0, 0x7f
                                        ; implicit-def: $sgpr52
	s_waitcnt vmcnt(0)
	v_cmp_lt_i16_e32 vcc, s0, v3
	s_mov_b64 s[0:1], 0
	s_and_saveexec_b64 s[46:47], vcc
	s_xor_b64 s[46:47], exec, s[46:47]
	s_cbranch_execz .LBB23_477
; %bb.457:
	s_movk_i32 s0, 0x80
	v_cmp_eq_u16_e32 vcc, s0, v3
	s_mov_b64 s[0:1], -1
                                        ; implicit-def: $sgpr52
	s_and_saveexec_b64 s[48:49], vcc
; %bb.458:
	s_movk_i32 s52, 0x7e00
	s_xor_b64 s[0:1], exec, -1
; %bb.459:
	s_or_b64 exec, exec, s[48:49]
	s_and_b64 s[0:1], s[0:1], exec
	s_or_saveexec_b64 s[46:47], s[46:47]
	v_mov_b32_e32 v1, s52
	s_xor_b64 exec, exec, s[46:47]
	s_cbranch_execnz .LBB23_478
.LBB23_460:
	s_or_b64 exec, exec, s[46:47]
	s_and_saveexec_b64 s[46:47], s[0:1]
	s_cbranch_execz .LBB23_462
.LBB23_461:
	v_lshlrev_b32_e32 v1, 24, v3
	v_and_b32_e32 v3, 0xffff, v3
	v_and_b32_e32 v10, 7, v3
	v_ffbh_u32_e32 v12, v10
	v_min_u32_e32 v12, 32, v12
	v_subrev_u32_e32 v13, 28, v12
	v_bfe_u32 v11, v3, 3, 4
	v_lshlrev_b32_e32 v3, v13, v3
	v_sub_u32_e32 v12, 29, v12
	v_and_b32_e32 v3, 7, v3
	v_cmp_eq_u32_e32 vcc, 0, v11
	v_cndmask_b32_e32 v11, v11, v12, vcc
	v_cndmask_b32_e32 v3, v10, v3, vcc
	v_mov_b32_e32 v10, 0x3b800000
	v_lshlrev_b32_e32 v3, 20, v3
	v_and_b32_e32 v1, 0x80000000, v1
	v_lshl_add_u32 v10, v11, 23, v10
	v_or3_b32 v1, v1, v10, v3
	v_cvt_f16_f32_e32 v1, v1
.LBB23_462:
	s_or_b64 exec, exec, s[46:47]
.LBB23_463:
	s_mov_b64 s[0:1], -1
.LBB23_464:
	s_mov_b64 s[46:47], 0
.LBB23_465:
	s_and_b64 vcc, exec, s[46:47]
	s_cbranch_vccz .LBB23_500
; %bb.466:
	v_mov_b32_e32 v1, 22
	v_cmp_gt_i16_sdwa s[46:47], v9, v1 src0_sel:BYTE_0 src1_sel:DWORD
	s_and_b64 vcc, exec, s[46:47]
	s_cbranch_vccz .LBB23_476
; %bb.467:
	v_mov_b32_e32 v1, 24
	v_cmp_lt_i16_sdwa s[0:1], v9, v1 src0_sel:BYTE_0 src1_sel:DWORD
	s_and_b64 vcc, exec, s[0:1]
	s_cbranch_vccnz .LBB23_479
; %bb.468:
	v_cmp_gt_i16_sdwa s[0:1], v9, v1 src0_sel:BYTE_0 src1_sel:DWORD
	s_and_b64 vcc, exec, s[0:1]
	s_cbranch_vccz .LBB23_480
; %bb.469:
	global_load_ubyte v3, v[4:5], off
	s_movk_i32 s0, 0x7f
                                        ; implicit-def: $sgpr52
	s_waitcnt vmcnt(0)
	v_cmp_lt_i16_e32 vcc, s0, v3
	s_mov_b64 s[0:1], 0
	s_and_saveexec_b64 s[46:47], vcc
	s_xor_b64 s[46:47], exec, s[46:47]
	s_cbranch_execz .LBB23_492
; %bb.470:
	s_movk_i32 s0, 0x80
	v_cmp_eq_u16_e32 vcc, s0, v3
	s_mov_b64 s[0:1], -1
                                        ; implicit-def: $sgpr52
	s_and_saveexec_b64 s[48:49], vcc
; %bb.471:
	s_movk_i32 s52, 0x7e00
	s_xor_b64 s[0:1], exec, -1
; %bb.472:
	s_or_b64 exec, exec, s[48:49]
	s_and_b64 s[0:1], s[0:1], exec
	s_or_saveexec_b64 s[46:47], s[46:47]
	v_mov_b32_e32 v1, s52
	s_xor_b64 exec, exec, s[46:47]
	s_cbranch_execnz .LBB23_493
.LBB23_473:
	s_or_b64 exec, exec, s[46:47]
	s_and_saveexec_b64 s[46:47], s[0:1]
	s_cbranch_execz .LBB23_475
.LBB23_474:
	v_lshlrev_b32_e32 v1, 24, v3
	v_and_b32_e32 v3, 0xffff, v3
	v_and_b32_e32 v10, 3, v3
	v_ffbh_u32_e32 v12, v10
	v_min_u32_e32 v12, 32, v12
	v_subrev_u32_e32 v13, 29, v12
	v_bfe_u32 v11, v3, 2, 5
	v_lshlrev_b32_e32 v3, v13, v3
	v_sub_u32_e32 v12, 30, v12
	v_and_b32_e32 v3, 3, v3
	v_cmp_eq_u32_e32 vcc, 0, v11
	v_cndmask_b32_e32 v11, v11, v12, vcc
	v_cndmask_b32_e32 v3, v10, v3, vcc
	v_mov_b32_e32 v10, 0x37800000
	v_lshlrev_b32_e32 v3, 21, v3
	v_and_b32_e32 v1, 0x80000000, v1
	v_lshl_add_u32 v10, v11, 23, v10
	v_or3_b32 v1, v1, v10, v3
	v_cvt_f16_f32_e32 v1, v1
.LBB23_475:
	s_or_b64 exec, exec, s[46:47]
	s_mov_b64 s[0:1], 0
	s_branch .LBB23_481
.LBB23_476:
	s_mov_b64 s[46:47], -1
                                        ; implicit-def: $vgpr1
	s_branch .LBB23_487
.LBB23_477:
	s_or_saveexec_b64 s[46:47], s[46:47]
	v_mov_b32_e32 v1, s52
	s_xor_b64 exec, exec, s[46:47]
	s_cbranch_execz .LBB23_460
.LBB23_478:
	v_cmp_ne_u16_e32 vcc, 0, v3
	s_andn2_b64 s[0:1], s[0:1], exec
	s_and_b64 s[48:49], vcc, exec
	s_or_b64 s[0:1], s[0:1], s[48:49]
	v_mov_b32_e32 v1, v3
	s_or_b64 exec, exec, s[46:47]
	s_and_saveexec_b64 s[46:47], s[0:1]
	s_cbranch_execnz .LBB23_461
	s_branch .LBB23_462
.LBB23_479:
	s_mov_b64 s[0:1], -1
                                        ; implicit-def: $vgpr1
	s_branch .LBB23_484
.LBB23_480:
	s_mov_b64 s[0:1], -1
                                        ; implicit-def: $vgpr1
.LBB23_481:
	s_and_b64 vcc, exec, s[0:1]
	s_cbranch_vccz .LBB23_483
; %bb.482:
	global_load_ubyte v1, v[4:5], off
	s_mov_b32 s0, 0x7f800000
	s_waitcnt vmcnt(0)
	v_lshlrev_b32_e32 v1, 24, v1
	v_and_b32_e32 v3, 0x7f000000, v1
	v_ffbh_u32_e32 v10, v3
	v_min_u32_e32 v10, 32, v10
	v_sub_u32_e64 v10, v10, 4 clamp
	v_lshlrev_b32_e32 v12, v10, v3
	v_lshlrev_b32_e32 v10, 23, v10
	v_lshrrev_b32_e32 v12, 4, v12
	v_add_u32_e32 v11, 0x1000000, v3
	v_sub_u32_e32 v10, v12, v10
	v_ashrrev_i32_e32 v11, 8, v11
	v_add_u32_e32 v10, 0x3c000000, v10
	v_and_or_b32 v10, v11, s0, v10
	v_cmp_ne_u32_e32 vcc, 0, v3
	v_cndmask_b32_e32 v3, 0, v10, vcc
	s_brev_b32 s0, 1
	v_and_or_b32 v1, v1, s0, v3
	v_cvt_f16_f32_e32 v1, v1
.LBB23_483:
	s_mov_b64 s[0:1], 0
.LBB23_484:
	s_andn2_b64 vcc, exec, s[0:1]
	s_cbranch_vccnz .LBB23_486
; %bb.485:
	global_load_ubyte v1, v[4:5], off
	s_movk_i32 s0, 0x7f00
	s_brev_b32 s1, 16
	s_waitcnt vmcnt(0)
	v_lshlrev_b16_e32 v3, 8, v1
	v_lshlrev_b32_e32 v1, 25, v1
	v_lshrrev_b32_e32 v10, 4, v1
	v_and_or_b32 v11, v3, s0, 0.5
	v_or_b32_e32 v10, 0x70000000, v10
	v_add_f32_e32 v11, -0.5, v11
	v_mul_f32_e32 v10, 0x7800000, v10
	v_cmp_gt_u32_e32 vcc, s1, v1
	v_bfe_i32 v3, v3, 0, 16
	v_cndmask_b32_e32 v1, v10, v11, vcc
	s_brev_b32 s0, 1
	v_and_or_b32 v1, v3, s0, v1
	v_cvt_f16_f32_e32 v1, v1
.LBB23_486:
	s_mov_b64 s[46:47], 0
	s_mov_b64 s[0:1], -1
.LBB23_487:
	s_andn2_b64 vcc, exec, s[46:47]
	s_cbranch_vccnz .LBB23_500
; %bb.488:
	v_mov_b32_e32 v1, 14
	v_cmp_gt_i16_sdwa s[46:47], v9, v1 src0_sel:BYTE_0 src1_sel:DWORD
	s_and_b64 vcc, exec, s[46:47]
	s_cbranch_vccz .LBB23_491
; %bb.489:
	v_mov_b32_e32 v1, 15
	v_cmp_eq_u16_sdwa s[44:45], v9, v1 src0_sel:BYTE_0 src1_sel:DWORD
	s_and_b64 vcc, exec, s[44:45]
	s_cbranch_vccz .LBB23_494
; %bb.490:
	global_load_ushort v1, v[4:5], off
	s_mov_b64 s[0:1], -1
	s_mov_b64 s[44:45], 0
	s_waitcnt vmcnt(0)
	v_lshlrev_b32_e32 v1, 16, v1
	v_cvt_f16_f32_e32 v1, v1
	s_branch .LBB23_495
.LBB23_491:
	s_mov_b64 s[46:47], -1
                                        ; implicit-def: $vgpr1
	s_branch .LBB23_496
.LBB23_492:
	s_or_saveexec_b64 s[46:47], s[46:47]
	v_mov_b32_e32 v1, s52
	s_xor_b64 exec, exec, s[46:47]
	s_cbranch_execz .LBB23_473
.LBB23_493:
	v_cmp_ne_u16_e32 vcc, 0, v3
	s_andn2_b64 s[0:1], s[0:1], exec
	s_and_b64 s[48:49], vcc, exec
	s_or_b64 s[0:1], s[0:1], s[48:49]
	v_mov_b32_e32 v1, v3
	s_or_b64 exec, exec, s[46:47]
	s_and_saveexec_b64 s[46:47], s[0:1]
	s_cbranch_execnz .LBB23_474
	s_branch .LBB23_475
.LBB23_494:
	s_mov_b64 s[44:45], -1
                                        ; implicit-def: $vgpr1
.LBB23_495:
	s_mov_b64 s[46:47], 0
.LBB23_496:
	s_and_b64 vcc, exec, s[46:47]
	s_cbranch_vccz .LBB23_500
; %bb.497:
	v_mov_b32_e32 v1, 11
	v_cmp_eq_u16_sdwa s[44:45], v9, v1 src0_sel:BYTE_0 src1_sel:DWORD
	s_and_b64 vcc, exec, s[44:45]
	s_cbranch_vccz .LBB23_499
; %bb.498:
	global_load_ubyte v1, v[4:5], off
	v_mov_b32_e32 v3, 0x3c00
	s_mov_b64 s[0:1], -1
	s_mov_b64 s[44:45], 0
	s_waitcnt vmcnt(0)
	v_cmp_ne_u16_e32 vcc, 0, v1
	v_cndmask_b32_e32 v1, 0, v3, vcc
	s_branch .LBB23_500
.LBB23_499:
	s_mov_b64 s[44:45], -1
                                        ; implicit-def: $vgpr1
.LBB23_500:
	s_branch .LBB23_416
.LBB23_501:
	v_mov_b32_e32 v1, 5
	v_cmp_lt_i16_sdwa s[0:1], v9, v1 src0_sel:BYTE_0 src1_sel:DWORD
	s_and_b64 vcc, exec, s[0:1]
	s_cbranch_vccnz .LBB23_506
; %bb.502:
	v_mov_b32_e32 v1, 8
	v_cmp_lt_i16_sdwa s[0:1], v9, v1 src0_sel:BYTE_0 src1_sel:DWORD
	s_and_b64 vcc, exec, s[0:1]
	s_cbranch_vccnz .LBB23_507
; %bb.503:
	;; [unrolled: 5-line block ×3, first 2 shown]
	v_cmp_gt_i16_sdwa s[0:1], v9, v1 src0_sel:BYTE_0 src1_sel:DWORD
	s_and_b64 vcc, exec, s[0:1]
	s_cbranch_vccz .LBB23_509
; %bb.505:
	global_load_dwordx2 v[10:11], v[4:5], off
	s_mov_b64 s[0:1], 0
	s_waitcnt vmcnt(0)
	v_cvt_f32_f64_e32 v1, v[10:11]
	v_cvt_f16_f32_e32 v1, v1
	s_branch .LBB23_510
.LBB23_506:
	s_mov_b64 s[0:1], -1
                                        ; implicit-def: $vgpr1
	s_branch .LBB23_528
.LBB23_507:
	s_mov_b64 s[0:1], -1
                                        ; implicit-def: $vgpr1
	s_branch .LBB23_516
.LBB23_508:
	s_mov_b64 s[0:1], -1
                                        ; implicit-def: $vgpr1
	s_branch .LBB23_513
.LBB23_509:
	s_mov_b64 s[0:1], -1
                                        ; implicit-def: $vgpr1
.LBB23_510:
	s_andn2_b64 vcc, exec, s[0:1]
	s_cbranch_vccnz .LBB23_512
; %bb.511:
	global_load_dword v1, v[4:5], off
	s_waitcnt vmcnt(0)
	v_cvt_f16_f32_e32 v1, v1
.LBB23_512:
	s_mov_b64 s[0:1], 0
.LBB23_513:
	s_andn2_b64 vcc, exec, s[0:1]
	s_cbranch_vccnz .LBB23_515
; %bb.514:
	global_load_dword v1, v[4:5], off
.LBB23_515:
	s_mov_b64 s[0:1], 0
.LBB23_516:
	s_andn2_b64 vcc, exec, s[0:1]
	s_cbranch_vccnz .LBB23_527
; %bb.517:
	s_waitcnt vmcnt(0)
	v_mov_b32_e32 v1, 6
	v_cmp_lt_i16_sdwa s[0:1], v9, v1 src0_sel:BYTE_0 src1_sel:DWORD
	s_and_b64 vcc, exec, s[0:1]
	s_cbranch_vccnz .LBB23_520
; %bb.518:
	v_cmp_gt_i16_sdwa s[0:1], v9, v1 src0_sel:BYTE_0 src1_sel:DWORD
	s_and_b64 vcc, exec, s[0:1]
	s_cbranch_vccz .LBB23_521
; %bb.519:
	global_load_dwordx2 v[10:11], v[4:5], off
	s_mov_b64 s[0:1], 0
	s_waitcnt vmcnt(0)
	v_cvt_f32_f64_e32 v1, v[10:11]
	v_cvt_f16_f32_e32 v1, v1
	s_branch .LBB23_522
.LBB23_520:
	s_mov_b64 s[0:1], -1
                                        ; implicit-def: $vgpr1
	s_branch .LBB23_525
.LBB23_521:
	s_mov_b64 s[0:1], -1
                                        ; implicit-def: $vgpr1
.LBB23_522:
	s_andn2_b64 vcc, exec, s[0:1]
	s_cbranch_vccnz .LBB23_524
; %bb.523:
	global_load_dword v1, v[4:5], off
	s_waitcnt vmcnt(0)
	v_cvt_f16_f32_e32 v1, v1
.LBB23_524:
	s_mov_b64 s[0:1], 0
.LBB23_525:
	s_andn2_b64 vcc, exec, s[0:1]
	s_cbranch_vccnz .LBB23_527
; %bb.526:
	global_load_ushort v1, v[4:5], off
.LBB23_527:
	s_mov_b64 s[0:1], 0
.LBB23_528:
	s_andn2_b64 vcc, exec, s[0:1]
	s_cbranch_vccnz .LBB23_548
; %bb.529:
	s_waitcnt vmcnt(0)
	v_mov_b32_e32 v1, 2
	v_cmp_lt_i16_sdwa s[0:1], v9, v1 src0_sel:BYTE_0 src1_sel:DWORD
	s_and_b64 vcc, exec, s[0:1]
	s_cbranch_vccnz .LBB23_533
; %bb.530:
	v_mov_b32_e32 v1, 3
	v_cmp_lt_i16_sdwa s[0:1], v9, v1 src0_sel:BYTE_0 src1_sel:DWORD
	s_and_b64 vcc, exec, s[0:1]
	s_cbranch_vccnz .LBB23_534
; %bb.531:
	v_cmp_gt_i16_sdwa s[0:1], v9, v1 src0_sel:BYTE_0 src1_sel:DWORD
	s_and_b64 vcc, exec, s[0:1]
	s_cbranch_vccz .LBB23_535
; %bb.532:
	global_load_dwordx2 v[10:11], v[4:5], off
	s_mov_b64 s[0:1], 0
	s_waitcnt vmcnt(0)
	v_xor_b32_e32 v3, v10, v11
	v_ffbh_i32_e32 v1, v11
	v_ashrrev_i32_e32 v3, 31, v3
	v_add_u32_e32 v1, -1, v1
	v_add_u32_e32 v3, 32, v3
	v_min_u32_e32 v1, v1, v3
	v_lshlrev_b64 v[10:11], v1, v[10:11]
	v_min_u32_e32 v3, 1, v10
	v_or_b32_e32 v3, v11, v3
	v_cvt_f32_i32_e32 v3, v3
	v_sub_u32_e32 v1, 32, v1
	v_ldexp_f32 v1, v3, v1
	v_cvt_f16_f32_e32 v1, v1
	s_branch .LBB23_536
.LBB23_533:
	s_mov_b64 s[0:1], -1
                                        ; implicit-def: $vgpr1
	s_branch .LBB23_542
.LBB23_534:
	s_mov_b64 s[0:1], -1
                                        ; implicit-def: $vgpr1
	s_branch .LBB23_539
.LBB23_535:
	s_mov_b64 s[0:1], -1
                                        ; implicit-def: $vgpr1
.LBB23_536:
	s_andn2_b64 vcc, exec, s[0:1]
	s_cbranch_vccnz .LBB23_538
; %bb.537:
	global_load_dword v1, v[4:5], off
	s_waitcnt vmcnt(0)
	v_cvt_f32_i32_e32 v1, v1
	v_cvt_f16_f32_e32 v1, v1
.LBB23_538:
	s_mov_b64 s[0:1], 0
.LBB23_539:
	s_andn2_b64 vcc, exec, s[0:1]
	s_cbranch_vccnz .LBB23_541
; %bb.540:
	global_load_ushort v1, v[4:5], off
	s_waitcnt vmcnt(0)
	v_cvt_f16_i16_e32 v1, v1
.LBB23_541:
	s_mov_b64 s[0:1], 0
.LBB23_542:
	s_andn2_b64 vcc, exec, s[0:1]
	s_cbranch_vccnz .LBB23_548
; %bb.543:
	v_mov_b32_e32 v1, 0
	v_cmp_gt_i16_sdwa s[0:1], v9, v1 src0_sel:BYTE_0 src1_sel:DWORD
	s_and_b64 vcc, exec, s[0:1]
	s_cbranch_vccz .LBB23_545
; %bb.544:
	global_load_sbyte v1, v[4:5], off
	s_mov_b64 s[0:1], 0
	s_waitcnt vmcnt(0)
	v_cvt_f16_i16_e32 v1, v1
	s_branch .LBB23_546
.LBB23_545:
	s_mov_b64 s[0:1], -1
                                        ; implicit-def: $vgpr1
.LBB23_546:
	s_andn2_b64 vcc, exec, s[0:1]
	s_cbranch_vccnz .LBB23_548
; %bb.547:
	global_load_ubyte v1, v[4:5], off
	s_waitcnt vmcnt(0)
	v_cvt_f16_u16_e32 v1, v1
.LBB23_548:
	s_branch .LBB23_417
.LBB23_549:
	s_mov_b64 s[52:53], 0
	s_mov_b64 s[0:1], s[36:37]
	s_mov_b64 s[46:47], s[38:39]
.LBB23_550:
                                        ; implicit-def: $vgpr8
	s_branch .LBB23_792
.LBB23_551:
	s_or_saveexec_b64 s[48:49], s[48:49]
                                        ; implicit-def: $sgpr50
	s_xor_b64 exec, exec, s[48:49]
	s_cbranch_execz .LBB23_203
.LBB23_552:
	s_mov_b32 s50, 0x42800000
	v_add_f32_e64 v5, |v4|, s50
	v_and_b32_e32 v5, 0xff, v5
	v_cmp_ne_u32_e32 vcc, 0, v5
	s_andn2_b64 s[44:45], s[44:45], exec
	s_and_b64 s[52:53], vcc, exec
	s_mov_b32 s50, 0
	s_or_b64 s[44:45], s[44:45], s[52:53]
	s_or_b64 exec, exec, s[48:49]
	v_mov_b32_e32 v10, s50
	s_and_saveexec_b64 s[48:49], s[44:45]
	s_cbranch_execnz .LBB23_204
	s_branch .LBB23_205
.LBB23_553:
	s_mov_b64 s[46:47], -1
                                        ; implicit-def: $vgpr4
	s_mov_b64 s[0:1], 0
.LBB23_554:
	s_and_b64 vcc, exec, s[48:49]
	s_cbranch_vccz .LBB23_558
; %bb.555:
	v_mov_b32_e32 v4, 44
	v_cmp_eq_u16_sdwa s[46:47], v7, v4 src0_sel:BYTE_0 src1_sel:DWORD
	s_and_b64 vcc, exec, s[46:47]
	s_cbranch_vccz .LBB23_557
; %bb.556:
	global_load_ubyte v4, v[2:3], off
	s_movk_i32 s46, 0xff
	v_mov_b32_e32 v10, 0x7e00
	s_mov_b64 s[0:1], -1
	s_waitcnt vmcnt(0)
	v_lshlrev_b32_e32 v5, 23, v4
	v_cvt_f16_f32_e32 v5, v5
	v_cmp_ne_u32_e32 vcc, s46, v4
	s_mov_b64 s[46:47], 0
	v_cndmask_b32_e32 v5, v10, v5, vcc
	v_cmp_ne_u32_e32 vcc, 0, v4
	v_cndmask_b32_e32 v4, 0, v5, vcc
	s_branch .LBB23_558
.LBB23_557:
	s_mov_b64 s[46:47], -1
                                        ; implicit-def: $vgpr4
.LBB23_558:
	s_mov_b64 s[48:49], 0
.LBB23_559:
	s_and_b64 vcc, exec, s[48:49]
	s_cbranch_vccz .LBB23_563
; %bb.560:
	v_mov_b32_e32 v4, 29
	v_cmp_eq_u16_sdwa s[46:47], v7, v4 src0_sel:BYTE_0 src1_sel:DWORD
	s_and_b64 vcc, exec, s[46:47]
	s_cbranch_vccz .LBB23_562
; %bb.561:
	global_load_dwordx2 v[4:5], v[2:3], off
	s_mov_b64 s[0:1], -1
	s_mov_b64 s[46:47], 0
	s_mov_b64 s[48:49], 0
	s_waitcnt vmcnt(0)
	v_ffbh_u32_e32 v10, v5
	v_min_u32_e32 v10, 32, v10
	v_lshlrev_b64 v[4:5], v10, v[4:5]
	v_min_u32_e32 v4, 1, v4
	v_or_b32_e32 v4, v5, v4
	v_cvt_f32_u32_e32 v4, v4
	v_sub_u32_e32 v5, 32, v10
	v_ldexp_f32 v4, v4, v5
	v_cvt_f16_f32_e32 v4, v4
	s_branch .LBB23_564
.LBB23_562:
	s_mov_b64 s[46:47], -1
                                        ; implicit-def: $vgpr4
.LBB23_563:
	s_mov_b64 s[48:49], 0
.LBB23_564:
	s_and_b64 vcc, exec, s[48:49]
	s_cbranch_vccz .LBB23_582
; %bb.565:
	v_mov_b32_e32 v4, 27
	v_cmp_lt_i16_sdwa s[0:1], v7, v4 src0_sel:BYTE_0 src1_sel:DWORD
	s_and_b64 vcc, exec, s[0:1]
	s_cbranch_vccnz .LBB23_568
; %bb.566:
	v_cmp_gt_i16_sdwa s[0:1], v7, v4 src0_sel:BYTE_0 src1_sel:DWORD
	s_and_b64 vcc, exec, s[0:1]
	s_cbranch_vccz .LBB23_569
; %bb.567:
	global_load_dword v4, v[2:3], off
	s_mov_b64 s[0:1], 0
	s_waitcnt vmcnt(0)
	v_cvt_f32_u32_e32 v4, v4
	v_cvt_f16_f32_e32 v4, v4
	s_branch .LBB23_570
.LBB23_568:
	s_mov_b64 s[0:1], -1
                                        ; implicit-def: $vgpr4
	s_branch .LBB23_573
.LBB23_569:
	s_mov_b64 s[0:1], -1
                                        ; implicit-def: $vgpr4
.LBB23_570:
	s_andn2_b64 vcc, exec, s[0:1]
	s_cbranch_vccnz .LBB23_572
; %bb.571:
	global_load_ushort v4, v[2:3], off
	s_waitcnt vmcnt(0)
	v_cvt_f16_u16_e32 v4, v4
.LBB23_572:
	s_mov_b64 s[0:1], 0
.LBB23_573:
	s_andn2_b64 vcc, exec, s[0:1]
	s_cbranch_vccnz .LBB23_581
; %bb.574:
	global_load_ubyte v5, v[2:3], off
	s_movk_i32 s0, 0x7f
                                        ; implicit-def: $sgpr54
	s_waitcnt vmcnt(0)
	v_cmp_lt_i16_e32 vcc, s0, v5
	s_mov_b64 s[0:1], 0
	s_and_saveexec_b64 s[48:49], vcc
	s_xor_b64 s[48:49], exec, s[48:49]
	s_cbranch_execz .LBB23_595
; %bb.575:
	s_movk_i32 s0, 0x80
	v_cmp_eq_u16_e32 vcc, s0, v5
	s_mov_b64 s[0:1], -1
                                        ; implicit-def: $sgpr54
	s_and_saveexec_b64 s[52:53], vcc
; %bb.576:
	s_movk_i32 s54, 0x7e00
	s_xor_b64 s[0:1], exec, -1
; %bb.577:
	s_or_b64 exec, exec, s[52:53]
	s_and_b64 s[0:1], s[0:1], exec
	s_or_saveexec_b64 s[48:49], s[48:49]
	v_mov_b32_e32 v4, s54
	s_xor_b64 exec, exec, s[48:49]
	s_cbranch_execnz .LBB23_596
.LBB23_578:
	s_or_b64 exec, exec, s[48:49]
	s_and_saveexec_b64 s[48:49], s[0:1]
	s_cbranch_execz .LBB23_580
.LBB23_579:
	v_lshlrev_b32_e32 v4, 24, v5
	v_and_b32_e32 v5, 0xffff, v5
	v_and_b32_e32 v10, 7, v5
	v_ffbh_u32_e32 v12, v10
	v_min_u32_e32 v12, 32, v12
	v_subrev_u32_e32 v13, 28, v12
	v_bfe_u32 v11, v5, 3, 4
	v_lshlrev_b32_e32 v5, v13, v5
	v_sub_u32_e32 v12, 29, v12
	v_and_b32_e32 v5, 7, v5
	v_cmp_eq_u32_e32 vcc, 0, v11
	v_cndmask_b32_e32 v11, v11, v12, vcc
	v_cndmask_b32_e32 v5, v10, v5, vcc
	v_mov_b32_e32 v10, 0x3b800000
	v_lshlrev_b32_e32 v5, 20, v5
	v_and_b32_e32 v4, 0x80000000, v4
	v_lshl_add_u32 v10, v11, 23, v10
	v_or3_b32 v4, v4, v10, v5
	v_cvt_f16_f32_e32 v4, v4
.LBB23_580:
	s_or_b64 exec, exec, s[48:49]
.LBB23_581:
	s_mov_b64 s[0:1], -1
.LBB23_582:
	s_mov_b64 s[48:49], 0
.LBB23_583:
	s_and_b64 vcc, exec, s[48:49]
	s_cbranch_vccz .LBB23_618
; %bb.584:
	v_mov_b32_e32 v4, 22
	v_cmp_gt_i16_sdwa s[48:49], v7, v4 src0_sel:BYTE_0 src1_sel:DWORD
	s_and_b64 vcc, exec, s[48:49]
	s_cbranch_vccz .LBB23_594
; %bb.585:
	v_mov_b32_e32 v4, 24
	v_cmp_lt_i16_sdwa s[0:1], v7, v4 src0_sel:BYTE_0 src1_sel:DWORD
	s_and_b64 vcc, exec, s[0:1]
	s_cbranch_vccnz .LBB23_597
; %bb.586:
	v_cmp_gt_i16_sdwa s[0:1], v7, v4 src0_sel:BYTE_0 src1_sel:DWORD
	s_and_b64 vcc, exec, s[0:1]
	s_cbranch_vccz .LBB23_598
; %bb.587:
	global_load_ubyte v5, v[2:3], off
	s_movk_i32 s0, 0x7f
                                        ; implicit-def: $sgpr54
	s_waitcnt vmcnt(0)
	v_cmp_lt_i16_e32 vcc, s0, v5
	s_mov_b64 s[0:1], 0
	s_and_saveexec_b64 s[48:49], vcc
	s_xor_b64 s[48:49], exec, s[48:49]
	s_cbranch_execz .LBB23_610
; %bb.588:
	s_movk_i32 s0, 0x80
	v_cmp_eq_u16_e32 vcc, s0, v5
	s_mov_b64 s[0:1], -1
                                        ; implicit-def: $sgpr54
	s_and_saveexec_b64 s[52:53], vcc
; %bb.589:
	s_movk_i32 s54, 0x7e00
	s_xor_b64 s[0:1], exec, -1
; %bb.590:
	s_or_b64 exec, exec, s[52:53]
	s_and_b64 s[0:1], s[0:1], exec
	s_or_saveexec_b64 s[48:49], s[48:49]
	v_mov_b32_e32 v4, s54
	s_xor_b64 exec, exec, s[48:49]
	s_cbranch_execnz .LBB23_611
.LBB23_591:
	s_or_b64 exec, exec, s[48:49]
	s_and_saveexec_b64 s[48:49], s[0:1]
	s_cbranch_execz .LBB23_593
.LBB23_592:
	v_lshlrev_b32_e32 v4, 24, v5
	v_and_b32_e32 v5, 0xffff, v5
	v_and_b32_e32 v10, 3, v5
	v_ffbh_u32_e32 v12, v10
	v_min_u32_e32 v12, 32, v12
	v_subrev_u32_e32 v13, 29, v12
	v_bfe_u32 v11, v5, 2, 5
	v_lshlrev_b32_e32 v5, v13, v5
	v_sub_u32_e32 v12, 30, v12
	v_and_b32_e32 v5, 3, v5
	v_cmp_eq_u32_e32 vcc, 0, v11
	v_cndmask_b32_e32 v11, v11, v12, vcc
	v_cndmask_b32_e32 v5, v10, v5, vcc
	v_mov_b32_e32 v10, 0x37800000
	v_lshlrev_b32_e32 v5, 21, v5
	v_and_b32_e32 v4, 0x80000000, v4
	v_lshl_add_u32 v10, v11, 23, v10
	v_or3_b32 v4, v4, v10, v5
	v_cvt_f16_f32_e32 v4, v4
.LBB23_593:
	s_or_b64 exec, exec, s[48:49]
	s_mov_b64 s[0:1], 0
	s_branch .LBB23_599
.LBB23_594:
	s_mov_b64 s[48:49], -1
                                        ; implicit-def: $vgpr4
	s_branch .LBB23_605
.LBB23_595:
	s_or_saveexec_b64 s[48:49], s[48:49]
	v_mov_b32_e32 v4, s54
	s_xor_b64 exec, exec, s[48:49]
	s_cbranch_execz .LBB23_578
.LBB23_596:
	v_cmp_ne_u16_e32 vcc, 0, v5
	s_andn2_b64 s[0:1], s[0:1], exec
	s_and_b64 s[52:53], vcc, exec
	s_or_b64 s[0:1], s[0:1], s[52:53]
	v_mov_b32_e32 v4, v5
	s_or_b64 exec, exec, s[48:49]
	s_and_saveexec_b64 s[48:49], s[0:1]
	s_cbranch_execnz .LBB23_579
	s_branch .LBB23_580
.LBB23_597:
	s_mov_b64 s[0:1], -1
                                        ; implicit-def: $vgpr4
	s_branch .LBB23_602
.LBB23_598:
	s_mov_b64 s[0:1], -1
                                        ; implicit-def: $vgpr4
.LBB23_599:
	s_and_b64 vcc, exec, s[0:1]
	s_cbranch_vccz .LBB23_601
; %bb.600:
	global_load_ubyte v4, v[2:3], off
	s_mov_b32 s0, 0x7f800000
	s_waitcnt vmcnt(0)
	v_lshlrev_b32_e32 v4, 24, v4
	v_and_b32_e32 v5, 0x7f000000, v4
	v_ffbh_u32_e32 v10, v5
	v_min_u32_e32 v10, 32, v10
	v_sub_u32_e64 v10, v10, 4 clamp
	v_lshlrev_b32_e32 v12, v10, v5
	v_lshlrev_b32_e32 v10, 23, v10
	v_lshrrev_b32_e32 v12, 4, v12
	v_add_u32_e32 v11, 0x1000000, v5
	v_sub_u32_e32 v10, v12, v10
	v_ashrrev_i32_e32 v11, 8, v11
	v_add_u32_e32 v10, 0x3c000000, v10
	v_and_or_b32 v10, v11, s0, v10
	v_cmp_ne_u32_e32 vcc, 0, v5
	v_cndmask_b32_e32 v5, 0, v10, vcc
	s_brev_b32 s0, 1
	v_and_or_b32 v4, v4, s0, v5
	v_cvt_f16_f32_e32 v4, v4
.LBB23_601:
	s_mov_b64 s[0:1], 0
.LBB23_602:
	s_andn2_b64 vcc, exec, s[0:1]
	s_cbranch_vccnz .LBB23_604
; %bb.603:
	global_load_ubyte v4, v[2:3], off
	s_movk_i32 s0, 0x7f00
	s_brev_b32 s1, 16
	s_waitcnt vmcnt(0)
	v_lshlrev_b16_e32 v5, 8, v4
	v_lshlrev_b32_e32 v4, 25, v4
	v_lshrrev_b32_e32 v10, 4, v4
	v_and_or_b32 v11, v5, s0, 0.5
	v_or_b32_e32 v10, 0x70000000, v10
	v_add_f32_e32 v11, -0.5, v11
	v_mul_f32_e32 v10, 0x7800000, v10
	v_cmp_gt_u32_e32 vcc, s1, v4
	v_bfe_i32 v5, v5, 0, 16
	v_cndmask_b32_e32 v4, v10, v11, vcc
	s_brev_b32 s0, 1
	v_and_or_b32 v4, v5, s0, v4
	v_cvt_f16_f32_e32 v4, v4
.LBB23_604:
	s_mov_b64 s[48:49], 0
	s_mov_b64 s[0:1], -1
.LBB23_605:
	s_andn2_b64 vcc, exec, s[48:49]
	s_cbranch_vccnz .LBB23_618
; %bb.606:
	v_mov_b32_e32 v4, 14
	v_cmp_gt_i16_sdwa s[48:49], v7, v4 src0_sel:BYTE_0 src1_sel:DWORD
	s_and_b64 vcc, exec, s[48:49]
	s_cbranch_vccz .LBB23_609
; %bb.607:
	v_mov_b32_e32 v4, 15
	v_cmp_eq_u16_sdwa s[46:47], v7, v4 src0_sel:BYTE_0 src1_sel:DWORD
	s_and_b64 vcc, exec, s[46:47]
	s_cbranch_vccz .LBB23_612
; %bb.608:
	global_load_ushort v4, v[2:3], off
	s_mov_b64 s[0:1], -1
	s_mov_b64 s[46:47], 0
	s_waitcnt vmcnt(0)
	v_lshlrev_b32_e32 v4, 16, v4
	v_cvt_f16_f32_e32 v4, v4
	s_branch .LBB23_613
.LBB23_609:
	s_mov_b64 s[48:49], -1
                                        ; implicit-def: $vgpr4
	s_branch .LBB23_614
.LBB23_610:
	s_or_saveexec_b64 s[48:49], s[48:49]
	v_mov_b32_e32 v4, s54
	s_xor_b64 exec, exec, s[48:49]
	s_cbranch_execz .LBB23_591
.LBB23_611:
	v_cmp_ne_u16_e32 vcc, 0, v5
	s_andn2_b64 s[0:1], s[0:1], exec
	s_and_b64 s[52:53], vcc, exec
	s_or_b64 s[0:1], s[0:1], s[52:53]
	v_mov_b32_e32 v4, v5
	s_or_b64 exec, exec, s[48:49]
	s_and_saveexec_b64 s[48:49], s[0:1]
	s_cbranch_execnz .LBB23_592
	s_branch .LBB23_593
.LBB23_612:
	s_mov_b64 s[46:47], -1
                                        ; implicit-def: $vgpr4
.LBB23_613:
	s_mov_b64 s[48:49], 0
.LBB23_614:
	s_and_b64 vcc, exec, s[48:49]
	s_cbranch_vccz .LBB23_618
; %bb.615:
	v_mov_b32_e32 v4, 11
	v_cmp_eq_u16_sdwa s[46:47], v7, v4 src0_sel:BYTE_0 src1_sel:DWORD
	s_and_b64 vcc, exec, s[46:47]
	s_cbranch_vccz .LBB23_617
; %bb.616:
	global_load_ubyte v4, v[2:3], off
	v_mov_b32_e32 v5, 0x3c00
	s_mov_b64 s[0:1], -1
	s_mov_b64 s[46:47], 0
	s_waitcnt vmcnt(0)
	v_cmp_ne_u16_e32 vcc, 0, v4
	v_cndmask_b32_e32 v4, 0, v5, vcc
	s_branch .LBB23_618
.LBB23_617:
	s_mov_b64 s[46:47], -1
                                        ; implicit-def: $vgpr4
.LBB23_618:
	s_mov_b64 s[48:49], 0
.LBB23_619:
	s_and_b64 vcc, exec, s[48:49]
	s_cbranch_vccz .LBB23_668
; %bb.620:
	v_mov_b32_e32 v4, 5
	v_cmp_lt_i16_sdwa s[0:1], v7, v4 src0_sel:BYTE_0 src1_sel:DWORD
	s_and_b64 vcc, exec, s[0:1]
	s_cbranch_vccnz .LBB23_625
; %bb.621:
	v_mov_b32_e32 v4, 8
	v_cmp_lt_i16_sdwa s[0:1], v7, v4 src0_sel:BYTE_0 src1_sel:DWORD
	s_and_b64 vcc, exec, s[0:1]
	s_cbranch_vccnz .LBB23_626
	;; [unrolled: 5-line block ×3, first 2 shown]
; %bb.623:
	v_cmp_gt_i16_sdwa s[0:1], v7, v4 src0_sel:BYTE_0 src1_sel:DWORD
	s_and_b64 vcc, exec, s[0:1]
	s_cbranch_vccz .LBB23_628
; %bb.624:
	global_load_dwordx2 v[4:5], v[2:3], off
	s_mov_b64 s[0:1], 0
	s_waitcnt vmcnt(0)
	v_cvt_f32_f64_e32 v4, v[4:5]
	v_cvt_f16_f32_e32 v4, v4
	s_branch .LBB23_629
.LBB23_625:
	s_mov_b64 s[0:1], -1
                                        ; implicit-def: $vgpr4
	s_branch .LBB23_647
.LBB23_626:
	s_mov_b64 s[0:1], -1
                                        ; implicit-def: $vgpr4
	s_branch .LBB23_635
.LBB23_627:
	s_mov_b64 s[0:1], -1
                                        ; implicit-def: $vgpr4
	s_branch .LBB23_632
.LBB23_628:
	s_mov_b64 s[0:1], -1
                                        ; implicit-def: $vgpr4
.LBB23_629:
	s_andn2_b64 vcc, exec, s[0:1]
	s_cbranch_vccnz .LBB23_631
; %bb.630:
	global_load_dword v4, v[2:3], off
	s_waitcnt vmcnt(0)
	v_cvt_f16_f32_e32 v4, v4
.LBB23_631:
	s_mov_b64 s[0:1], 0
.LBB23_632:
	s_andn2_b64 vcc, exec, s[0:1]
	s_cbranch_vccnz .LBB23_634
; %bb.633:
	global_load_dword v4, v[2:3], off
.LBB23_634:
	s_mov_b64 s[0:1], 0
.LBB23_635:
	s_andn2_b64 vcc, exec, s[0:1]
	s_cbranch_vccnz .LBB23_646
; %bb.636:
	s_waitcnt vmcnt(0)
	v_mov_b32_e32 v4, 6
	v_cmp_lt_i16_sdwa s[0:1], v7, v4 src0_sel:BYTE_0 src1_sel:DWORD
	s_and_b64 vcc, exec, s[0:1]
	s_cbranch_vccnz .LBB23_639
; %bb.637:
	v_cmp_gt_i16_sdwa s[0:1], v7, v4 src0_sel:BYTE_0 src1_sel:DWORD
	s_and_b64 vcc, exec, s[0:1]
	s_cbranch_vccz .LBB23_640
; %bb.638:
	global_load_dwordx2 v[4:5], v[2:3], off
	s_mov_b64 s[0:1], 0
	s_waitcnt vmcnt(0)
	v_cvt_f32_f64_e32 v4, v[4:5]
	v_cvt_f16_f32_e32 v4, v4
	s_branch .LBB23_641
.LBB23_639:
	s_mov_b64 s[0:1], -1
                                        ; implicit-def: $vgpr4
	s_branch .LBB23_644
.LBB23_640:
	s_mov_b64 s[0:1], -1
                                        ; implicit-def: $vgpr4
.LBB23_641:
	s_andn2_b64 vcc, exec, s[0:1]
	s_cbranch_vccnz .LBB23_643
; %bb.642:
	global_load_dword v4, v[2:3], off
	s_waitcnt vmcnt(0)
	v_cvt_f16_f32_e32 v4, v4
.LBB23_643:
	s_mov_b64 s[0:1], 0
.LBB23_644:
	s_andn2_b64 vcc, exec, s[0:1]
	s_cbranch_vccnz .LBB23_646
; %bb.645:
	global_load_ushort v4, v[2:3], off
.LBB23_646:
	s_mov_b64 s[0:1], 0
.LBB23_647:
	s_andn2_b64 vcc, exec, s[0:1]
	s_cbranch_vccnz .LBB23_667
; %bb.648:
	s_waitcnt vmcnt(0)
	v_mov_b32_e32 v4, 2
	v_cmp_lt_i16_sdwa s[0:1], v7, v4 src0_sel:BYTE_0 src1_sel:DWORD
	s_and_b64 vcc, exec, s[0:1]
	s_cbranch_vccnz .LBB23_652
; %bb.649:
	v_mov_b32_e32 v4, 3
	v_cmp_lt_i16_sdwa s[0:1], v7, v4 src0_sel:BYTE_0 src1_sel:DWORD
	s_and_b64 vcc, exec, s[0:1]
	s_cbranch_vccnz .LBB23_653
; %bb.650:
	v_cmp_gt_i16_sdwa s[0:1], v7, v4 src0_sel:BYTE_0 src1_sel:DWORD
	s_and_b64 vcc, exec, s[0:1]
	s_cbranch_vccz .LBB23_654
; %bb.651:
	global_load_dwordx2 v[4:5], v[2:3], off
	s_mov_b64 s[0:1], 0
	s_waitcnt vmcnt(0)
	v_xor_b32_e32 v11, v4, v5
	v_ffbh_i32_e32 v10, v5
	v_ashrrev_i32_e32 v11, 31, v11
	v_add_u32_e32 v10, -1, v10
	v_add_u32_e32 v11, 32, v11
	v_min_u32_e32 v10, v10, v11
	v_lshlrev_b64 v[4:5], v10, v[4:5]
	v_min_u32_e32 v4, 1, v4
	v_or_b32_e32 v4, v5, v4
	v_cvt_f32_i32_e32 v4, v4
	v_sub_u32_e32 v5, 32, v10
	v_ldexp_f32 v4, v4, v5
	v_cvt_f16_f32_e32 v4, v4
	s_branch .LBB23_655
.LBB23_652:
	s_mov_b64 s[0:1], -1
                                        ; implicit-def: $vgpr4
	s_branch .LBB23_661
.LBB23_653:
	s_mov_b64 s[0:1], -1
                                        ; implicit-def: $vgpr4
	s_branch .LBB23_658
.LBB23_654:
	s_mov_b64 s[0:1], -1
                                        ; implicit-def: $vgpr4
.LBB23_655:
	s_andn2_b64 vcc, exec, s[0:1]
	s_cbranch_vccnz .LBB23_657
; %bb.656:
	global_load_dword v4, v[2:3], off
	s_waitcnt vmcnt(0)
	v_cvt_f32_i32_e32 v4, v4
	v_cvt_f16_f32_e32 v4, v4
.LBB23_657:
	s_mov_b64 s[0:1], 0
.LBB23_658:
	s_andn2_b64 vcc, exec, s[0:1]
	s_cbranch_vccnz .LBB23_660
; %bb.659:
	global_load_ushort v4, v[2:3], off
	s_waitcnt vmcnt(0)
	v_cvt_f16_i16_e32 v4, v4
.LBB23_660:
	s_mov_b64 s[0:1], 0
.LBB23_661:
	s_andn2_b64 vcc, exec, s[0:1]
	s_cbranch_vccnz .LBB23_667
; %bb.662:
	v_mov_b32_e32 v4, 0
	v_cmp_gt_i16_sdwa s[0:1], v7, v4 src0_sel:BYTE_0 src1_sel:DWORD
	s_and_b64 vcc, exec, s[0:1]
	s_cbranch_vccz .LBB23_664
; %bb.663:
	global_load_sbyte v4, v[2:3], off
	s_mov_b64 s[0:1], 0
	s_waitcnt vmcnt(0)
	v_cvt_f16_i16_e32 v4, v4
	s_branch .LBB23_665
.LBB23_664:
	s_mov_b64 s[0:1], -1
                                        ; implicit-def: $vgpr4
.LBB23_665:
	s_andn2_b64 vcc, exec, s[0:1]
	s_cbranch_vccnz .LBB23_667
; %bb.666:
	global_load_ubyte v2, v[2:3], off
	s_waitcnt vmcnt(0)
	v_cvt_f16_u16_e32 v4, v2
.LBB23_667:
	s_mov_b64 s[0:1], -1
.LBB23_668:
	s_andn2_b64 vcc, exec, s[0:1]
	s_cbranch_vccnz .LBB23_676
; %bb.669:
	s_waitcnt vmcnt(0)
	v_and_b32_e32 v3, 0x7fff, v1
	v_and_b32_e32 v1, 0xffff8000, v4
	v_or_b32_e32 v2, v1, v3
	v_mov_b32_e32 v1, s9
	v_add_co_u32_e32 v0, vcc, s8, v0
	v_mov_b32_e32 v4, 11
	v_addc_co_u32_e32 v1, vcc, 0, v1, vcc
	v_cmp_lt_i16_sdwa s[0:1], v6, v4 src0_sel:BYTE_0 src1_sel:DWORD
	s_and_b64 vcc, exec, s[0:1]
	s_cbranch_vccnz .LBB23_677
; %bb.670:
	v_mov_b32_e32 v4, 25
	v_cmp_gt_i16_sdwa s[0:1], v6, v4 src0_sel:BYTE_0 src1_sel:DWORD
	s_and_b64 vcc, exec, s[0:1]
	s_cbranch_vccz .LBB23_678
; %bb.671:
	v_mov_b32_e32 v4, 28
	v_cmp_gt_i16_sdwa s[0:1], v6, v4 src0_sel:BYTE_0 src1_sel:DWORD
	s_and_b64 vcc, exec, s[0:1]
	s_cbranch_vccz .LBB23_679
	;; [unrolled: 5-line block ×4, first 2 shown]
; %bb.674:
	v_mov_b32_e32 v4, 46
	v_cmp_eq_u16_sdwa s[48:49], v6, v4 src0_sel:BYTE_0 src1_sel:DWORD
	s_mov_b64 s[52:53], 0
	s_mov_b64 s[0:1], -1
	s_and_b64 vcc, exec, s[48:49]
	s_mov_b64 s[48:49], 0
	s_cbranch_vccz .LBB23_682
; %bb.675:
	v_cvt_f32_f16_e32 v4, v2
	s_movk_i32 s0, 0x7fff
	v_mov_b32_e32 v5, 0x7fc0
	v_cmp_o_f16_e32 vcc, v2, v2
	v_bfe_u32 v10, v4, 16, 1
	v_add3_u32 v4, v4, v10, s0
	v_lshrrev_b32_e32 v4, 16, v4
	v_cndmask_b32_e32 v4, v5, v4, vcc
	global_store_dword v[0:1], v4, off
	s_mov_b64 s[48:49], -1
	s_mov_b64 s[0:1], 0
	s_branch .LBB23_682
.LBB23_676:
	s_mov_b64 s[52:53], 0
                                        ; implicit-def: $vgpr8
	s_mov_b64 s[0:1], s[36:37]
	s_branch .LBB23_792
.LBB23_677:
	s_mov_b64 s[52:53], -1
	s_mov_b64 s[48:49], 0
	s_mov_b64 s[0:1], s[36:37]
	s_branch .LBB23_751
.LBB23_678:
	s_mov_b64 s[52:53], -1
	s_mov_b64 s[48:49], 0
	s_mov_b64 s[0:1], s[36:37]
	s_branch .LBB23_709
.LBB23_679:
	s_mov_b64 s[52:53], -1
	s_mov_b64 s[48:49], 0
	s_mov_b64 s[0:1], s[36:37]
	s_branch .LBB23_692
.LBB23_680:
	s_mov_b64 s[52:53], -1
	s_mov_b64 s[48:49], 0
	s_mov_b64 s[0:1], s[36:37]
	s_branch .LBB23_688
.LBB23_681:
	s_mov_b64 s[52:53], -1
	s_mov_b64 s[48:49], 0
	s_mov_b64 s[0:1], s[36:37]
.LBB23_682:
	s_and_b64 vcc, exec, s[52:53]
	s_cbranch_vccz .LBB23_687
; %bb.683:
	v_mov_b32_e32 v4, 44
	v_cmp_eq_u16_sdwa s[52:53], v6, v4 src0_sel:BYTE_0 src1_sel:DWORD
	s_mov_b64 s[0:1], -1
	s_and_b64 vcc, exec, s[52:53]
	s_cbranch_vccz .LBB23_687
; %bb.684:
	v_cvt_f32_f16_e32 v4, v2
	s_movk_i32 s0, 0xff
	v_mov_b32_e32 v10, 0xff
	v_bfe_u32 v5, v4, 23, 8
	v_cmp_ne_u32_e32 vcc, s0, v5
	s_and_saveexec_b64 s[48:49], vcc
; %bb.685:
	s_mov_b32 s0, 0x3fffff
	v_lshrrev_b32_e32 v10, 23, v4
	v_and_b32_e32 v11, 0x400000, v4
	v_and_or_b32 v4, v4, s0, v5
	v_cmp_ne_u32_e32 vcc, 0, v11
	v_cmp_ne_u32_e64 s[0:1], 0, v4
	s_and_b64 s[0:1], vcc, s[0:1]
	v_cndmask_b32_e64 v4, 0, 1, s[0:1]
	v_add_u32_e32 v10, v10, v4
; %bb.686:
	s_or_b64 exec, exec, s[48:49]
	s_mov_b64 s[48:49], -1
	s_mov_b64 s[0:1], 0
	global_store_byte v[0:1], v10, off
.LBB23_687:
	s_mov_b64 s[52:53], 0
.LBB23_688:
	s_and_b64 vcc, exec, s[52:53]
	s_cbranch_vccz .LBB23_691
; %bb.689:
	v_mov_b32_e32 v4, 29
	v_cmp_eq_u16_sdwa s[52:53], v6, v4 src0_sel:BYTE_0 src1_sel:DWORD
	s_mov_b64 s[0:1], -1
	s_and_b64 vcc, exec, s[52:53]
	s_cbranch_vccz .LBB23_691
; %bb.690:
	v_cvt_f32_f16_e32 v4, v2
	v_mov_b32_e32 v5, 0
	s_mov_b64 s[48:49], -1
	s_mov_b64 s[0:1], 0
	v_cvt_u32_f32_e32 v4, v4
	s_mov_b64 s[52:53], 0
	global_store_dwordx2 v[0:1], v[4:5], off
	s_branch .LBB23_692
.LBB23_691:
	s_mov_b64 s[52:53], 0
.LBB23_692:
	s_and_b64 vcc, exec, s[52:53]
	s_cbranch_vccz .LBB23_708
; %bb.693:
	v_mov_b32_e32 v4, 27
	v_cmp_lt_i16_sdwa s[52:53], v6, v4 src0_sel:BYTE_0 src1_sel:DWORD
	s_mov_b64 s[48:49], -1
	s_and_b64 vcc, exec, s[52:53]
	s_cbranch_vccnz .LBB23_699
; %bb.694:
	v_cmp_gt_i16_sdwa s[52:53], v6, v4 src0_sel:BYTE_0 src1_sel:DWORD
	s_and_b64 vcc, exec, s[52:53]
	s_cbranch_vccz .LBB23_696
; %bb.695:
	v_cvt_f32_f16_e32 v4, v2
	s_mov_b64 s[48:49], 0
	v_cvt_u32_f32_e32 v4, v4
	global_store_dword v[0:1], v4, off
.LBB23_696:
	s_andn2_b64 vcc, exec, s[48:49]
	s_cbranch_vccnz .LBB23_698
; %bb.697:
	v_cvt_u16_f16_e32 v4, v2
	global_store_short v[0:1], v4, off
.LBB23_698:
	s_mov_b64 s[48:49], 0
.LBB23_699:
	s_andn2_b64 vcc, exec, s[48:49]
	s_cbranch_vccnz .LBB23_707
; %bb.700:
	v_cvt_f32_f16_e32 v4, v2
	s_mov_b32 s48, 0x43800000
	v_mov_b32_e32 v10, 0x80
	v_and_b32_e32 v5, 0x7fffffff, v4
	v_cmp_gt_u32_e32 vcc, s48, v5
	s_and_saveexec_b64 s[48:49], vcc
	s_cbranch_execz .LBB23_706
; %bb.701:
	s_mov_b32 s52, 0x3bffffff
	v_cmp_lt_u32_e32 vcc, s52, v5
	s_mov_b64 s[52:53], 0
                                        ; implicit-def: $vgpr5
	s_and_saveexec_b64 s[54:55], vcc
	s_xor_b64 s[54:55], exec, s[54:55]
	s_cbranch_execz .LBB23_819
; %bb.702:
	v_bfe_u32 v5, v4, 20, 1
	s_mov_b32 s56, 0x487ffff
	v_add3_u32 v5, v4, v5, s56
	s_mov_b64 s[52:53], exec
	v_lshrrev_b32_e32 v5, 20, v5
	s_or_saveexec_b64 s[54:55], s[54:55]
                                        ; implicit-def: $sgpr56
	s_xor_b64 exec, exec, s[54:55]
	s_cbranch_execnz .LBB23_820
.LBB23_703:
	s_or_b64 exec, exec, s[54:55]
	v_mov_b32_e32 v10, s56
	s_and_saveexec_b64 s[54:55], s[52:53]
.LBB23_704:
	v_lshrrev_b32_e32 v4, 24, v4
	s_movk_i32 s52, 0x80
	v_and_or_b32 v10, v4, s52, v5
.LBB23_705:
	s_or_b64 exec, exec, s[54:55]
.LBB23_706:
	s_or_b64 exec, exec, s[48:49]
	global_store_byte v[0:1], v10, off
.LBB23_707:
	s_mov_b64 s[48:49], -1
.LBB23_708:
	s_mov_b64 s[52:53], 0
.LBB23_709:
	s_and_b64 vcc, exec, s[52:53]
	s_cbranch_vccz .LBB23_750
; %bb.710:
	v_mov_b32_e32 v4, 22
	v_cmp_gt_i16_sdwa s[54:55], v6, v4 src0_sel:BYTE_0 src1_sel:DWORD
	s_mov_b64 s[52:53], -1
	s_and_b64 vcc, exec, s[54:55]
	s_cbranch_vccz .LBB23_742
; %bb.711:
	v_mov_b32_e32 v4, 24
	v_cmp_lt_i16_sdwa s[52:53], v6, v4 src0_sel:BYTE_0 src1_sel:DWORD
	s_mov_b64 s[48:49], -1
	s_and_b64 vcc, exec, s[52:53]
	s_cbranch_vccnz .LBB23_731
; %bb.712:
	v_cmp_gt_i16_sdwa s[52:53], v6, v4 src0_sel:BYTE_0 src1_sel:DWORD
	s_and_b64 vcc, exec, s[52:53]
	s_cbranch_vccz .LBB23_720
; %bb.713:
	v_cvt_f32_f16_e32 v4, v2
	s_mov_b32 s48, 0x47800000
	v_mov_b32_e32 v10, 0x80
	v_and_b32_e32 v5, 0x7fffffff, v4
	v_cmp_gt_u32_e32 vcc, s48, v5
	s_and_saveexec_b64 s[48:49], vcc
	s_cbranch_execz .LBB23_719
; %bb.714:
	s_mov_b32 s52, 0x37ffffff
	v_cmp_lt_u32_e32 vcc, s52, v5
	s_mov_b64 s[52:53], 0
                                        ; implicit-def: $vgpr5
	s_and_saveexec_b64 s[54:55], vcc
	s_xor_b64 s[54:55], exec, s[54:55]
	s_cbranch_execz .LBB23_951
; %bb.715:
	v_bfe_u32 v5, v4, 21, 1
	s_mov_b32 s56, 0x88fffff
	v_add3_u32 v5, v4, v5, s56
	s_mov_b64 s[52:53], exec
	v_lshrrev_b32_e32 v5, 21, v5
	s_or_saveexec_b64 s[54:55], s[54:55]
                                        ; implicit-def: $sgpr56
	s_xor_b64 exec, exec, s[54:55]
	s_cbranch_execnz .LBB23_952
.LBB23_716:
	s_or_b64 exec, exec, s[54:55]
	v_mov_b32_e32 v10, s56
	s_and_saveexec_b64 s[54:55], s[52:53]
.LBB23_717:
	v_lshrrev_b32_e32 v4, 24, v4
	s_movk_i32 s52, 0x80
	v_and_or_b32 v10, v4, s52, v5
.LBB23_718:
	s_or_b64 exec, exec, s[54:55]
.LBB23_719:
	s_or_b64 exec, exec, s[48:49]
	s_mov_b64 s[48:49], 0
	global_store_byte v[0:1], v10, off
.LBB23_720:
	s_and_b64 vcc, exec, s[48:49]
	s_cbranch_vccz .LBB23_730
; %bb.721:
	v_cvt_f32_f16_e32 v4, v2
	s_mov_b32 s48, 0x43f00000
                                        ; implicit-def: $vgpr5
	v_and_b32_e32 v10, 0x7fffffff, v4
	v_cmp_gt_u32_e32 vcc, s48, v10
	s_and_saveexec_b64 s[48:49], vcc
	s_xor_b64 s[48:49], exec, s[48:49]
	s_cbranch_execz .LBB23_727
; %bb.722:
	s_mov_b32 s52, 0x3c7fffff
	v_cmp_lt_u32_e32 vcc, s52, v10
                                        ; implicit-def: $vgpr5
	s_and_saveexec_b64 s[52:53], vcc
	s_xor_b64 s[52:53], exec, s[52:53]
; %bb.723:
	v_bfe_u32 v5, v4, 20, 1
	s_mov_b32 s54, 0x407ffff
	v_add3_u32 v5, v4, v5, s54
	v_lshrrev_b32_e32 v10, 20, v5
	v_and_b32_e32 v5, 0xff00000, v5
	s_mov_b32 s54, 0x7f00000
	v_mov_b32_e32 v11, 0x7e
	v_cmp_ne_u32_e32 vcc, s54, v5
	v_cndmask_b32_e32 v5, v11, v10, vcc
; %bb.724:
	s_andn2_saveexec_b64 s[52:53], s[52:53]
; %bb.725:
	s_mov_b32 s54, 0x46800000
	v_add_f32_e64 v5, |v4|, s54
; %bb.726:
	s_or_b64 exec, exec, s[52:53]
                                        ; implicit-def: $vgpr10
.LBB23_727:
	s_andn2_saveexec_b64 s[48:49], s[48:49]
; %bb.728:
	s_mov_b32 s52, 0x7f800000
	v_mov_b32_e32 v5, 0x7e
	v_mov_b32_e32 v11, 0x7f
	v_cmp_lt_u32_e32 vcc, s52, v10
	v_cndmask_b32_e32 v5, v5, v11, vcc
; %bb.729:
	s_or_b64 exec, exec, s[48:49]
	v_lshrrev_b32_e32 v4, 24, v4
	s_movk_i32 s48, 0x80
	v_and_or_b32 v4, v4, s48, v5
	global_store_byte v[0:1], v4, off
.LBB23_730:
	s_mov_b64 s[48:49], 0
.LBB23_731:
	s_andn2_b64 vcc, exec, s[48:49]
	s_cbranch_vccnz .LBB23_741
; %bb.732:
	v_cvt_f32_f16_e32 v4, v2
	s_mov_b32 s48, 0x47800000
                                        ; implicit-def: $vgpr5
	v_and_b32_e32 v10, 0x7fffffff, v4
	v_cmp_gt_u32_e32 vcc, s48, v10
	s_and_saveexec_b64 s[48:49], vcc
	s_xor_b64 s[48:49], exec, s[48:49]
	s_cbranch_execz .LBB23_738
; %bb.733:
	s_mov_b32 s52, 0x387fffff
	v_cmp_lt_u32_e32 vcc, s52, v10
                                        ; implicit-def: $vgpr5
	s_and_saveexec_b64 s[52:53], vcc
	s_xor_b64 s[52:53], exec, s[52:53]
; %bb.734:
	v_bfe_u32 v5, v4, 21, 1
	s_mov_b32 s54, 0x80fffff
	v_add3_u32 v5, v4, v5, s54
	v_lshrrev_b32_e32 v5, 21, v5
; %bb.735:
	s_andn2_saveexec_b64 s[52:53], s[52:53]
; %bb.736:
	s_mov_b32 s54, 0x43000000
	v_add_f32_e64 v5, |v4|, s54
; %bb.737:
	s_or_b64 exec, exec, s[52:53]
                                        ; implicit-def: $vgpr10
.LBB23_738:
	s_andn2_saveexec_b64 s[48:49], s[48:49]
; %bb.739:
	s_mov_b32 s52, 0x7f800000
	v_mov_b32_e32 v5, 0x7c
	v_mov_b32_e32 v11, 0x7f
	v_cmp_lt_u32_e32 vcc, s52, v10
	v_cndmask_b32_e32 v5, v5, v11, vcc
; %bb.740:
	s_or_b64 exec, exec, s[48:49]
	v_lshrrev_b32_e32 v4, 24, v4
	s_movk_i32 s48, 0x80
	v_and_or_b32 v4, v4, s48, v5
	global_store_byte v[0:1], v4, off
.LBB23_741:
	s_mov_b64 s[52:53], 0
	s_mov_b64 s[48:49], -1
.LBB23_742:
	s_andn2_b64 vcc, exec, s[52:53]
	s_cbranch_vccnz .LBB23_750
; %bb.743:
	v_mov_b32_e32 v4, 14
	v_cmp_gt_i16_sdwa s[54:55], v6, v4 src0_sel:BYTE_0 src1_sel:DWORD
	s_mov_b64 s[52:53], -1
	s_and_b64 vcc, exec, s[54:55]
	s_cbranch_vccz .LBB23_747
; %bb.744:
	v_mov_b32_e32 v4, 15
	v_cmp_eq_u16_sdwa s[52:53], v6, v4 src0_sel:BYTE_0 src1_sel:DWORD
	s_mov_b64 s[0:1], -1
	s_and_b64 vcc, exec, s[52:53]
	s_cbranch_vccz .LBB23_746
; %bb.745:
	v_cvt_f32_f16_e32 v4, v2
	s_movk_i32 s0, 0x7fff
	v_mov_b32_e32 v5, 0x7fc0
	v_cmp_o_f16_e32 vcc, v2, v2
	v_bfe_u32 v10, v4, 16, 1
	v_add3_u32 v4, v4, v10, s0
	v_lshrrev_b32_e32 v4, 16, v4
	v_cndmask_b32_e32 v4, v5, v4, vcc
	global_store_short v[0:1], v4, off
	s_mov_b64 s[48:49], -1
	s_mov_b64 s[0:1], 0
.LBB23_746:
	s_mov_b64 s[52:53], 0
.LBB23_747:
	s_and_b64 vcc, exec, s[52:53]
	s_cbranch_vccz .LBB23_750
; %bb.748:
	v_mov_b32_e32 v4, 11
	v_cmp_eq_u16_sdwa s[52:53], v6, v4 src0_sel:BYTE_0 src1_sel:DWORD
	s_mov_b64 s[0:1], -1
	s_and_b64 vcc, exec, s[52:53]
	s_cbranch_vccz .LBB23_750
; %bb.749:
	v_cmp_ne_u16_e32 vcc, 0, v3
	v_cndmask_b32_e64 v3, 0, 1, vcc
	s_mov_b64 s[48:49], -1
	s_mov_b64 s[0:1], 0
	global_store_byte v[0:1], v3, off
.LBB23_750:
	s_mov_b64 s[52:53], 0
.LBB23_751:
	s_and_b64 vcc, exec, s[52:53]
	s_cbranch_vccz .LBB23_790
; %bb.752:
	v_mov_b32_e32 v3, 5
	v_cmp_lt_i16_sdwa s[52:53], v6, v3 src0_sel:BYTE_0 src1_sel:DWORD
	s_mov_b64 s[48:49], -1
	s_and_b64 vcc, exec, s[52:53]
	s_cbranch_vccnz .LBB23_773
; %bb.753:
	v_mov_b32_e32 v3, 8
	v_cmp_lt_i16_sdwa s[52:53], v6, v3 src0_sel:BYTE_0 src1_sel:DWORD
	s_and_b64 vcc, exec, s[52:53]
	s_cbranch_vccnz .LBB23_763
; %bb.754:
	v_mov_b32_e32 v3, 9
	v_cmp_lt_i16_sdwa s[52:53], v6, v3 src0_sel:BYTE_0 src1_sel:DWORD
	s_and_b64 vcc, exec, s[52:53]
	s_cbranch_vccnz .LBB23_760
; %bb.755:
	v_cmp_gt_i16_sdwa s[52:53], v6, v3 src0_sel:BYTE_0 src1_sel:DWORD
	s_and_b64 vcc, exec, s[52:53]
	s_cbranch_vccz .LBB23_757
; %bb.756:
	v_cvt_f32_f16_e32 v3, v2
	v_mov_b32_e32 v12, 0
	v_mov_b32_e32 v13, v12
	s_mov_b64 s[48:49], 0
	v_cvt_f64_f32_e32 v[10:11], v3
	global_store_dwordx4 v[0:1], v[10:13], off
.LBB23_757:
	s_andn2_b64 vcc, exec, s[48:49]
	s_cbranch_vccnz .LBB23_759
; %bb.758:
	v_cvt_f32_f16_e32 v4, v2
	v_mov_b32_e32 v5, 0
	global_store_dwordx2 v[0:1], v[4:5], off
.LBB23_759:
	s_mov_b64 s[48:49], 0
.LBB23_760:
	s_andn2_b64 vcc, exec, s[48:49]
	s_cbranch_vccnz .LBB23_762
; %bb.761:
	v_and_b32_e32 v3, 0xffff, v2
	global_store_dword v[0:1], v3, off
.LBB23_762:
	s_mov_b64 s[48:49], 0
.LBB23_763:
	s_andn2_b64 vcc, exec, s[48:49]
	s_cbranch_vccnz .LBB23_772
; %bb.764:
	v_mov_b32_e32 v3, 6
	v_cmp_lt_i16_sdwa s[52:53], v6, v3 src0_sel:BYTE_0 src1_sel:DWORD
	s_mov_b64 s[48:49], -1
	s_and_b64 vcc, exec, s[52:53]
	s_cbranch_vccnz .LBB23_770
; %bb.765:
	v_cmp_gt_i16_sdwa s[52:53], v6, v3 src0_sel:BYTE_0 src1_sel:DWORD
	s_and_b64 vcc, exec, s[52:53]
	s_cbranch_vccz .LBB23_767
; %bb.766:
	v_cvt_f32_f16_e32 v3, v2
	s_mov_b64 s[48:49], 0
	v_cvt_f64_f32_e32 v[4:5], v3
	global_store_dwordx2 v[0:1], v[4:5], off
.LBB23_767:
	s_andn2_b64 vcc, exec, s[48:49]
	s_cbranch_vccnz .LBB23_769
; %bb.768:
	v_cvt_f32_f16_e32 v3, v2
	global_store_dword v[0:1], v3, off
.LBB23_769:
	s_mov_b64 s[48:49], 0
.LBB23_770:
	s_andn2_b64 vcc, exec, s[48:49]
	s_cbranch_vccnz .LBB23_772
; %bb.771:
	global_store_short v[0:1], v2, off
.LBB23_772:
	s_mov_b64 s[48:49], 0
.LBB23_773:
	s_andn2_b64 vcc, exec, s[48:49]
	s_cbranch_vccnz .LBB23_789
; %bb.774:
	v_mov_b32_e32 v3, 2
	v_cmp_lt_i16_sdwa s[52:53], v6, v3 src0_sel:BYTE_0 src1_sel:DWORD
	s_mov_b64 s[48:49], -1
	s_and_b64 vcc, exec, s[52:53]
	s_cbranch_vccnz .LBB23_784
; %bb.775:
	v_mov_b32_e32 v3, 3
	v_cmp_lt_i16_sdwa s[52:53], v6, v3 src0_sel:BYTE_0 src1_sel:DWORD
	s_and_b64 vcc, exec, s[52:53]
	s_cbranch_vccnz .LBB23_781
; %bb.776:
	v_cmp_gt_i16_sdwa s[52:53], v6, v3 src0_sel:BYTE_0 src1_sel:DWORD
	s_and_b64 vcc, exec, s[52:53]
	s_cbranch_vccz .LBB23_778
; %bb.777:
	v_cvt_f32_f16_e32 v3, v2
	s_mov_b64 s[48:49], 0
	v_cvt_i32_f32_e32 v4, v3
	v_ashrrev_i32_e32 v5, 31, v4
	global_store_dwordx2 v[0:1], v[4:5], off
.LBB23_778:
	s_andn2_b64 vcc, exec, s[48:49]
	s_cbranch_vccnz .LBB23_780
; %bb.779:
	v_cvt_f32_f16_e32 v3, v2
	v_cvt_i32_f32_e32 v3, v3
	global_store_dword v[0:1], v3, off
.LBB23_780:
	s_mov_b64 s[48:49], 0
.LBB23_781:
	s_andn2_b64 vcc, exec, s[48:49]
	s_cbranch_vccnz .LBB23_783
; %bb.782:
	v_cvt_i16_f16_e32 v3, v2
	global_store_short v[0:1], v3, off
.LBB23_783:
	s_mov_b64 s[48:49], 0
.LBB23_784:
	s_andn2_b64 vcc, exec, s[48:49]
	s_cbranch_vccnz .LBB23_789
; %bb.785:
	v_mov_b32_e32 v3, 0
	v_cmp_gt_i16_sdwa s[52:53], v6, v3 src0_sel:BYTE_0 src1_sel:DWORD
	s_mov_b64 s[48:49], -1
	s_and_b64 vcc, exec, s[52:53]
	s_cbranch_vccz .LBB23_787
; %bb.786:
	v_cvt_i16_f16_e32 v3, v2
	s_mov_b64 s[48:49], 0
	global_store_byte v[0:1], v3, off
.LBB23_787:
	s_andn2_b64 vcc, exec, s[48:49]
	s_cbranch_vccnz .LBB23_789
; %bb.788:
	v_cvt_f32_f16_e32 v2, v2
	v_cvt_i32_f32_e32 v2, v2
	global_store_byte v[0:1], v2, off
.LBB23_789:
	s_mov_b64 s[48:49], -1
.LBB23_790:
	s_andn2_b64 vcc, exec, s[48:49]
	s_cbranch_vccnz .LBB23_814
; %bb.791:
	v_add_u32_e32 v8, 0x80, v8
	s_mov_b64 s[52:53], -1
.LBB23_792:
	s_andn2_b64 s[48:49], s[36:37], exec
	s_and_b64 s[0:1], s[0:1], exec
	s_or_b64 s[48:49], s[48:49], s[0:1]
	s_andn2_b64 s[0:1], s[38:39], exec
	s_and_b64 s[46:47], s[46:47], exec
	s_or_b64 s[46:47], s[0:1], s[46:47]
	;; [unrolled: 3-line block ×3, first 2 shown]
	s_orn2_b64 s[0:1], s[52:53], exec
.LBB23_793:
	s_or_b64 exec, exec, s[50:51]
	s_mov_b64 s[52:53], 0
	s_mov_b64 s[54:55], 0
	;; [unrolled: 1-line block ×3, first 2 shown]
                                        ; implicit-def: $vgpr3
                                        ; implicit-def: $vgpr4_vgpr5
                                        ; implicit-def: $vgpr2
                                        ; implicit-def: $vgpr0
                                        ; implicit-def: $vgpr1
	s_and_saveexec_b64 s[50:51], s[0:1]
	s_cbranch_execz .LBB23_1288
; %bb.794:
	v_cmp_gt_i32_e32 vcc, s66, v8
	s_mov_b64 s[64:65], -1
	s_mov_b64 s[0:1], s[44:45]
	s_mov_b64 s[56:57], s[46:47]
	;; [unrolled: 1-line block ×3, first 2 shown]
	s_and_saveexec_b64 s[52:53], vcc
	s_cbranch_execz .LBB23_1193
; %bb.795:
	s_andn2_b64 vcc, exec, s[20:21]
	s_cbranch_vccnz .LBB23_802
; %bb.796:
	s_andn2_b64 vcc, exec, s[34:35]
	v_mov_b32_e32 v2, 0
	s_waitcnt vmcnt(0)
	v_mov_b32_e32 v4, 0
	v_mov_b32_e32 v0, 0
	s_cbranch_vccnz .LBB23_801
; %bb.797:
	s_add_i32 s0, s69, 1
	s_and_b32 s54, s0, 30
	s_add_u32 s0, s2, 0xffffffec
	s_addc_u32 s1, s3, -1
	v_mov_b32_e32 v0, 0
	v_mov_b32_e32 v1, v8
	;; [unrolled: 1-line block ×4, first 2 shown]
.LBB23_798:                             ; =>This Inner Loop Header: Depth=1
	s_mov_b64 s[64:65], s[0:1]
	s_load_dwordx4 s[56:59], s[64:65], 0x18
	s_load_dwordx2 s[70:71], s[64:65], 0x28
	s_load_dwordx2 s[72:73], s[64:65], 0xe8
	s_load_dwordx4 s[60:63], s[64:65], 0xd8
	s_add_u32 s0, s64, 24
	s_waitcnt lgkmcnt(0)
	v_mul_hi_u32 v3, s57, v1
	v_add_u32_e32 v3, v1, v3
	v_lshrrev_b32_e32 v3, s58, v3
	v_mul_lo_u32 v5, v3, s56
	v_mul_hi_u32 v10, s70, v3
	v_sub_u32_e32 v1, v1, v5
	v_add_u32_e32 v5, v3, v10
	v_mul_lo_u32 v10, v1, s60
	v_mul_lo_u32 v11, v1, s61
	;; [unrolled: 1-line block ×3, first 2 shown]
	v_lshrrev_b32_e32 v1, s71, v5
	v_mul_lo_u32 v5, v1, s59
	v_sub_u32_e32 v3, v3, v5
	s_addc_u32 s1, s65, 0
	s_add_i32 s54, s54, -2
	v_mul_lo_u32 v5, v3, s63
	v_mul_lo_u32 v13, v3, s72
	;; [unrolled: 1-line block ×3, first 2 shown]
	s_cmp_eq_u32 s54, 0
	v_add3_u32 v0, v10, v0, v5
	v_add3_u32 v2, v12, v2, v3
	;; [unrolled: 1-line block ×3, first 2 shown]
	s_cbranch_scc0 .LBB23_798
; %bb.799:
	s_bitcmp1_b32 s69, 0
	s_cselect_b64 s[54:55], -1, 0
	s_and_b64 vcc, exec, s[54:55]
	s_cbranch_vccnz .LBB23_801
; %bb.800:
	s_load_dwordx2 s[54:55], s[0:1], 0x18
	s_load_dword s56, s[0:1], 0x20
	s_load_dword s57, s[0:1], 0xe0
	s_nop 0
	s_load_dwordx2 s[0:1], s[0:1], 0xd8
	s_waitcnt lgkmcnt(0)
	v_mul_hi_u32 v3, s55, v1
	v_add_u32_e32 v3, v1, v3
	v_lshrrev_b32_e32 v3, s56, v3
	v_mul_lo_u32 v3, v3, s54
	v_sub_u32_e32 v3, v1, v3
	v_mad_u64_u32 v[0:1], s[54:55], v3, s0, v[0:1]
	v_mad_u64_u32 v[4:5], s[0:1], v3, s1, v[4:5]
	;; [unrolled: 1-line block ×3, first 2 shown]
.LBB23_801:
	s_mov_b64 s[0:1], 0
	s_branch .LBB23_803
.LBB23_802:
	s_mov_b64 s[0:1], -1
                                        ; implicit-def: $vgpr2
                                        ; implicit-def: $vgpr4
                                        ; implicit-def: $vgpr0
.LBB23_803:
	s_andn2_b64 vcc, exec, s[0:1]
	s_cbranch_vccnz .LBB23_806
; %bb.804:
	s_waitcnt lgkmcnt(0)
	v_mul_hi_u32 v0, s17, v8
	v_add_u32_e32 v0, v8, v0
	s_waitcnt vmcnt(0)
	v_lshrrev_b32_e32 v1, s18, v0
	v_mul_lo_u32 v0, v1, s16
	v_sub_u32_e32 v3, v8, v0
	v_mul_lo_u32 v0, v3, s12
	v_mul_lo_u32 v2, v3, s14
	s_andn2_b64 vcc, exec, s[30:31]
	v_mul_lo_u32 v4, v3, s13
	s_cbranch_vccnz .LBB23_806
; %bb.805:
	v_mul_hi_u32 v3, s28, v1
	v_add_u32_e32 v3, v1, v3
	v_lshrrev_b32_e32 v3, s29, v3
	v_mul_lo_u32 v3, v3, s19
	v_sub_u32_e32 v3, v1, v3
	v_mad_u64_u32 v[0:1], s[0:1], v3, s15, v[0:1]
	v_mad_u64_u32 v[4:5], s[0:1], v3, s26, v[4:5]
	;; [unrolled: 1-line block ×3, first 2 shown]
.LBB23_806:
	s_waitcnt vmcnt(0) lgkmcnt(0)
	v_mov_b32_e32 v1, s11
	v_add_co_u32_e32 v4, vcc, s10, v4
	v_addc_co_u32_e32 v5, vcc, 0, v1, vcc
	v_mov_b32_e32 v1, 11
	v_cmp_lt_i16_sdwa s[0:1], v9, v1 src0_sel:BYTE_0 src1_sel:DWORD
	s_and_b64 vcc, exec, s[0:1]
	s_cbranch_vccnz .LBB23_813
; %bb.807:
	v_mov_b32_e32 v1, 25
	v_cmp_gt_i16_sdwa s[0:1], v9, v1 src0_sel:BYTE_0 src1_sel:DWORD
	s_and_b64 vcc, exec, s[0:1]
	s_cbranch_vccz .LBB23_815
; %bb.808:
	v_mov_b32_e32 v1, 28
	v_cmp_gt_i16_sdwa s[0:1], v9, v1 src0_sel:BYTE_0 src1_sel:DWORD
	s_and_b64 vcc, exec, s[0:1]
	s_cbranch_vccz .LBB23_816
	;; [unrolled: 5-line block ×4, first 2 shown]
; %bb.811:
	v_mov_b32_e32 v1, 46
	v_cmp_eq_u16_sdwa s[0:1], v9, v1 src0_sel:BYTE_0 src1_sel:DWORD
	s_mov_b64 s[56:57], 0
	s_and_b64 vcc, exec, s[0:1]
	s_cbranch_vccz .LBB23_821
; %bb.812:
	global_load_dword v1, v[4:5], off
	s_mov_b64 s[0:1], -1
	s_mov_b64 s[54:55], 0
	s_waitcnt vmcnt(0)
	v_lshlrev_b32_e32 v1, 16, v1
	v_cvt_f16_f32_e32 v1, v1
	s_branch .LBB23_822
.LBB23_813:
	s_mov_b64 s[56:57], -1
	s_mov_b64 s[0:1], 0
                                        ; implicit-def: $vgpr1
	s_mov_b64 s[54:55], s[44:45]
	s_branch .LBB23_887
.LBB23_814:
	s_mov_b64 s[52:53], 0
	s_branch .LBB23_550
.LBB23_815:
	s_mov_b64 s[56:57], -1
	s_mov_b64 s[0:1], 0
	s_mov_b64 s[54:55], s[44:45]
                                        ; implicit-def: $vgpr1
	s_branch .LBB23_851
.LBB23_816:
	s_mov_b64 s[56:57], -1
	s_mov_b64 s[0:1], 0
	s_mov_b64 s[54:55], s[44:45]
                                        ; implicit-def: $vgpr1
	s_branch .LBB23_832
.LBB23_817:
	s_mov_b64 s[56:57], -1
	s_mov_b64 s[0:1], 0
	s_mov_b64 s[54:55], s[44:45]
                                        ; implicit-def: $vgpr1
	s_branch .LBB23_827
.LBB23_818:
	s_mov_b64 s[56:57], -1
	s_mov_b64 s[0:1], 0
	s_mov_b64 s[54:55], s[44:45]
                                        ; implicit-def: $vgpr1
	s_branch .LBB23_822
.LBB23_819:
	s_or_saveexec_b64 s[54:55], s[54:55]
                                        ; implicit-def: $sgpr56
	s_xor_b64 exec, exec, s[54:55]
	s_cbranch_execz .LBB23_703
.LBB23_820:
	s_mov_b32 s56, 0x46000000
	v_add_f32_e64 v5, |v4|, s56
	v_and_b32_e32 v5, 0xff, v5
	v_cmp_ne_u32_e32 vcc, 0, v5
	s_andn2_b64 s[52:53], s[52:53], exec
	s_and_b64 s[58:59], vcc, exec
	s_mov_b32 s56, 0
	s_or_b64 s[52:53], s[52:53], s[58:59]
	s_or_b64 exec, exec, s[54:55]
	v_mov_b32_e32 v10, s56
	s_and_saveexec_b64 s[54:55], s[52:53]
	s_cbranch_execnz .LBB23_704
	s_branch .LBB23_705
.LBB23_821:
	s_mov_b64 s[54:55], -1
                                        ; implicit-def: $vgpr1
	s_mov_b64 s[0:1], 0
.LBB23_822:
	s_and_b64 vcc, exec, s[56:57]
	s_cbranch_vccz .LBB23_826
; %bb.823:
	v_mov_b32_e32 v1, 44
	v_cmp_eq_u16_sdwa s[54:55], v9, v1 src0_sel:BYTE_0 src1_sel:DWORD
	s_and_b64 vcc, exec, s[54:55]
	s_cbranch_vccz .LBB23_825
; %bb.824:
	global_load_ubyte v1, v[4:5], off
	s_movk_i32 s54, 0xff
	v_mov_b32_e32 v10, 0x7e00
	s_mov_b64 s[0:1], -1
	s_waitcnt vmcnt(0)
	v_lshlrev_b32_e32 v3, 23, v1
	v_cvt_f16_f32_e32 v3, v3
	v_cmp_ne_u32_e32 vcc, s54, v1
	s_mov_b64 s[54:55], 0
	v_cndmask_b32_e32 v3, v10, v3, vcc
	v_cmp_ne_u32_e32 vcc, 0, v1
	v_cndmask_b32_e32 v1, 0, v3, vcc
	s_branch .LBB23_826
.LBB23_825:
	s_mov_b64 s[54:55], -1
                                        ; implicit-def: $vgpr1
.LBB23_826:
	s_mov_b64 s[56:57], 0
.LBB23_827:
	s_and_b64 vcc, exec, s[56:57]
	s_cbranch_vccz .LBB23_831
; %bb.828:
	v_mov_b32_e32 v1, 29
	v_cmp_eq_u16_sdwa s[54:55], v9, v1 src0_sel:BYTE_0 src1_sel:DWORD
	s_and_b64 vcc, exec, s[54:55]
	s_cbranch_vccz .LBB23_830
; %bb.829:
	global_load_dwordx2 v[10:11], v[4:5], off
	s_mov_b64 s[0:1], -1
	s_mov_b64 s[54:55], 0
	s_mov_b64 s[56:57], 0
	s_waitcnt vmcnt(0)
	v_ffbh_u32_e32 v1, v11
	v_min_u32_e32 v1, 32, v1
	v_lshlrev_b64 v[10:11], v1, v[10:11]
	v_min_u32_e32 v3, 1, v10
	v_or_b32_e32 v3, v11, v3
	v_cvt_f32_u32_e32 v3, v3
	v_sub_u32_e32 v1, 32, v1
	v_ldexp_f32 v1, v3, v1
	v_cvt_f16_f32_e32 v1, v1
	s_branch .LBB23_832
.LBB23_830:
	s_mov_b64 s[54:55], -1
                                        ; implicit-def: $vgpr1
.LBB23_831:
	s_mov_b64 s[56:57], 0
.LBB23_832:
	s_and_b64 vcc, exec, s[56:57]
	s_cbranch_vccz .LBB23_850
; %bb.833:
	v_mov_b32_e32 v1, 27
	v_cmp_lt_i16_sdwa s[0:1], v9, v1 src0_sel:BYTE_0 src1_sel:DWORD
	s_and_b64 vcc, exec, s[0:1]
	s_cbranch_vccnz .LBB23_836
; %bb.834:
	v_cmp_gt_i16_sdwa s[0:1], v9, v1 src0_sel:BYTE_0 src1_sel:DWORD
	s_and_b64 vcc, exec, s[0:1]
	s_cbranch_vccz .LBB23_837
; %bb.835:
	global_load_dword v1, v[4:5], off
	s_mov_b64 s[0:1], 0
	s_waitcnt vmcnt(0)
	v_cvt_f32_u32_e32 v1, v1
	v_cvt_f16_f32_e32 v1, v1
	s_branch .LBB23_838
.LBB23_836:
	s_mov_b64 s[0:1], -1
                                        ; implicit-def: $vgpr1
	s_branch .LBB23_841
.LBB23_837:
	s_mov_b64 s[0:1], -1
                                        ; implicit-def: $vgpr1
.LBB23_838:
	s_andn2_b64 vcc, exec, s[0:1]
	s_cbranch_vccnz .LBB23_840
; %bb.839:
	global_load_ushort v1, v[4:5], off
	s_waitcnt vmcnt(0)
	v_cvt_f16_u16_e32 v1, v1
.LBB23_840:
	s_mov_b64 s[0:1], 0
.LBB23_841:
	s_andn2_b64 vcc, exec, s[0:1]
	s_cbranch_vccnz .LBB23_849
; %bb.842:
	global_load_ubyte v3, v[4:5], off
	s_movk_i32 s0, 0x7f
                                        ; implicit-def: $sgpr60
	s_waitcnt vmcnt(0)
	v_cmp_lt_i16_e32 vcc, s0, v3
	s_mov_b64 s[0:1], 0
	s_and_saveexec_b64 s[56:57], vcc
	s_xor_b64 s[56:57], exec, s[56:57]
	s_cbranch_execz .LBB23_863
; %bb.843:
	s_movk_i32 s0, 0x80
	v_cmp_eq_u16_e32 vcc, s0, v3
	s_mov_b64 s[0:1], -1
                                        ; implicit-def: $sgpr60
	s_and_saveexec_b64 s[58:59], vcc
; %bb.844:
	s_movk_i32 s60, 0x7e00
	s_xor_b64 s[0:1], exec, -1
; %bb.845:
	s_or_b64 exec, exec, s[58:59]
	s_and_b64 s[0:1], s[0:1], exec
	s_or_saveexec_b64 s[56:57], s[56:57]
	v_mov_b32_e32 v1, s60
	s_xor_b64 exec, exec, s[56:57]
	s_cbranch_execnz .LBB23_864
.LBB23_846:
	s_or_b64 exec, exec, s[56:57]
	s_and_saveexec_b64 s[56:57], s[0:1]
	s_cbranch_execz .LBB23_848
.LBB23_847:
	v_lshlrev_b32_e32 v1, 24, v3
	v_and_b32_e32 v3, 0xffff, v3
	v_and_b32_e32 v10, 7, v3
	v_ffbh_u32_e32 v12, v10
	v_min_u32_e32 v12, 32, v12
	v_subrev_u32_e32 v13, 28, v12
	v_bfe_u32 v11, v3, 3, 4
	v_lshlrev_b32_e32 v3, v13, v3
	v_sub_u32_e32 v12, 29, v12
	v_and_b32_e32 v3, 7, v3
	v_cmp_eq_u32_e32 vcc, 0, v11
	v_cndmask_b32_e32 v11, v11, v12, vcc
	v_cndmask_b32_e32 v3, v10, v3, vcc
	v_mov_b32_e32 v10, 0x3b800000
	v_lshlrev_b32_e32 v3, 20, v3
	v_and_b32_e32 v1, 0x80000000, v1
	v_lshl_add_u32 v10, v11, 23, v10
	v_or3_b32 v1, v1, v10, v3
	v_cvt_f16_f32_e32 v1, v1
.LBB23_848:
	s_or_b64 exec, exec, s[56:57]
.LBB23_849:
	s_mov_b64 s[0:1], -1
.LBB23_850:
	s_mov_b64 s[56:57], 0
.LBB23_851:
	s_and_b64 vcc, exec, s[56:57]
	s_cbranch_vccz .LBB23_886
; %bb.852:
	v_mov_b32_e32 v1, 22
	v_cmp_gt_i16_sdwa s[56:57], v9, v1 src0_sel:BYTE_0 src1_sel:DWORD
	s_and_b64 vcc, exec, s[56:57]
	s_cbranch_vccz .LBB23_862
; %bb.853:
	v_mov_b32_e32 v1, 24
	v_cmp_lt_i16_sdwa s[0:1], v9, v1 src0_sel:BYTE_0 src1_sel:DWORD
	s_and_b64 vcc, exec, s[0:1]
	s_cbranch_vccnz .LBB23_865
; %bb.854:
	v_cmp_gt_i16_sdwa s[0:1], v9, v1 src0_sel:BYTE_0 src1_sel:DWORD
	s_and_b64 vcc, exec, s[0:1]
	s_cbranch_vccz .LBB23_866
; %bb.855:
	global_load_ubyte v3, v[4:5], off
	s_movk_i32 s0, 0x7f
                                        ; implicit-def: $sgpr60
	s_waitcnt vmcnt(0)
	v_cmp_lt_i16_e32 vcc, s0, v3
	s_mov_b64 s[0:1], 0
	s_and_saveexec_b64 s[56:57], vcc
	s_xor_b64 s[56:57], exec, s[56:57]
	s_cbranch_execz .LBB23_878
; %bb.856:
	s_movk_i32 s0, 0x80
	v_cmp_eq_u16_e32 vcc, s0, v3
	s_mov_b64 s[0:1], -1
                                        ; implicit-def: $sgpr60
	s_and_saveexec_b64 s[58:59], vcc
; %bb.857:
	s_movk_i32 s60, 0x7e00
	s_xor_b64 s[0:1], exec, -1
; %bb.858:
	s_or_b64 exec, exec, s[58:59]
	s_and_b64 s[0:1], s[0:1], exec
	s_or_saveexec_b64 s[56:57], s[56:57]
	v_mov_b32_e32 v1, s60
	s_xor_b64 exec, exec, s[56:57]
	s_cbranch_execnz .LBB23_879
.LBB23_859:
	s_or_b64 exec, exec, s[56:57]
	s_and_saveexec_b64 s[56:57], s[0:1]
	s_cbranch_execz .LBB23_861
.LBB23_860:
	v_lshlrev_b32_e32 v1, 24, v3
	v_and_b32_e32 v3, 0xffff, v3
	v_and_b32_e32 v10, 3, v3
	v_ffbh_u32_e32 v12, v10
	v_min_u32_e32 v12, 32, v12
	v_subrev_u32_e32 v13, 29, v12
	v_bfe_u32 v11, v3, 2, 5
	v_lshlrev_b32_e32 v3, v13, v3
	v_sub_u32_e32 v12, 30, v12
	v_and_b32_e32 v3, 3, v3
	v_cmp_eq_u32_e32 vcc, 0, v11
	v_cndmask_b32_e32 v11, v11, v12, vcc
	v_cndmask_b32_e32 v3, v10, v3, vcc
	v_mov_b32_e32 v10, 0x37800000
	v_lshlrev_b32_e32 v3, 21, v3
	v_and_b32_e32 v1, 0x80000000, v1
	v_lshl_add_u32 v10, v11, 23, v10
	v_or3_b32 v1, v1, v10, v3
	v_cvt_f16_f32_e32 v1, v1
.LBB23_861:
	s_or_b64 exec, exec, s[56:57]
	s_mov_b64 s[0:1], 0
	s_branch .LBB23_867
.LBB23_862:
	s_mov_b64 s[56:57], -1
                                        ; implicit-def: $vgpr1
	s_branch .LBB23_873
.LBB23_863:
	s_or_saveexec_b64 s[56:57], s[56:57]
	v_mov_b32_e32 v1, s60
	s_xor_b64 exec, exec, s[56:57]
	s_cbranch_execz .LBB23_846
.LBB23_864:
	v_cmp_ne_u16_e32 vcc, 0, v3
	s_andn2_b64 s[0:1], s[0:1], exec
	s_and_b64 s[58:59], vcc, exec
	s_or_b64 s[0:1], s[0:1], s[58:59]
	v_mov_b32_e32 v1, v3
	s_or_b64 exec, exec, s[56:57]
	s_and_saveexec_b64 s[56:57], s[0:1]
	s_cbranch_execnz .LBB23_847
	s_branch .LBB23_848
.LBB23_865:
	s_mov_b64 s[0:1], -1
                                        ; implicit-def: $vgpr1
	s_branch .LBB23_870
.LBB23_866:
	s_mov_b64 s[0:1], -1
                                        ; implicit-def: $vgpr1
.LBB23_867:
	s_and_b64 vcc, exec, s[0:1]
	s_cbranch_vccz .LBB23_869
; %bb.868:
	global_load_ubyte v1, v[4:5], off
	s_mov_b32 s0, 0x7f800000
	s_waitcnt vmcnt(0)
	v_lshlrev_b32_e32 v1, 24, v1
	v_and_b32_e32 v3, 0x7f000000, v1
	v_ffbh_u32_e32 v10, v3
	v_min_u32_e32 v10, 32, v10
	v_sub_u32_e64 v10, v10, 4 clamp
	v_lshlrev_b32_e32 v12, v10, v3
	v_lshlrev_b32_e32 v10, 23, v10
	v_lshrrev_b32_e32 v12, 4, v12
	v_add_u32_e32 v11, 0x1000000, v3
	v_sub_u32_e32 v10, v12, v10
	v_ashrrev_i32_e32 v11, 8, v11
	v_add_u32_e32 v10, 0x3c000000, v10
	v_and_or_b32 v10, v11, s0, v10
	v_cmp_ne_u32_e32 vcc, 0, v3
	v_cndmask_b32_e32 v3, 0, v10, vcc
	s_brev_b32 s0, 1
	v_and_or_b32 v1, v1, s0, v3
	v_cvt_f16_f32_e32 v1, v1
.LBB23_869:
	s_mov_b64 s[0:1], 0
.LBB23_870:
	s_andn2_b64 vcc, exec, s[0:1]
	s_cbranch_vccnz .LBB23_872
; %bb.871:
	global_load_ubyte v1, v[4:5], off
	s_movk_i32 s0, 0x7f00
	s_brev_b32 s1, 16
	s_waitcnt vmcnt(0)
	v_lshlrev_b16_e32 v3, 8, v1
	v_lshlrev_b32_e32 v1, 25, v1
	v_lshrrev_b32_e32 v10, 4, v1
	v_and_or_b32 v11, v3, s0, 0.5
	v_or_b32_e32 v10, 0x70000000, v10
	v_add_f32_e32 v11, -0.5, v11
	v_mul_f32_e32 v10, 0x7800000, v10
	v_cmp_gt_u32_e32 vcc, s1, v1
	v_bfe_i32 v3, v3, 0, 16
	v_cndmask_b32_e32 v1, v10, v11, vcc
	s_brev_b32 s0, 1
	v_and_or_b32 v1, v3, s0, v1
	v_cvt_f16_f32_e32 v1, v1
.LBB23_872:
	s_mov_b64 s[56:57], 0
	s_mov_b64 s[0:1], -1
.LBB23_873:
	s_andn2_b64 vcc, exec, s[56:57]
	s_cbranch_vccnz .LBB23_886
; %bb.874:
	v_mov_b32_e32 v1, 14
	v_cmp_gt_i16_sdwa s[56:57], v9, v1 src0_sel:BYTE_0 src1_sel:DWORD
	s_and_b64 vcc, exec, s[56:57]
	s_cbranch_vccz .LBB23_877
; %bb.875:
	v_mov_b32_e32 v1, 15
	v_cmp_eq_u16_sdwa s[54:55], v9, v1 src0_sel:BYTE_0 src1_sel:DWORD
	s_and_b64 vcc, exec, s[54:55]
	s_cbranch_vccz .LBB23_880
; %bb.876:
	global_load_ushort v1, v[4:5], off
	s_mov_b64 s[0:1], -1
	s_mov_b64 s[54:55], 0
	s_waitcnt vmcnt(0)
	v_lshlrev_b32_e32 v1, 16, v1
	v_cvt_f16_f32_e32 v1, v1
	s_branch .LBB23_881
.LBB23_877:
	s_mov_b64 s[56:57], -1
                                        ; implicit-def: $vgpr1
	s_branch .LBB23_882
.LBB23_878:
	s_or_saveexec_b64 s[56:57], s[56:57]
	v_mov_b32_e32 v1, s60
	s_xor_b64 exec, exec, s[56:57]
	s_cbranch_execz .LBB23_859
.LBB23_879:
	v_cmp_ne_u16_e32 vcc, 0, v3
	s_andn2_b64 s[0:1], s[0:1], exec
	s_and_b64 s[58:59], vcc, exec
	s_or_b64 s[0:1], s[0:1], s[58:59]
	v_mov_b32_e32 v1, v3
	s_or_b64 exec, exec, s[56:57]
	s_and_saveexec_b64 s[56:57], s[0:1]
	s_cbranch_execnz .LBB23_860
	s_branch .LBB23_861
.LBB23_880:
	s_mov_b64 s[54:55], -1
                                        ; implicit-def: $vgpr1
.LBB23_881:
	s_mov_b64 s[56:57], 0
.LBB23_882:
	s_and_b64 vcc, exec, s[56:57]
	s_cbranch_vccz .LBB23_886
; %bb.883:
	v_mov_b32_e32 v1, 11
	v_cmp_eq_u16_sdwa s[54:55], v9, v1 src0_sel:BYTE_0 src1_sel:DWORD
	s_and_b64 vcc, exec, s[54:55]
	s_cbranch_vccz .LBB23_885
; %bb.884:
	global_load_ubyte v1, v[4:5], off
	v_mov_b32_e32 v3, 0x3c00
	s_mov_b64 s[0:1], -1
	s_mov_b64 s[54:55], 0
	s_waitcnt vmcnt(0)
	v_cmp_ne_u16_e32 vcc, 0, v1
	v_cndmask_b32_e32 v1, 0, v3, vcc
	s_branch .LBB23_886
.LBB23_885:
	s_mov_b64 s[54:55], -1
                                        ; implicit-def: $vgpr1
.LBB23_886:
	s_mov_b64 s[56:57], 0
.LBB23_887:
	s_and_b64 vcc, exec, s[56:57]
	s_cbranch_vccz .LBB23_936
; %bb.888:
	v_mov_b32_e32 v1, 5
	v_cmp_lt_i16_sdwa s[0:1], v9, v1 src0_sel:BYTE_0 src1_sel:DWORD
	s_and_b64 vcc, exec, s[0:1]
	s_cbranch_vccnz .LBB23_893
; %bb.889:
	v_mov_b32_e32 v1, 8
	v_cmp_lt_i16_sdwa s[0:1], v9, v1 src0_sel:BYTE_0 src1_sel:DWORD
	s_and_b64 vcc, exec, s[0:1]
	s_cbranch_vccnz .LBB23_894
	;; [unrolled: 5-line block ×3, first 2 shown]
; %bb.891:
	v_cmp_gt_i16_sdwa s[0:1], v9, v1 src0_sel:BYTE_0 src1_sel:DWORD
	s_and_b64 vcc, exec, s[0:1]
	s_cbranch_vccz .LBB23_896
; %bb.892:
	global_load_dwordx2 v[10:11], v[4:5], off
	s_mov_b64 s[0:1], 0
	s_waitcnt vmcnt(0)
	v_cvt_f32_f64_e32 v1, v[10:11]
	v_cvt_f16_f32_e32 v1, v1
	s_branch .LBB23_897
.LBB23_893:
	s_mov_b64 s[0:1], -1
                                        ; implicit-def: $vgpr1
	s_branch .LBB23_915
.LBB23_894:
	s_mov_b64 s[0:1], -1
                                        ; implicit-def: $vgpr1
	s_branch .LBB23_903
.LBB23_895:
	s_mov_b64 s[0:1], -1
                                        ; implicit-def: $vgpr1
	s_branch .LBB23_900
.LBB23_896:
	s_mov_b64 s[0:1], -1
                                        ; implicit-def: $vgpr1
.LBB23_897:
	s_andn2_b64 vcc, exec, s[0:1]
	s_cbranch_vccnz .LBB23_899
; %bb.898:
	global_load_dword v1, v[4:5], off
	s_waitcnt vmcnt(0)
	v_cvt_f16_f32_e32 v1, v1
.LBB23_899:
	s_mov_b64 s[0:1], 0
.LBB23_900:
	s_andn2_b64 vcc, exec, s[0:1]
	s_cbranch_vccnz .LBB23_902
; %bb.901:
	global_load_dword v1, v[4:5], off
.LBB23_902:
	s_mov_b64 s[0:1], 0
.LBB23_903:
	s_andn2_b64 vcc, exec, s[0:1]
	s_cbranch_vccnz .LBB23_914
; %bb.904:
	s_waitcnt vmcnt(0)
	v_mov_b32_e32 v1, 6
	v_cmp_lt_i16_sdwa s[0:1], v9, v1 src0_sel:BYTE_0 src1_sel:DWORD
	s_and_b64 vcc, exec, s[0:1]
	s_cbranch_vccnz .LBB23_907
; %bb.905:
	v_cmp_gt_i16_sdwa s[0:1], v9, v1 src0_sel:BYTE_0 src1_sel:DWORD
	s_and_b64 vcc, exec, s[0:1]
	s_cbranch_vccz .LBB23_908
; %bb.906:
	global_load_dwordx2 v[10:11], v[4:5], off
	s_mov_b64 s[0:1], 0
	s_waitcnt vmcnt(0)
	v_cvt_f32_f64_e32 v1, v[10:11]
	v_cvt_f16_f32_e32 v1, v1
	s_branch .LBB23_909
.LBB23_907:
	s_mov_b64 s[0:1], -1
                                        ; implicit-def: $vgpr1
	s_branch .LBB23_912
.LBB23_908:
	s_mov_b64 s[0:1], -1
                                        ; implicit-def: $vgpr1
.LBB23_909:
	s_andn2_b64 vcc, exec, s[0:1]
	s_cbranch_vccnz .LBB23_911
; %bb.910:
	global_load_dword v1, v[4:5], off
	s_waitcnt vmcnt(0)
	v_cvt_f16_f32_e32 v1, v1
.LBB23_911:
	s_mov_b64 s[0:1], 0
.LBB23_912:
	s_andn2_b64 vcc, exec, s[0:1]
	s_cbranch_vccnz .LBB23_914
; %bb.913:
	global_load_ushort v1, v[4:5], off
.LBB23_914:
	s_mov_b64 s[0:1], 0
.LBB23_915:
	s_andn2_b64 vcc, exec, s[0:1]
	s_cbranch_vccnz .LBB23_935
; %bb.916:
	s_waitcnt vmcnt(0)
	v_mov_b32_e32 v1, 2
	v_cmp_lt_i16_sdwa s[0:1], v9, v1 src0_sel:BYTE_0 src1_sel:DWORD
	s_and_b64 vcc, exec, s[0:1]
	s_cbranch_vccnz .LBB23_920
; %bb.917:
	v_mov_b32_e32 v1, 3
	v_cmp_lt_i16_sdwa s[0:1], v9, v1 src0_sel:BYTE_0 src1_sel:DWORD
	s_and_b64 vcc, exec, s[0:1]
	s_cbranch_vccnz .LBB23_921
; %bb.918:
	v_cmp_gt_i16_sdwa s[0:1], v9, v1 src0_sel:BYTE_0 src1_sel:DWORD
	s_and_b64 vcc, exec, s[0:1]
	s_cbranch_vccz .LBB23_922
; %bb.919:
	global_load_dwordx2 v[10:11], v[4:5], off
	s_mov_b64 s[0:1], 0
	s_waitcnt vmcnt(0)
	v_xor_b32_e32 v3, v10, v11
	v_ffbh_i32_e32 v1, v11
	v_ashrrev_i32_e32 v3, 31, v3
	v_add_u32_e32 v1, -1, v1
	v_add_u32_e32 v3, 32, v3
	v_min_u32_e32 v1, v1, v3
	v_lshlrev_b64 v[10:11], v1, v[10:11]
	v_min_u32_e32 v3, 1, v10
	v_or_b32_e32 v3, v11, v3
	v_cvt_f32_i32_e32 v3, v3
	v_sub_u32_e32 v1, 32, v1
	v_ldexp_f32 v1, v3, v1
	v_cvt_f16_f32_e32 v1, v1
	s_branch .LBB23_923
.LBB23_920:
	s_mov_b64 s[0:1], -1
                                        ; implicit-def: $vgpr1
	s_branch .LBB23_929
.LBB23_921:
	s_mov_b64 s[0:1], -1
                                        ; implicit-def: $vgpr1
	s_branch .LBB23_926
.LBB23_922:
	s_mov_b64 s[0:1], -1
                                        ; implicit-def: $vgpr1
.LBB23_923:
	s_andn2_b64 vcc, exec, s[0:1]
	s_cbranch_vccnz .LBB23_925
; %bb.924:
	global_load_dword v1, v[4:5], off
	s_waitcnt vmcnt(0)
	v_cvt_f32_i32_e32 v1, v1
	v_cvt_f16_f32_e32 v1, v1
.LBB23_925:
	s_mov_b64 s[0:1], 0
.LBB23_926:
	s_andn2_b64 vcc, exec, s[0:1]
	s_cbranch_vccnz .LBB23_928
; %bb.927:
	global_load_ushort v1, v[4:5], off
	s_waitcnt vmcnt(0)
	v_cvt_f16_i16_e32 v1, v1
.LBB23_928:
	s_mov_b64 s[0:1], 0
.LBB23_929:
	s_andn2_b64 vcc, exec, s[0:1]
	s_cbranch_vccnz .LBB23_935
; %bb.930:
	v_mov_b32_e32 v1, 0
	v_cmp_gt_i16_sdwa s[0:1], v9, v1 src0_sel:BYTE_0 src1_sel:DWORD
	s_and_b64 vcc, exec, s[0:1]
	s_cbranch_vccz .LBB23_932
; %bb.931:
	global_load_sbyte v1, v[4:5], off
	s_mov_b64 s[0:1], 0
	s_waitcnt vmcnt(0)
	v_cvt_f16_i16_e32 v1, v1
	s_branch .LBB23_933
.LBB23_932:
	s_mov_b64 s[0:1], -1
                                        ; implicit-def: $vgpr1
.LBB23_933:
	s_andn2_b64 vcc, exec, s[0:1]
	s_cbranch_vccnz .LBB23_935
; %bb.934:
	global_load_ubyte v1, v[4:5], off
	s_waitcnt vmcnt(0)
	v_cvt_f16_u16_e32 v1, v1
.LBB23_935:
	s_mov_b64 s[0:1], -1
.LBB23_936:
	s_andn2_b64 vcc, exec, s[0:1]
	s_cbranch_vccnz .LBB23_944
; %bb.937:
	v_mov_b32_e32 v3, s25
	v_add_co_u32_e32 v2, vcc, s24, v2
	v_mov_b32_e32 v4, 11
	v_addc_co_u32_e32 v3, vcc, 0, v3, vcc
	v_cmp_lt_i16_sdwa s[0:1], v7, v4 src0_sel:BYTE_0 src1_sel:DWORD
	s_and_b64 vcc, exec, s[0:1]
	s_cbranch_vccnz .LBB23_946
; %bb.938:
	v_mov_b32_e32 v4, 25
	v_cmp_gt_i16_sdwa s[0:1], v7, v4 src0_sel:BYTE_0 src1_sel:DWORD
	s_and_b64 vcc, exec, s[0:1]
	s_cbranch_vccz .LBB23_947
; %bb.939:
	v_mov_b32_e32 v4, 28
	v_cmp_gt_i16_sdwa s[0:1], v7, v4 src0_sel:BYTE_0 src1_sel:DWORD
	s_and_b64 vcc, exec, s[0:1]
	s_cbranch_vccz .LBB23_948
	;; [unrolled: 5-line block ×4, first 2 shown]
; %bb.942:
	v_mov_b32_e32 v4, 46
	v_cmp_eq_u16_sdwa s[0:1], v7, v4 src0_sel:BYTE_0 src1_sel:DWORD
	s_mov_b64 s[58:59], 0
	s_and_b64 vcc, exec, s[0:1]
	s_cbranch_vccz .LBB23_953
; %bb.943:
	global_load_dword v4, v[2:3], off
	s_mov_b64 s[0:1], -1
	s_mov_b64 s[56:57], 0
	s_waitcnt vmcnt(0)
	v_lshlrev_b32_e32 v4, 16, v4
	v_cvt_f16_f32_e32 v4, v4
	s_branch .LBB23_954
.LBB23_944:
	s_mov_b64 s[60:61], 0
	s_mov_b64 s[0:1], s[48:49]
	;; [unrolled: 1-line block ×3, first 2 shown]
.LBB23_945:
                                        ; implicit-def: $vgpr8
	s_branch .LBB23_1192
.LBB23_946:
	s_mov_b64 s[58:59], -1
	s_mov_b64 s[0:1], 0
                                        ; implicit-def: $vgpr4
	s_mov_b64 s[56:57], s[46:47]
	s_branch .LBB23_1019
.LBB23_947:
	s_mov_b64 s[58:59], -1
	s_mov_b64 s[0:1], 0
	s_mov_b64 s[56:57], s[46:47]
                                        ; implicit-def: $vgpr4
	s_branch .LBB23_983
.LBB23_948:
	s_mov_b64 s[58:59], -1
	s_mov_b64 s[0:1], 0
	s_mov_b64 s[56:57], s[46:47]
                                        ; implicit-def: $vgpr4
	s_branch .LBB23_964
.LBB23_949:
	s_mov_b64 s[58:59], -1
	s_mov_b64 s[0:1], 0
	s_mov_b64 s[56:57], s[46:47]
                                        ; implicit-def: $vgpr4
	s_branch .LBB23_959
.LBB23_950:
	s_mov_b64 s[58:59], -1
	s_mov_b64 s[0:1], 0
	s_mov_b64 s[56:57], s[46:47]
                                        ; implicit-def: $vgpr4
	s_branch .LBB23_954
.LBB23_951:
	s_or_saveexec_b64 s[54:55], s[54:55]
                                        ; implicit-def: $sgpr56
	s_xor_b64 exec, exec, s[54:55]
	s_cbranch_execz .LBB23_716
.LBB23_952:
	s_mov_b32 s56, 0x42800000
	v_add_f32_e64 v5, |v4|, s56
	v_and_b32_e32 v5, 0xff, v5
	v_cmp_ne_u32_e32 vcc, 0, v5
	s_andn2_b64 s[52:53], s[52:53], exec
	s_and_b64 s[58:59], vcc, exec
	s_mov_b32 s56, 0
	s_or_b64 s[52:53], s[52:53], s[58:59]
	s_or_b64 exec, exec, s[54:55]
	v_mov_b32_e32 v10, s56
	s_and_saveexec_b64 s[54:55], s[52:53]
	s_cbranch_execnz .LBB23_717
	s_branch .LBB23_718
.LBB23_953:
	s_mov_b64 s[56:57], -1
                                        ; implicit-def: $vgpr4
	s_mov_b64 s[0:1], 0
.LBB23_954:
	s_and_b64 vcc, exec, s[58:59]
	s_cbranch_vccz .LBB23_958
; %bb.955:
	v_mov_b32_e32 v4, 44
	v_cmp_eq_u16_sdwa s[56:57], v7, v4 src0_sel:BYTE_0 src1_sel:DWORD
	s_and_b64 vcc, exec, s[56:57]
	s_cbranch_vccz .LBB23_957
; %bb.956:
	global_load_ubyte v4, v[2:3], off
	s_movk_i32 s56, 0xff
	v_mov_b32_e32 v10, 0x7e00
	s_mov_b64 s[0:1], -1
	s_waitcnt vmcnt(0)
	v_lshlrev_b32_e32 v5, 23, v4
	v_cvt_f16_f32_e32 v5, v5
	v_cmp_ne_u32_e32 vcc, s56, v4
	s_mov_b64 s[56:57], 0
	v_cndmask_b32_e32 v5, v10, v5, vcc
	v_cmp_ne_u32_e32 vcc, 0, v4
	v_cndmask_b32_e32 v4, 0, v5, vcc
	s_branch .LBB23_958
.LBB23_957:
	s_mov_b64 s[56:57], -1
                                        ; implicit-def: $vgpr4
.LBB23_958:
	s_mov_b64 s[58:59], 0
.LBB23_959:
	s_and_b64 vcc, exec, s[58:59]
	s_cbranch_vccz .LBB23_963
; %bb.960:
	v_mov_b32_e32 v4, 29
	v_cmp_eq_u16_sdwa s[56:57], v7, v4 src0_sel:BYTE_0 src1_sel:DWORD
	s_and_b64 vcc, exec, s[56:57]
	s_cbranch_vccz .LBB23_962
; %bb.961:
	global_load_dwordx2 v[4:5], v[2:3], off
	s_mov_b64 s[0:1], -1
	s_mov_b64 s[56:57], 0
	s_mov_b64 s[58:59], 0
	s_waitcnt vmcnt(0)
	v_ffbh_u32_e32 v10, v5
	v_min_u32_e32 v10, 32, v10
	v_lshlrev_b64 v[4:5], v10, v[4:5]
	v_min_u32_e32 v4, 1, v4
	v_or_b32_e32 v4, v5, v4
	v_cvt_f32_u32_e32 v4, v4
	v_sub_u32_e32 v5, 32, v10
	v_ldexp_f32 v4, v4, v5
	v_cvt_f16_f32_e32 v4, v4
	s_branch .LBB23_964
.LBB23_962:
	s_mov_b64 s[56:57], -1
                                        ; implicit-def: $vgpr4
.LBB23_963:
	s_mov_b64 s[58:59], 0
.LBB23_964:
	s_and_b64 vcc, exec, s[58:59]
	s_cbranch_vccz .LBB23_982
; %bb.965:
	v_mov_b32_e32 v4, 27
	v_cmp_lt_i16_sdwa s[0:1], v7, v4 src0_sel:BYTE_0 src1_sel:DWORD
	s_and_b64 vcc, exec, s[0:1]
	s_cbranch_vccnz .LBB23_968
; %bb.966:
	v_cmp_gt_i16_sdwa s[0:1], v7, v4 src0_sel:BYTE_0 src1_sel:DWORD
	s_and_b64 vcc, exec, s[0:1]
	s_cbranch_vccz .LBB23_969
; %bb.967:
	global_load_dword v4, v[2:3], off
	s_mov_b64 s[0:1], 0
	s_waitcnt vmcnt(0)
	v_cvt_f32_u32_e32 v4, v4
	v_cvt_f16_f32_e32 v4, v4
	s_branch .LBB23_970
.LBB23_968:
	s_mov_b64 s[0:1], -1
                                        ; implicit-def: $vgpr4
	s_branch .LBB23_973
.LBB23_969:
	s_mov_b64 s[0:1], -1
                                        ; implicit-def: $vgpr4
.LBB23_970:
	s_andn2_b64 vcc, exec, s[0:1]
	s_cbranch_vccnz .LBB23_972
; %bb.971:
	global_load_ushort v4, v[2:3], off
	s_waitcnt vmcnt(0)
	v_cvt_f16_u16_e32 v4, v4
.LBB23_972:
	s_mov_b64 s[0:1], 0
.LBB23_973:
	s_andn2_b64 vcc, exec, s[0:1]
	s_cbranch_vccnz .LBB23_981
; %bb.974:
	global_load_ubyte v5, v[2:3], off
	s_movk_i32 s0, 0x7f
                                        ; implicit-def: $sgpr62
	s_waitcnt vmcnt(0)
	v_cmp_lt_i16_e32 vcc, s0, v5
	s_mov_b64 s[0:1], 0
	s_and_saveexec_b64 s[58:59], vcc
	s_xor_b64 s[58:59], exec, s[58:59]
	s_cbranch_execz .LBB23_995
; %bb.975:
	s_movk_i32 s0, 0x80
	v_cmp_eq_u16_e32 vcc, s0, v5
	s_mov_b64 s[0:1], -1
                                        ; implicit-def: $sgpr62
	s_and_saveexec_b64 s[60:61], vcc
; %bb.976:
	s_movk_i32 s62, 0x7e00
	s_xor_b64 s[0:1], exec, -1
; %bb.977:
	s_or_b64 exec, exec, s[60:61]
	s_and_b64 s[0:1], s[0:1], exec
	s_or_saveexec_b64 s[58:59], s[58:59]
	v_mov_b32_e32 v4, s62
	s_xor_b64 exec, exec, s[58:59]
	s_cbranch_execnz .LBB23_996
.LBB23_978:
	s_or_b64 exec, exec, s[58:59]
	s_and_saveexec_b64 s[58:59], s[0:1]
	s_cbranch_execz .LBB23_980
.LBB23_979:
	v_lshlrev_b32_e32 v4, 24, v5
	v_and_b32_e32 v5, 0xffff, v5
	v_and_b32_e32 v10, 7, v5
	v_ffbh_u32_e32 v12, v10
	v_min_u32_e32 v12, 32, v12
	v_subrev_u32_e32 v13, 28, v12
	v_bfe_u32 v11, v5, 3, 4
	v_lshlrev_b32_e32 v5, v13, v5
	v_sub_u32_e32 v12, 29, v12
	v_and_b32_e32 v5, 7, v5
	v_cmp_eq_u32_e32 vcc, 0, v11
	v_cndmask_b32_e32 v11, v11, v12, vcc
	v_cndmask_b32_e32 v5, v10, v5, vcc
	v_mov_b32_e32 v10, 0x3b800000
	v_lshlrev_b32_e32 v5, 20, v5
	v_and_b32_e32 v4, 0x80000000, v4
	v_lshl_add_u32 v10, v11, 23, v10
	v_or3_b32 v4, v4, v10, v5
	v_cvt_f16_f32_e32 v4, v4
.LBB23_980:
	s_or_b64 exec, exec, s[58:59]
.LBB23_981:
	s_mov_b64 s[0:1], -1
.LBB23_982:
	s_mov_b64 s[58:59], 0
.LBB23_983:
	s_and_b64 vcc, exec, s[58:59]
	s_cbranch_vccz .LBB23_1018
; %bb.984:
	v_mov_b32_e32 v4, 22
	v_cmp_gt_i16_sdwa s[58:59], v7, v4 src0_sel:BYTE_0 src1_sel:DWORD
	s_and_b64 vcc, exec, s[58:59]
	s_cbranch_vccz .LBB23_994
; %bb.985:
	v_mov_b32_e32 v4, 24
	v_cmp_lt_i16_sdwa s[0:1], v7, v4 src0_sel:BYTE_0 src1_sel:DWORD
	s_and_b64 vcc, exec, s[0:1]
	s_cbranch_vccnz .LBB23_997
; %bb.986:
	v_cmp_gt_i16_sdwa s[0:1], v7, v4 src0_sel:BYTE_0 src1_sel:DWORD
	s_and_b64 vcc, exec, s[0:1]
	s_cbranch_vccz .LBB23_998
; %bb.987:
	global_load_ubyte v5, v[2:3], off
	s_movk_i32 s0, 0x7f
                                        ; implicit-def: $sgpr62
	s_waitcnt vmcnt(0)
	v_cmp_lt_i16_e32 vcc, s0, v5
	s_mov_b64 s[0:1], 0
	s_and_saveexec_b64 s[58:59], vcc
	s_xor_b64 s[58:59], exec, s[58:59]
	s_cbranch_execz .LBB23_1010
; %bb.988:
	s_movk_i32 s0, 0x80
	v_cmp_eq_u16_e32 vcc, s0, v5
	s_mov_b64 s[0:1], -1
                                        ; implicit-def: $sgpr62
	s_and_saveexec_b64 s[60:61], vcc
; %bb.989:
	s_movk_i32 s62, 0x7e00
	s_xor_b64 s[0:1], exec, -1
; %bb.990:
	s_or_b64 exec, exec, s[60:61]
	s_and_b64 s[0:1], s[0:1], exec
	s_or_saveexec_b64 s[58:59], s[58:59]
	v_mov_b32_e32 v4, s62
	s_xor_b64 exec, exec, s[58:59]
	s_cbranch_execnz .LBB23_1011
.LBB23_991:
	s_or_b64 exec, exec, s[58:59]
	s_and_saveexec_b64 s[58:59], s[0:1]
	s_cbranch_execz .LBB23_993
.LBB23_992:
	v_lshlrev_b32_e32 v4, 24, v5
	v_and_b32_e32 v5, 0xffff, v5
	v_and_b32_e32 v10, 3, v5
	v_ffbh_u32_e32 v12, v10
	v_min_u32_e32 v12, 32, v12
	v_subrev_u32_e32 v13, 29, v12
	v_bfe_u32 v11, v5, 2, 5
	v_lshlrev_b32_e32 v5, v13, v5
	v_sub_u32_e32 v12, 30, v12
	v_and_b32_e32 v5, 3, v5
	v_cmp_eq_u32_e32 vcc, 0, v11
	v_cndmask_b32_e32 v11, v11, v12, vcc
	v_cndmask_b32_e32 v5, v10, v5, vcc
	v_mov_b32_e32 v10, 0x37800000
	v_lshlrev_b32_e32 v5, 21, v5
	v_and_b32_e32 v4, 0x80000000, v4
	v_lshl_add_u32 v10, v11, 23, v10
	v_or3_b32 v4, v4, v10, v5
	v_cvt_f16_f32_e32 v4, v4
.LBB23_993:
	s_or_b64 exec, exec, s[58:59]
	s_mov_b64 s[0:1], 0
	s_branch .LBB23_999
.LBB23_994:
	s_mov_b64 s[58:59], -1
                                        ; implicit-def: $vgpr4
	s_branch .LBB23_1005
.LBB23_995:
	s_or_saveexec_b64 s[58:59], s[58:59]
	v_mov_b32_e32 v4, s62
	s_xor_b64 exec, exec, s[58:59]
	s_cbranch_execz .LBB23_978
.LBB23_996:
	v_cmp_ne_u16_e32 vcc, 0, v5
	s_andn2_b64 s[0:1], s[0:1], exec
	s_and_b64 s[60:61], vcc, exec
	s_or_b64 s[0:1], s[0:1], s[60:61]
	v_mov_b32_e32 v4, v5
	s_or_b64 exec, exec, s[58:59]
	s_and_saveexec_b64 s[58:59], s[0:1]
	s_cbranch_execnz .LBB23_979
	s_branch .LBB23_980
.LBB23_997:
	s_mov_b64 s[0:1], -1
                                        ; implicit-def: $vgpr4
	s_branch .LBB23_1002
.LBB23_998:
	s_mov_b64 s[0:1], -1
                                        ; implicit-def: $vgpr4
.LBB23_999:
	s_and_b64 vcc, exec, s[0:1]
	s_cbranch_vccz .LBB23_1001
; %bb.1000:
	global_load_ubyte v4, v[2:3], off
	s_mov_b32 s0, 0x7f800000
	s_waitcnt vmcnt(0)
	v_lshlrev_b32_e32 v4, 24, v4
	v_and_b32_e32 v5, 0x7f000000, v4
	v_ffbh_u32_e32 v10, v5
	v_min_u32_e32 v10, 32, v10
	v_sub_u32_e64 v10, v10, 4 clamp
	v_lshlrev_b32_e32 v12, v10, v5
	v_lshlrev_b32_e32 v10, 23, v10
	v_lshrrev_b32_e32 v12, 4, v12
	v_add_u32_e32 v11, 0x1000000, v5
	v_sub_u32_e32 v10, v12, v10
	v_ashrrev_i32_e32 v11, 8, v11
	v_add_u32_e32 v10, 0x3c000000, v10
	v_and_or_b32 v10, v11, s0, v10
	v_cmp_ne_u32_e32 vcc, 0, v5
	v_cndmask_b32_e32 v5, 0, v10, vcc
	s_brev_b32 s0, 1
	v_and_or_b32 v4, v4, s0, v5
	v_cvt_f16_f32_e32 v4, v4
.LBB23_1001:
	s_mov_b64 s[0:1], 0
.LBB23_1002:
	s_andn2_b64 vcc, exec, s[0:1]
	s_cbranch_vccnz .LBB23_1004
; %bb.1003:
	global_load_ubyte v4, v[2:3], off
	s_movk_i32 s0, 0x7f00
	s_brev_b32 s1, 16
	s_waitcnt vmcnt(0)
	v_lshlrev_b16_e32 v5, 8, v4
	v_lshlrev_b32_e32 v4, 25, v4
	v_lshrrev_b32_e32 v10, 4, v4
	v_and_or_b32 v11, v5, s0, 0.5
	v_or_b32_e32 v10, 0x70000000, v10
	v_add_f32_e32 v11, -0.5, v11
	v_mul_f32_e32 v10, 0x7800000, v10
	v_cmp_gt_u32_e32 vcc, s1, v4
	v_bfe_i32 v5, v5, 0, 16
	v_cndmask_b32_e32 v4, v10, v11, vcc
	s_brev_b32 s0, 1
	v_and_or_b32 v4, v5, s0, v4
	v_cvt_f16_f32_e32 v4, v4
.LBB23_1004:
	s_mov_b64 s[58:59], 0
	s_mov_b64 s[0:1], -1
.LBB23_1005:
	s_andn2_b64 vcc, exec, s[58:59]
	s_cbranch_vccnz .LBB23_1018
; %bb.1006:
	v_mov_b32_e32 v4, 14
	v_cmp_gt_i16_sdwa s[58:59], v7, v4 src0_sel:BYTE_0 src1_sel:DWORD
	s_and_b64 vcc, exec, s[58:59]
	s_cbranch_vccz .LBB23_1009
; %bb.1007:
	v_mov_b32_e32 v4, 15
	v_cmp_eq_u16_sdwa s[56:57], v7, v4 src0_sel:BYTE_0 src1_sel:DWORD
	s_and_b64 vcc, exec, s[56:57]
	s_cbranch_vccz .LBB23_1012
; %bb.1008:
	global_load_ushort v4, v[2:3], off
	s_mov_b64 s[0:1], -1
	s_mov_b64 s[56:57], 0
	s_waitcnt vmcnt(0)
	v_lshlrev_b32_e32 v4, 16, v4
	v_cvt_f16_f32_e32 v4, v4
	s_branch .LBB23_1013
.LBB23_1009:
	s_mov_b64 s[58:59], -1
                                        ; implicit-def: $vgpr4
	s_branch .LBB23_1014
.LBB23_1010:
	s_or_saveexec_b64 s[58:59], s[58:59]
	v_mov_b32_e32 v4, s62
	s_xor_b64 exec, exec, s[58:59]
	s_cbranch_execz .LBB23_991
.LBB23_1011:
	v_cmp_ne_u16_e32 vcc, 0, v5
	s_andn2_b64 s[0:1], s[0:1], exec
	s_and_b64 s[60:61], vcc, exec
	s_or_b64 s[0:1], s[0:1], s[60:61]
	v_mov_b32_e32 v4, v5
	s_or_b64 exec, exec, s[58:59]
	s_and_saveexec_b64 s[58:59], s[0:1]
	s_cbranch_execnz .LBB23_992
	s_branch .LBB23_993
.LBB23_1012:
	s_mov_b64 s[56:57], -1
                                        ; implicit-def: $vgpr4
.LBB23_1013:
	s_mov_b64 s[58:59], 0
.LBB23_1014:
	s_and_b64 vcc, exec, s[58:59]
	s_cbranch_vccz .LBB23_1018
; %bb.1015:
	v_mov_b32_e32 v4, 11
	v_cmp_eq_u16_sdwa s[56:57], v7, v4 src0_sel:BYTE_0 src1_sel:DWORD
	s_and_b64 vcc, exec, s[56:57]
	s_cbranch_vccz .LBB23_1017
; %bb.1016:
	global_load_ubyte v4, v[2:3], off
	v_mov_b32_e32 v5, 0x3c00
	s_mov_b64 s[0:1], -1
	s_mov_b64 s[56:57], 0
	s_waitcnt vmcnt(0)
	v_cmp_ne_u16_e32 vcc, 0, v4
	v_cndmask_b32_e32 v4, 0, v5, vcc
	s_branch .LBB23_1018
.LBB23_1017:
	s_mov_b64 s[56:57], -1
                                        ; implicit-def: $vgpr4
.LBB23_1018:
	s_mov_b64 s[58:59], 0
.LBB23_1019:
	s_and_b64 vcc, exec, s[58:59]
	s_cbranch_vccz .LBB23_1068
; %bb.1020:
	v_mov_b32_e32 v4, 5
	v_cmp_lt_i16_sdwa s[0:1], v7, v4 src0_sel:BYTE_0 src1_sel:DWORD
	s_and_b64 vcc, exec, s[0:1]
	s_cbranch_vccnz .LBB23_1025
; %bb.1021:
	v_mov_b32_e32 v4, 8
	v_cmp_lt_i16_sdwa s[0:1], v7, v4 src0_sel:BYTE_0 src1_sel:DWORD
	s_and_b64 vcc, exec, s[0:1]
	s_cbranch_vccnz .LBB23_1026
	;; [unrolled: 5-line block ×3, first 2 shown]
; %bb.1023:
	v_cmp_gt_i16_sdwa s[0:1], v7, v4 src0_sel:BYTE_0 src1_sel:DWORD
	s_and_b64 vcc, exec, s[0:1]
	s_cbranch_vccz .LBB23_1028
; %bb.1024:
	global_load_dwordx2 v[4:5], v[2:3], off
	s_mov_b64 s[0:1], 0
	s_waitcnt vmcnt(0)
	v_cvt_f32_f64_e32 v4, v[4:5]
	v_cvt_f16_f32_e32 v4, v4
	s_branch .LBB23_1029
.LBB23_1025:
	s_mov_b64 s[0:1], -1
                                        ; implicit-def: $vgpr4
	s_branch .LBB23_1047
.LBB23_1026:
	s_mov_b64 s[0:1], -1
                                        ; implicit-def: $vgpr4
	s_branch .LBB23_1035
.LBB23_1027:
	s_mov_b64 s[0:1], -1
                                        ; implicit-def: $vgpr4
	s_branch .LBB23_1032
.LBB23_1028:
	s_mov_b64 s[0:1], -1
                                        ; implicit-def: $vgpr4
.LBB23_1029:
	s_andn2_b64 vcc, exec, s[0:1]
	s_cbranch_vccnz .LBB23_1031
; %bb.1030:
	global_load_dword v4, v[2:3], off
	s_waitcnt vmcnt(0)
	v_cvt_f16_f32_e32 v4, v4
.LBB23_1031:
	s_mov_b64 s[0:1], 0
.LBB23_1032:
	s_andn2_b64 vcc, exec, s[0:1]
	s_cbranch_vccnz .LBB23_1034
; %bb.1033:
	global_load_dword v4, v[2:3], off
.LBB23_1034:
	s_mov_b64 s[0:1], 0
.LBB23_1035:
	s_andn2_b64 vcc, exec, s[0:1]
	s_cbranch_vccnz .LBB23_1046
; %bb.1036:
	s_waitcnt vmcnt(0)
	v_mov_b32_e32 v4, 6
	v_cmp_lt_i16_sdwa s[0:1], v7, v4 src0_sel:BYTE_0 src1_sel:DWORD
	s_and_b64 vcc, exec, s[0:1]
	s_cbranch_vccnz .LBB23_1039
; %bb.1037:
	v_cmp_gt_i16_sdwa s[0:1], v7, v4 src0_sel:BYTE_0 src1_sel:DWORD
	s_and_b64 vcc, exec, s[0:1]
	s_cbranch_vccz .LBB23_1040
; %bb.1038:
	global_load_dwordx2 v[4:5], v[2:3], off
	s_mov_b64 s[0:1], 0
	s_waitcnt vmcnt(0)
	v_cvt_f32_f64_e32 v4, v[4:5]
	v_cvt_f16_f32_e32 v4, v4
	s_branch .LBB23_1041
.LBB23_1039:
	s_mov_b64 s[0:1], -1
                                        ; implicit-def: $vgpr4
	s_branch .LBB23_1044
.LBB23_1040:
	s_mov_b64 s[0:1], -1
                                        ; implicit-def: $vgpr4
.LBB23_1041:
	s_andn2_b64 vcc, exec, s[0:1]
	s_cbranch_vccnz .LBB23_1043
; %bb.1042:
	global_load_dword v4, v[2:3], off
	s_waitcnt vmcnt(0)
	v_cvt_f16_f32_e32 v4, v4
.LBB23_1043:
	s_mov_b64 s[0:1], 0
.LBB23_1044:
	s_andn2_b64 vcc, exec, s[0:1]
	s_cbranch_vccnz .LBB23_1046
; %bb.1045:
	global_load_ushort v4, v[2:3], off
.LBB23_1046:
	s_mov_b64 s[0:1], 0
.LBB23_1047:
	s_andn2_b64 vcc, exec, s[0:1]
	s_cbranch_vccnz .LBB23_1067
; %bb.1048:
	s_waitcnt vmcnt(0)
	v_mov_b32_e32 v4, 2
	v_cmp_lt_i16_sdwa s[0:1], v7, v4 src0_sel:BYTE_0 src1_sel:DWORD
	s_and_b64 vcc, exec, s[0:1]
	s_cbranch_vccnz .LBB23_1052
; %bb.1049:
	v_mov_b32_e32 v4, 3
	v_cmp_lt_i16_sdwa s[0:1], v7, v4 src0_sel:BYTE_0 src1_sel:DWORD
	s_and_b64 vcc, exec, s[0:1]
	s_cbranch_vccnz .LBB23_1053
; %bb.1050:
	v_cmp_gt_i16_sdwa s[0:1], v7, v4 src0_sel:BYTE_0 src1_sel:DWORD
	s_and_b64 vcc, exec, s[0:1]
	s_cbranch_vccz .LBB23_1054
; %bb.1051:
	global_load_dwordx2 v[4:5], v[2:3], off
	s_mov_b64 s[0:1], 0
	s_waitcnt vmcnt(0)
	v_xor_b32_e32 v11, v4, v5
	v_ffbh_i32_e32 v10, v5
	v_ashrrev_i32_e32 v11, 31, v11
	v_add_u32_e32 v10, -1, v10
	v_add_u32_e32 v11, 32, v11
	v_min_u32_e32 v10, v10, v11
	v_lshlrev_b64 v[4:5], v10, v[4:5]
	v_min_u32_e32 v4, 1, v4
	v_or_b32_e32 v4, v5, v4
	v_cvt_f32_i32_e32 v4, v4
	v_sub_u32_e32 v5, 32, v10
	v_ldexp_f32 v4, v4, v5
	v_cvt_f16_f32_e32 v4, v4
	s_branch .LBB23_1055
.LBB23_1052:
	s_mov_b64 s[0:1], -1
                                        ; implicit-def: $vgpr4
	s_branch .LBB23_1061
.LBB23_1053:
	s_mov_b64 s[0:1], -1
                                        ; implicit-def: $vgpr4
	s_branch .LBB23_1058
.LBB23_1054:
	s_mov_b64 s[0:1], -1
                                        ; implicit-def: $vgpr4
.LBB23_1055:
	s_andn2_b64 vcc, exec, s[0:1]
	s_cbranch_vccnz .LBB23_1057
; %bb.1056:
	global_load_dword v4, v[2:3], off
	s_waitcnt vmcnt(0)
	v_cvt_f32_i32_e32 v4, v4
	v_cvt_f16_f32_e32 v4, v4
.LBB23_1057:
	s_mov_b64 s[0:1], 0
.LBB23_1058:
	s_andn2_b64 vcc, exec, s[0:1]
	s_cbranch_vccnz .LBB23_1060
; %bb.1059:
	global_load_ushort v4, v[2:3], off
	s_waitcnt vmcnt(0)
	v_cvt_f16_i16_e32 v4, v4
.LBB23_1060:
	s_mov_b64 s[0:1], 0
.LBB23_1061:
	s_andn2_b64 vcc, exec, s[0:1]
	s_cbranch_vccnz .LBB23_1067
; %bb.1062:
	v_mov_b32_e32 v4, 0
	v_cmp_gt_i16_sdwa s[0:1], v7, v4 src0_sel:BYTE_0 src1_sel:DWORD
	s_and_b64 vcc, exec, s[0:1]
	s_cbranch_vccz .LBB23_1064
; %bb.1063:
	global_load_sbyte v4, v[2:3], off
	s_mov_b64 s[0:1], 0
	s_waitcnt vmcnt(0)
	v_cvt_f16_i16_e32 v4, v4
	s_branch .LBB23_1065
.LBB23_1064:
	s_mov_b64 s[0:1], -1
                                        ; implicit-def: $vgpr4
.LBB23_1065:
	s_andn2_b64 vcc, exec, s[0:1]
	s_cbranch_vccnz .LBB23_1067
; %bb.1066:
	global_load_ubyte v2, v[2:3], off
	s_waitcnt vmcnt(0)
	v_cvt_f16_u16_e32 v4, v2
.LBB23_1067:
	s_mov_b64 s[0:1], -1
.LBB23_1068:
	s_andn2_b64 vcc, exec, s[0:1]
	s_cbranch_vccnz .LBB23_1076
; %bb.1069:
	s_waitcnt vmcnt(0)
	v_and_b32_e32 v3, 0x7fff, v1
	v_and_b32_e32 v1, 0xffff8000, v4
	v_or_b32_e32 v2, v1, v3
	v_mov_b32_e32 v1, s9
	v_add_co_u32_e32 v0, vcc, s8, v0
	v_mov_b32_e32 v4, 11
	v_addc_co_u32_e32 v1, vcc, 0, v1, vcc
	v_cmp_lt_i16_sdwa s[0:1], v6, v4 src0_sel:BYTE_0 src1_sel:DWORD
	s_and_b64 vcc, exec, s[0:1]
	s_cbranch_vccnz .LBB23_1077
; %bb.1070:
	v_mov_b32_e32 v4, 25
	v_cmp_gt_i16_sdwa s[0:1], v6, v4 src0_sel:BYTE_0 src1_sel:DWORD
	s_and_b64 vcc, exec, s[0:1]
	s_cbranch_vccz .LBB23_1078
; %bb.1071:
	v_mov_b32_e32 v4, 28
	v_cmp_gt_i16_sdwa s[0:1], v6, v4 src0_sel:BYTE_0 src1_sel:DWORD
	s_and_b64 vcc, exec, s[0:1]
	s_cbranch_vccz .LBB23_1079
	;; [unrolled: 5-line block ×4, first 2 shown]
; %bb.1074:
	v_mov_b32_e32 v4, 46
	v_cmp_eq_u16_sdwa s[58:59], v6, v4 src0_sel:BYTE_0 src1_sel:DWORD
	s_mov_b64 s[60:61], 0
	s_mov_b64 s[0:1], -1
	s_and_b64 vcc, exec, s[58:59]
	s_mov_b64 s[58:59], 0
	s_cbranch_vccz .LBB23_1082
; %bb.1075:
	v_cvt_f32_f16_e32 v4, v2
	s_movk_i32 s0, 0x7fff
	v_mov_b32_e32 v5, 0x7fc0
	v_cmp_o_f16_e32 vcc, v2, v2
	v_bfe_u32 v10, v4, 16, 1
	v_add3_u32 v4, v4, v10, s0
	v_lshrrev_b32_e32 v4, 16, v4
	v_cndmask_b32_e32 v4, v5, v4, vcc
	global_store_dword v[0:1], v4, off
	s_mov_b64 s[58:59], -1
	s_mov_b64 s[0:1], 0
	s_branch .LBB23_1082
.LBB23_1076:
	s_mov_b64 s[60:61], 0
                                        ; implicit-def: $vgpr8
	s_mov_b64 s[0:1], s[48:49]
	s_branch .LBB23_1192
.LBB23_1077:
	s_mov_b64 s[60:61], -1
	s_mov_b64 s[58:59], 0
	s_mov_b64 s[0:1], s[48:49]
	s_branch .LBB23_1151
.LBB23_1078:
	s_mov_b64 s[60:61], -1
	s_mov_b64 s[58:59], 0
	s_mov_b64 s[0:1], s[48:49]
	s_branch .LBB23_1109
.LBB23_1079:
	s_mov_b64 s[60:61], -1
	s_mov_b64 s[58:59], 0
	s_mov_b64 s[0:1], s[48:49]
	s_branch .LBB23_1092
.LBB23_1080:
	s_mov_b64 s[60:61], -1
	s_mov_b64 s[58:59], 0
	s_mov_b64 s[0:1], s[48:49]
	s_branch .LBB23_1088
.LBB23_1081:
	s_mov_b64 s[60:61], -1
	s_mov_b64 s[58:59], 0
	s_mov_b64 s[0:1], s[48:49]
.LBB23_1082:
	s_and_b64 vcc, exec, s[60:61]
	s_cbranch_vccz .LBB23_1087
; %bb.1083:
	v_mov_b32_e32 v4, 44
	v_cmp_eq_u16_sdwa s[60:61], v6, v4 src0_sel:BYTE_0 src1_sel:DWORD
	s_mov_b64 s[0:1], -1
	s_and_b64 vcc, exec, s[60:61]
	s_cbranch_vccz .LBB23_1087
; %bb.1084:
	v_cvt_f32_f16_e32 v4, v2
	s_movk_i32 s0, 0xff
	v_mov_b32_e32 v10, 0xff
	v_bfe_u32 v5, v4, 23, 8
	v_cmp_ne_u32_e32 vcc, s0, v5
	s_and_saveexec_b64 s[58:59], vcc
; %bb.1085:
	s_mov_b32 s0, 0x3fffff
	v_lshrrev_b32_e32 v10, 23, v4
	v_and_b32_e32 v11, 0x400000, v4
	v_and_or_b32 v4, v4, s0, v5
	v_cmp_ne_u32_e32 vcc, 0, v11
	v_cmp_ne_u32_e64 s[0:1], 0, v4
	s_and_b64 s[0:1], vcc, s[0:1]
	v_cndmask_b32_e64 v4, 0, 1, s[0:1]
	v_add_u32_e32 v10, v10, v4
; %bb.1086:
	s_or_b64 exec, exec, s[58:59]
	s_mov_b64 s[58:59], -1
	s_mov_b64 s[0:1], 0
	global_store_byte v[0:1], v10, off
.LBB23_1087:
	s_mov_b64 s[60:61], 0
.LBB23_1088:
	s_and_b64 vcc, exec, s[60:61]
	s_cbranch_vccz .LBB23_1091
; %bb.1089:
	v_mov_b32_e32 v4, 29
	v_cmp_eq_u16_sdwa s[60:61], v6, v4 src0_sel:BYTE_0 src1_sel:DWORD
	s_mov_b64 s[0:1], -1
	s_and_b64 vcc, exec, s[60:61]
	s_cbranch_vccz .LBB23_1091
; %bb.1090:
	v_cvt_f32_f16_e32 v4, v2
	v_mov_b32_e32 v5, 0
	s_mov_b64 s[58:59], -1
	s_mov_b64 s[0:1], 0
	v_cvt_u32_f32_e32 v4, v4
	s_mov_b64 s[60:61], 0
	global_store_dwordx2 v[0:1], v[4:5], off
	s_branch .LBB23_1092
.LBB23_1091:
	s_mov_b64 s[60:61], 0
.LBB23_1092:
	s_and_b64 vcc, exec, s[60:61]
	s_cbranch_vccz .LBB23_1108
; %bb.1093:
	v_mov_b32_e32 v4, 27
	v_cmp_lt_i16_sdwa s[60:61], v6, v4 src0_sel:BYTE_0 src1_sel:DWORD
	s_mov_b64 s[58:59], -1
	s_and_b64 vcc, exec, s[60:61]
	s_cbranch_vccnz .LBB23_1099
; %bb.1094:
	v_cmp_gt_i16_sdwa s[60:61], v6, v4 src0_sel:BYTE_0 src1_sel:DWORD
	s_and_b64 vcc, exec, s[60:61]
	s_cbranch_vccz .LBB23_1096
; %bb.1095:
	v_cvt_f32_f16_e32 v4, v2
	s_mov_b64 s[58:59], 0
	v_cvt_u32_f32_e32 v4, v4
	global_store_dword v[0:1], v4, off
.LBB23_1096:
	s_andn2_b64 vcc, exec, s[58:59]
	s_cbranch_vccnz .LBB23_1098
; %bb.1097:
	v_cvt_u16_f16_e32 v4, v2
	global_store_short v[0:1], v4, off
.LBB23_1098:
	s_mov_b64 s[58:59], 0
.LBB23_1099:
	s_andn2_b64 vcc, exec, s[58:59]
	s_cbranch_vccnz .LBB23_1107
; %bb.1100:
	v_cvt_f32_f16_e32 v4, v2
	s_mov_b32 s58, 0x43800000
	v_mov_b32_e32 v10, 0x80
	v_and_b32_e32 v5, 0x7fffffff, v4
	v_cmp_gt_u32_e32 vcc, s58, v5
	s_and_saveexec_b64 s[58:59], vcc
	s_cbranch_execz .LBB23_1106
; %bb.1101:
	s_mov_b32 s60, 0x3bffffff
	v_cmp_lt_u32_e32 vcc, s60, v5
	s_mov_b64 s[60:61], 0
                                        ; implicit-def: $vgpr5
	s_and_saveexec_b64 s[62:63], vcc
	s_xor_b64 s[62:63], exec, s[62:63]
	s_cbranch_execz .LBB23_1219
; %bb.1102:
	v_bfe_u32 v5, v4, 20, 1
	s_mov_b32 s64, 0x487ffff
	v_add3_u32 v5, v4, v5, s64
	s_mov_b64 s[60:61], exec
	v_lshrrev_b32_e32 v5, 20, v5
	s_or_saveexec_b64 s[62:63], s[62:63]
                                        ; implicit-def: $sgpr64
	s_xor_b64 exec, exec, s[62:63]
	s_cbranch_execnz .LBB23_1220
.LBB23_1103:
	s_or_b64 exec, exec, s[62:63]
	v_mov_b32_e32 v10, s64
	s_and_saveexec_b64 s[62:63], s[60:61]
.LBB23_1104:
	v_lshrrev_b32_e32 v4, 24, v4
	s_movk_i32 s60, 0x80
	v_and_or_b32 v10, v4, s60, v5
.LBB23_1105:
	s_or_b64 exec, exec, s[62:63]
.LBB23_1106:
	s_or_b64 exec, exec, s[58:59]
	global_store_byte v[0:1], v10, off
.LBB23_1107:
	s_mov_b64 s[58:59], -1
.LBB23_1108:
	s_mov_b64 s[60:61], 0
.LBB23_1109:
	s_and_b64 vcc, exec, s[60:61]
	s_cbranch_vccz .LBB23_1150
; %bb.1110:
	v_mov_b32_e32 v4, 22
	v_cmp_gt_i16_sdwa s[62:63], v6, v4 src0_sel:BYTE_0 src1_sel:DWORD
	s_mov_b64 s[60:61], -1
	s_and_b64 vcc, exec, s[62:63]
	s_cbranch_vccz .LBB23_1142
; %bb.1111:
	v_mov_b32_e32 v4, 24
	v_cmp_lt_i16_sdwa s[60:61], v6, v4 src0_sel:BYTE_0 src1_sel:DWORD
	s_mov_b64 s[58:59], -1
	s_and_b64 vcc, exec, s[60:61]
	s_cbranch_vccnz .LBB23_1131
; %bb.1112:
	v_cmp_gt_i16_sdwa s[60:61], v6, v4 src0_sel:BYTE_0 src1_sel:DWORD
	s_and_b64 vcc, exec, s[60:61]
	s_cbranch_vccz .LBB23_1120
; %bb.1113:
	v_cvt_f32_f16_e32 v4, v2
	s_mov_b32 s58, 0x47800000
	v_mov_b32_e32 v10, 0x80
	v_and_b32_e32 v5, 0x7fffffff, v4
	v_cmp_gt_u32_e32 vcc, s58, v5
	s_and_saveexec_b64 s[58:59], vcc
	s_cbranch_execz .LBB23_1119
; %bb.1114:
	s_mov_b32 s60, 0x37ffffff
	v_cmp_lt_u32_e32 vcc, s60, v5
	s_mov_b64 s[60:61], 0
                                        ; implicit-def: $vgpr5
	s_and_saveexec_b64 s[62:63], vcc
	s_xor_b64 s[62:63], exec, s[62:63]
	s_cbranch_execz .LBB23_2281
; %bb.1115:
	v_bfe_u32 v5, v4, 21, 1
	s_mov_b32 s64, 0x88fffff
	v_add3_u32 v5, v4, v5, s64
	s_mov_b64 s[60:61], exec
	v_lshrrev_b32_e32 v5, 21, v5
	s_or_saveexec_b64 s[62:63], s[62:63]
                                        ; implicit-def: $sgpr64
	s_xor_b64 exec, exec, s[62:63]
	s_cbranch_execnz .LBB23_2282
.LBB23_1116:
	s_or_b64 exec, exec, s[62:63]
	v_mov_b32_e32 v10, s64
	s_and_saveexec_b64 s[62:63], s[60:61]
.LBB23_1117:
	v_lshrrev_b32_e32 v4, 24, v4
	s_movk_i32 s60, 0x80
	v_and_or_b32 v10, v4, s60, v5
.LBB23_1118:
	s_or_b64 exec, exec, s[62:63]
.LBB23_1119:
	s_or_b64 exec, exec, s[58:59]
	s_mov_b64 s[58:59], 0
	global_store_byte v[0:1], v10, off
.LBB23_1120:
	s_and_b64 vcc, exec, s[58:59]
	s_cbranch_vccz .LBB23_1130
; %bb.1121:
	v_cvt_f32_f16_e32 v4, v2
	s_mov_b32 s58, 0x43f00000
                                        ; implicit-def: $vgpr5
	v_and_b32_e32 v10, 0x7fffffff, v4
	v_cmp_gt_u32_e32 vcc, s58, v10
	s_and_saveexec_b64 s[58:59], vcc
	s_xor_b64 s[58:59], exec, s[58:59]
	s_cbranch_execz .LBB23_1127
; %bb.1122:
	s_mov_b32 s60, 0x3c7fffff
	v_cmp_lt_u32_e32 vcc, s60, v10
                                        ; implicit-def: $vgpr5
	s_and_saveexec_b64 s[60:61], vcc
	s_xor_b64 s[60:61], exec, s[60:61]
; %bb.1123:
	v_bfe_u32 v5, v4, 20, 1
	s_mov_b32 s62, 0x407ffff
	v_add3_u32 v5, v4, v5, s62
	v_lshrrev_b32_e32 v10, 20, v5
	v_and_b32_e32 v5, 0xff00000, v5
	s_mov_b32 s62, 0x7f00000
	v_mov_b32_e32 v11, 0x7e
	v_cmp_ne_u32_e32 vcc, s62, v5
	v_cndmask_b32_e32 v5, v11, v10, vcc
; %bb.1124:
	s_andn2_saveexec_b64 s[60:61], s[60:61]
; %bb.1125:
	s_mov_b32 s62, 0x46800000
	v_add_f32_e64 v5, |v4|, s62
; %bb.1126:
	s_or_b64 exec, exec, s[60:61]
                                        ; implicit-def: $vgpr10
.LBB23_1127:
	s_andn2_saveexec_b64 s[58:59], s[58:59]
; %bb.1128:
	s_mov_b32 s60, 0x7f800000
	v_mov_b32_e32 v5, 0x7e
	v_mov_b32_e32 v11, 0x7f
	v_cmp_lt_u32_e32 vcc, s60, v10
	v_cndmask_b32_e32 v5, v5, v11, vcc
; %bb.1129:
	s_or_b64 exec, exec, s[58:59]
	v_lshrrev_b32_e32 v4, 24, v4
	s_movk_i32 s58, 0x80
	v_and_or_b32 v4, v4, s58, v5
	global_store_byte v[0:1], v4, off
.LBB23_1130:
	s_mov_b64 s[58:59], 0
.LBB23_1131:
	s_andn2_b64 vcc, exec, s[58:59]
	s_cbranch_vccnz .LBB23_1141
; %bb.1132:
	v_cvt_f32_f16_e32 v4, v2
	s_mov_b32 s58, 0x47800000
                                        ; implicit-def: $vgpr5
	v_and_b32_e32 v10, 0x7fffffff, v4
	v_cmp_gt_u32_e32 vcc, s58, v10
	s_and_saveexec_b64 s[58:59], vcc
	s_xor_b64 s[58:59], exec, s[58:59]
	s_cbranch_execz .LBB23_1138
; %bb.1133:
	s_mov_b32 s60, 0x387fffff
	v_cmp_lt_u32_e32 vcc, s60, v10
                                        ; implicit-def: $vgpr5
	s_and_saveexec_b64 s[60:61], vcc
	s_xor_b64 s[60:61], exec, s[60:61]
; %bb.1134:
	v_bfe_u32 v5, v4, 21, 1
	s_mov_b32 s62, 0x80fffff
	v_add3_u32 v5, v4, v5, s62
	v_lshrrev_b32_e32 v5, 21, v5
; %bb.1135:
	s_andn2_saveexec_b64 s[60:61], s[60:61]
; %bb.1136:
	s_mov_b32 s62, 0x43000000
	v_add_f32_e64 v5, |v4|, s62
; %bb.1137:
	s_or_b64 exec, exec, s[60:61]
                                        ; implicit-def: $vgpr10
.LBB23_1138:
	s_andn2_saveexec_b64 s[58:59], s[58:59]
; %bb.1139:
	s_mov_b32 s60, 0x7f800000
	v_mov_b32_e32 v5, 0x7c
	v_mov_b32_e32 v11, 0x7f
	v_cmp_lt_u32_e32 vcc, s60, v10
	v_cndmask_b32_e32 v5, v5, v11, vcc
; %bb.1140:
	s_or_b64 exec, exec, s[58:59]
	v_lshrrev_b32_e32 v4, 24, v4
	s_movk_i32 s58, 0x80
	v_and_or_b32 v4, v4, s58, v5
	global_store_byte v[0:1], v4, off
.LBB23_1141:
	s_mov_b64 s[60:61], 0
	s_mov_b64 s[58:59], -1
.LBB23_1142:
	s_andn2_b64 vcc, exec, s[60:61]
	s_cbranch_vccnz .LBB23_1150
; %bb.1143:
	v_mov_b32_e32 v4, 14
	v_cmp_gt_i16_sdwa s[62:63], v6, v4 src0_sel:BYTE_0 src1_sel:DWORD
	s_mov_b64 s[60:61], -1
	s_and_b64 vcc, exec, s[62:63]
	s_cbranch_vccz .LBB23_1147
; %bb.1144:
	v_mov_b32_e32 v4, 15
	v_cmp_eq_u16_sdwa s[60:61], v6, v4 src0_sel:BYTE_0 src1_sel:DWORD
	s_mov_b64 s[0:1], -1
	s_and_b64 vcc, exec, s[60:61]
	s_cbranch_vccz .LBB23_1146
; %bb.1145:
	v_cvt_f32_f16_e32 v4, v2
	s_movk_i32 s0, 0x7fff
	v_mov_b32_e32 v5, 0x7fc0
	v_cmp_o_f16_e32 vcc, v2, v2
	v_bfe_u32 v10, v4, 16, 1
	v_add3_u32 v4, v4, v10, s0
	v_lshrrev_b32_e32 v4, 16, v4
	v_cndmask_b32_e32 v4, v5, v4, vcc
	global_store_short v[0:1], v4, off
	s_mov_b64 s[58:59], -1
	s_mov_b64 s[0:1], 0
.LBB23_1146:
	s_mov_b64 s[60:61], 0
.LBB23_1147:
	s_and_b64 vcc, exec, s[60:61]
	s_cbranch_vccz .LBB23_1150
; %bb.1148:
	v_mov_b32_e32 v4, 11
	v_cmp_eq_u16_sdwa s[60:61], v6, v4 src0_sel:BYTE_0 src1_sel:DWORD
	s_mov_b64 s[0:1], -1
	s_and_b64 vcc, exec, s[60:61]
	s_cbranch_vccz .LBB23_1150
; %bb.1149:
	v_cmp_ne_u16_e32 vcc, 0, v3
	v_cndmask_b32_e64 v3, 0, 1, vcc
	s_mov_b64 s[58:59], -1
	s_mov_b64 s[0:1], 0
	global_store_byte v[0:1], v3, off
.LBB23_1150:
	s_mov_b64 s[60:61], 0
.LBB23_1151:
	s_and_b64 vcc, exec, s[60:61]
	s_cbranch_vccz .LBB23_1190
; %bb.1152:
	v_mov_b32_e32 v3, 5
	v_cmp_lt_i16_sdwa s[60:61], v6, v3 src0_sel:BYTE_0 src1_sel:DWORD
	s_mov_b64 s[58:59], -1
	s_and_b64 vcc, exec, s[60:61]
	s_cbranch_vccnz .LBB23_1173
; %bb.1153:
	v_mov_b32_e32 v3, 8
	v_cmp_lt_i16_sdwa s[60:61], v6, v3 src0_sel:BYTE_0 src1_sel:DWORD
	s_and_b64 vcc, exec, s[60:61]
	s_cbranch_vccnz .LBB23_1163
; %bb.1154:
	v_mov_b32_e32 v3, 9
	v_cmp_lt_i16_sdwa s[60:61], v6, v3 src0_sel:BYTE_0 src1_sel:DWORD
	s_and_b64 vcc, exec, s[60:61]
	s_cbranch_vccnz .LBB23_1160
; %bb.1155:
	v_cmp_gt_i16_sdwa s[60:61], v6, v3 src0_sel:BYTE_0 src1_sel:DWORD
	s_and_b64 vcc, exec, s[60:61]
	s_cbranch_vccz .LBB23_1157
; %bb.1156:
	v_cvt_f32_f16_e32 v3, v2
	v_mov_b32_e32 v12, 0
	v_mov_b32_e32 v13, v12
	s_mov_b64 s[58:59], 0
	v_cvt_f64_f32_e32 v[10:11], v3
	global_store_dwordx4 v[0:1], v[10:13], off
.LBB23_1157:
	s_andn2_b64 vcc, exec, s[58:59]
	s_cbranch_vccnz .LBB23_1159
; %bb.1158:
	v_cvt_f32_f16_e32 v4, v2
	v_mov_b32_e32 v5, 0
	global_store_dwordx2 v[0:1], v[4:5], off
.LBB23_1159:
	s_mov_b64 s[58:59], 0
.LBB23_1160:
	s_andn2_b64 vcc, exec, s[58:59]
	s_cbranch_vccnz .LBB23_1162
; %bb.1161:
	v_and_b32_e32 v3, 0xffff, v2
	global_store_dword v[0:1], v3, off
.LBB23_1162:
	s_mov_b64 s[58:59], 0
.LBB23_1163:
	s_andn2_b64 vcc, exec, s[58:59]
	s_cbranch_vccnz .LBB23_1172
; %bb.1164:
	v_mov_b32_e32 v3, 6
	v_cmp_lt_i16_sdwa s[60:61], v6, v3 src0_sel:BYTE_0 src1_sel:DWORD
	s_mov_b64 s[58:59], -1
	s_and_b64 vcc, exec, s[60:61]
	s_cbranch_vccnz .LBB23_1170
; %bb.1165:
	v_cmp_gt_i16_sdwa s[60:61], v6, v3 src0_sel:BYTE_0 src1_sel:DWORD
	s_and_b64 vcc, exec, s[60:61]
	s_cbranch_vccz .LBB23_1167
; %bb.1166:
	v_cvt_f32_f16_e32 v3, v2
	s_mov_b64 s[58:59], 0
	v_cvt_f64_f32_e32 v[4:5], v3
	global_store_dwordx2 v[0:1], v[4:5], off
.LBB23_1167:
	s_andn2_b64 vcc, exec, s[58:59]
	s_cbranch_vccnz .LBB23_1169
; %bb.1168:
	v_cvt_f32_f16_e32 v3, v2
	global_store_dword v[0:1], v3, off
.LBB23_1169:
	s_mov_b64 s[58:59], 0
.LBB23_1170:
	s_andn2_b64 vcc, exec, s[58:59]
	s_cbranch_vccnz .LBB23_1172
; %bb.1171:
	global_store_short v[0:1], v2, off
.LBB23_1172:
	s_mov_b64 s[58:59], 0
.LBB23_1173:
	s_andn2_b64 vcc, exec, s[58:59]
	s_cbranch_vccnz .LBB23_1189
; %bb.1174:
	v_mov_b32_e32 v3, 2
	v_cmp_lt_i16_sdwa s[60:61], v6, v3 src0_sel:BYTE_0 src1_sel:DWORD
	s_mov_b64 s[58:59], -1
	s_and_b64 vcc, exec, s[60:61]
	s_cbranch_vccnz .LBB23_1184
; %bb.1175:
	v_mov_b32_e32 v3, 3
	v_cmp_lt_i16_sdwa s[60:61], v6, v3 src0_sel:BYTE_0 src1_sel:DWORD
	s_and_b64 vcc, exec, s[60:61]
	s_cbranch_vccnz .LBB23_1181
; %bb.1176:
	v_cmp_gt_i16_sdwa s[60:61], v6, v3 src0_sel:BYTE_0 src1_sel:DWORD
	s_and_b64 vcc, exec, s[60:61]
	s_cbranch_vccz .LBB23_1178
; %bb.1177:
	v_cvt_f32_f16_e32 v3, v2
	s_mov_b64 s[58:59], 0
	v_cvt_i32_f32_e32 v4, v3
	v_ashrrev_i32_e32 v5, 31, v4
	global_store_dwordx2 v[0:1], v[4:5], off
.LBB23_1178:
	s_andn2_b64 vcc, exec, s[58:59]
	s_cbranch_vccnz .LBB23_1180
; %bb.1179:
	v_cvt_f32_f16_e32 v3, v2
	v_cvt_i32_f32_e32 v3, v3
	global_store_dword v[0:1], v3, off
.LBB23_1180:
	s_mov_b64 s[58:59], 0
.LBB23_1181:
	s_andn2_b64 vcc, exec, s[58:59]
	s_cbranch_vccnz .LBB23_1183
; %bb.1182:
	v_cvt_i16_f16_e32 v3, v2
	global_store_short v[0:1], v3, off
.LBB23_1183:
	s_mov_b64 s[58:59], 0
.LBB23_1184:
	s_andn2_b64 vcc, exec, s[58:59]
	s_cbranch_vccnz .LBB23_1189
; %bb.1185:
	v_mov_b32_e32 v3, 0
	v_cmp_gt_i16_sdwa s[60:61], v6, v3 src0_sel:BYTE_0 src1_sel:DWORD
	s_mov_b64 s[58:59], -1
	s_and_b64 vcc, exec, s[60:61]
	s_cbranch_vccz .LBB23_1187
; %bb.1186:
	v_cvt_i16_f16_e32 v3, v2
	s_mov_b64 s[58:59], 0
	global_store_byte v[0:1], v3, off
.LBB23_1187:
	s_andn2_b64 vcc, exec, s[58:59]
	s_cbranch_vccnz .LBB23_1189
; %bb.1188:
	v_cvt_f32_f16_e32 v2, v2
	v_cvt_i32_f32_e32 v2, v2
	global_store_byte v[0:1], v2, off
.LBB23_1189:
	s_mov_b64 s[58:59], -1
.LBB23_1190:
	s_andn2_b64 vcc, exec, s[58:59]
	s_cbranch_vccnz .LBB23_1214
; %bb.1191:
	v_add_u32_e32 v8, 0x80, v8
	s_mov_b64 s[60:61], -1
.LBB23_1192:
	s_andn2_b64 s[58:59], s[48:49], exec
	s_and_b64 s[0:1], s[0:1], exec
	s_or_b64 s[58:59], s[58:59], s[0:1]
	s_andn2_b64 s[0:1], s[46:47], exec
	s_and_b64 s[56:57], s[56:57], exec
	s_or_b64 s[56:57], s[0:1], s[56:57]
	s_andn2_b64 s[0:1], s[44:45], exec
	s_and_b64 s[54:55], s[54:55], exec
	s_or_b64 s[0:1], s[0:1], s[54:55]
	s_orn2_b64 s[64:65], s[60:61], exec
.LBB23_1193:
	s_or_b64 exec, exec, s[52:53]
	s_mov_b64 s[60:61], 0
	s_mov_b64 s[54:55], 0
	;; [unrolled: 1-line block ×3, first 2 shown]
                                        ; implicit-def: $vgpr3
                                        ; implicit-def: $vgpr4_vgpr5
                                        ; implicit-def: $vgpr2
                                        ; implicit-def: $vgpr0
                                        ; implicit-def: $vgpr1
	s_and_saveexec_b64 s[52:53], s[64:65]
	s_cbranch_execz .LBB23_1287
; %bb.1194:
	v_cmp_gt_i32_e32 vcc, s66, v8
	s_mov_b64 s[64:65], s[0:1]
	s_mov_b64 s[66:67], 0
                                        ; implicit-def: $vgpr3
                                        ; implicit-def: $vgpr4_vgpr5
                                        ; implicit-def: $vgpr2
                                        ; implicit-def: $vgpr0
                                        ; implicit-def: $vgpr1
	s_and_saveexec_b64 s[54:55], vcc
	s_cbranch_execz .LBB23_1286
; %bb.1195:
	s_andn2_b64 vcc, exec, s[20:21]
	s_cbranch_vccnz .LBB23_1202
; %bb.1196:
	s_andn2_b64 vcc, exec, s[34:35]
	v_mov_b32_e32 v2, 0
	s_waitcnt vmcnt(0)
	v_mov_b32_e32 v4, 0
	v_mov_b32_e32 v0, 0
	s_cbranch_vccnz .LBB23_1201
; %bb.1197:
	s_add_i32 s34, s69, 1
	s_and_b32 s60, s34, 30
	s_add_u32 s34, s2, 0xffffffec
	s_addc_u32 s35, s3, -1
	v_mov_b32_e32 v0, 0
	v_mov_b32_e32 v1, v8
	;; [unrolled: 1-line block ×4, first 2 shown]
.LBB23_1198:                            ; =>This Inner Loop Header: Depth=1
	s_mov_b64 s[62:63], s[34:35]
	s_load_dwordx4 s[64:67], s[62:63], 0x18
	s_load_dwordx2 s[70:71], s[62:63], 0x28
	s_load_dwordx2 s[76:77], s[62:63], 0xe8
	s_load_dwordx4 s[72:75], s[62:63], 0xd8
	s_add_u32 s34, s62, 24
	s_waitcnt lgkmcnt(0)
	v_mul_hi_u32 v3, s65, v1
	v_add_u32_e32 v3, v1, v3
	v_lshrrev_b32_e32 v3, s66, v3
	v_mul_lo_u32 v5, v3, s64
	v_mul_hi_u32 v10, s70, v3
	v_sub_u32_e32 v1, v1, v5
	v_add_u32_e32 v5, v3, v10
	v_mul_lo_u32 v10, v1, s72
	v_mul_lo_u32 v11, v1, s73
	;; [unrolled: 1-line block ×3, first 2 shown]
	v_lshrrev_b32_e32 v1, s71, v5
	v_mul_lo_u32 v5, v1, s67
	v_sub_u32_e32 v3, v3, v5
	s_addc_u32 s35, s63, 0
	s_add_i32 s60, s60, -2
	v_mul_lo_u32 v5, v3, s75
	v_mul_lo_u32 v13, v3, s76
	;; [unrolled: 1-line block ×3, first 2 shown]
	s_cmp_eq_u32 s60, 0
	v_add3_u32 v0, v10, v0, v5
	v_add3_u32 v2, v12, v2, v3
	;; [unrolled: 1-line block ×3, first 2 shown]
	s_cbranch_scc0 .LBB23_1198
; %bb.1199:
	s_bitcmp1_b32 s69, 0
	s_cselect_b64 s[60:61], -1, 0
	s_and_b64 vcc, exec, s[60:61]
	s_cbranch_vccnz .LBB23_1201
; %bb.1200:
	s_load_dwordx2 s[60:61], s[34:35], 0x18
	s_load_dword s62, s[34:35], 0x20
	s_load_dword s63, s[34:35], 0xe0
	s_nop 0
	s_load_dwordx2 s[34:35], s[34:35], 0xd8
	s_waitcnt lgkmcnt(0)
	v_mul_hi_u32 v3, s61, v1
	v_add_u32_e32 v3, v1, v3
	v_lshrrev_b32_e32 v3, s62, v3
	v_mul_lo_u32 v3, v3, s60
	v_sub_u32_e32 v3, v1, v3
	v_mad_u64_u32 v[0:1], s[60:61], v3, s34, v[0:1]
	v_mad_u64_u32 v[4:5], s[34:35], v3, s35, v[4:5]
	;; [unrolled: 1-line block ×3, first 2 shown]
.LBB23_1201:
	s_mov_b64 s[34:35], 0
	s_branch .LBB23_1203
.LBB23_1202:
	s_mov_b64 s[34:35], -1
                                        ; implicit-def: $vgpr2
                                        ; implicit-def: $vgpr4
                                        ; implicit-def: $vgpr0
.LBB23_1203:
	s_andn2_b64 vcc, exec, s[34:35]
	s_cbranch_vccnz .LBB23_1206
; %bb.1204:
	s_waitcnt lgkmcnt(0)
	v_mul_hi_u32 v0, s17, v8
	v_add_u32_e32 v0, v8, v0
	s_waitcnt vmcnt(0)
	v_lshrrev_b32_e32 v1, s18, v0
	v_mul_lo_u32 v0, v1, s16
	v_sub_u32_e32 v3, v8, v0
	v_mul_lo_u32 v0, v3, s12
	v_mul_lo_u32 v2, v3, s14
	s_andn2_b64 vcc, exec, s[30:31]
	v_mul_lo_u32 v4, v3, s13
	s_cbranch_vccnz .LBB23_1206
; %bb.1205:
	v_mul_hi_u32 v3, s28, v1
	v_add_u32_e32 v3, v1, v3
	v_lshrrev_b32_e32 v3, s29, v3
	v_mul_lo_u32 v3, v3, s19
	v_sub_u32_e32 v3, v1, v3
	v_mad_u64_u32 v[0:1], s[12:13], v3, s15, v[0:1]
	v_mad_u64_u32 v[4:5], s[12:13], v3, s26, v[4:5]
	;; [unrolled: 1-line block ×3, first 2 shown]
.LBB23_1206:
	s_waitcnt vmcnt(0) lgkmcnt(0)
	v_mov_b32_e32 v1, s11
	v_add_co_u32_e32 v4, vcc, s10, v4
	v_addc_co_u32_e32 v5, vcc, 0, v1, vcc
	v_and_b32_e32 v3, 0xff, v9
	v_cmp_gt_i16_e32 vcc, 11, v3
	s_cbranch_vccnz .LBB23_1213
; %bb.1207:
	v_cmp_lt_i16_e32 vcc, 25, v3
	s_mov_b64 s[12:13], 0
	s_cbranch_vccz .LBB23_1215
; %bb.1208:
	v_cmp_lt_i16_e32 vcc, 28, v3
	s_cbranch_vccz .LBB23_1216
; %bb.1209:
	v_cmp_lt_i16_e32 vcc, 43, v3
	;; [unrolled: 3-line block ×3, first 2 shown]
	s_cbranch_vccz .LBB23_1218
; %bb.1211:
	v_cmp_eq_u16_e32 vcc, 46, v3
	s_mov_b64 s[16:17], 0
	s_cbranch_vccz .LBB23_1221
; %bb.1212:
	global_load_dword v1, v[4:5], off
	s_mov_b64 s[10:11], 0
	s_mov_b64 s[14:15], -1
	s_waitcnt vmcnt(0)
	v_lshlrev_b32_e32 v1, 16, v1
	v_cvt_f16_f32_e32 v1, v1
	s_branch .LBB23_1222
.LBB23_1213:
	s_mov_b64 s[16:17], -1
	s_mov_b64 s[14:15], 0
	s_mov_b64 s[12:13], 0
	;; [unrolled: 1-line block ×3, first 2 shown]
                                        ; implicit-def: $vgpr1
	s_branch .LBB23_1285
.LBB23_1214:
	s_mov_b64 s[60:61], 0
	s_branch .LBB23_945
.LBB23_1215:
	s_mov_b64 s[16:17], -1
	s_mov_b64 s[14:15], 0
	s_mov_b64 s[10:11], s[0:1]
                                        ; implicit-def: $vgpr1
	s_branch .LBB23_1251
.LBB23_1216:
	s_mov_b64 s[16:17], -1
	s_mov_b64 s[14:15], 0
	s_mov_b64 s[10:11], s[0:1]
                                        ; implicit-def: $vgpr1
	s_branch .LBB23_1232
.LBB23_1217:
	s_mov_b64 s[16:17], -1
	s_mov_b64 s[14:15], 0
	s_mov_b64 s[10:11], s[0:1]
                                        ; implicit-def: $vgpr1
	s_branch .LBB23_1227
.LBB23_1218:
	s_mov_b64 s[16:17], -1
	s_mov_b64 s[14:15], 0
	s_mov_b64 s[10:11], s[0:1]
                                        ; implicit-def: $vgpr1
	s_branch .LBB23_1222
.LBB23_1219:
	s_or_saveexec_b64 s[62:63], s[62:63]
                                        ; implicit-def: $sgpr64
	s_xor_b64 exec, exec, s[62:63]
	s_cbranch_execz .LBB23_1103
.LBB23_1220:
	s_mov_b32 s64, 0x46000000
	v_add_f32_e64 v5, |v4|, s64
	v_and_b32_e32 v5, 0xff, v5
	v_cmp_ne_u32_e32 vcc, 0, v5
	s_andn2_b64 s[60:61], s[60:61], exec
	s_and_b64 s[70:71], vcc, exec
	s_mov_b32 s64, 0
	s_or_b64 s[60:61], s[60:61], s[70:71]
	s_or_b64 exec, exec, s[62:63]
	v_mov_b32_e32 v10, s64
	s_and_saveexec_b64 s[62:63], s[60:61]
	s_cbranch_execnz .LBB23_1104
	s_branch .LBB23_1105
.LBB23_1221:
	s_mov_b64 s[10:11], -1
                                        ; implicit-def: $vgpr1
	s_mov_b64 s[14:15], 0
.LBB23_1222:
	s_and_b64 vcc, exec, s[16:17]
	s_cbranch_vccz .LBB23_1226
; %bb.1223:
	v_cmp_eq_u16_e32 vcc, 44, v3
	s_cbranch_vccz .LBB23_1225
; %bb.1224:
	global_load_ubyte v1, v[4:5], off
	s_movk_i32 s14, 0xff
	v_mov_b32_e32 v9, 0x7e00
	s_mov_b64 s[10:11], 0
	s_waitcnt vmcnt(0)
	v_lshlrev_b32_e32 v8, 23, v1
	v_cvt_f16_f32_e32 v8, v8
	v_cmp_ne_u32_e32 vcc, s14, v1
	s_mov_b64 s[14:15], -1
	v_cndmask_b32_e32 v8, v9, v8, vcc
	v_cmp_ne_u32_e32 vcc, 0, v1
	v_cndmask_b32_e32 v1, 0, v8, vcc
	s_branch .LBB23_1226
.LBB23_1225:
	s_mov_b64 s[10:11], -1
                                        ; implicit-def: $vgpr1
.LBB23_1226:
	s_mov_b64 s[16:17], 0
.LBB23_1227:
	s_and_b64 vcc, exec, s[16:17]
	s_cbranch_vccz .LBB23_1231
; %bb.1228:
	v_cmp_eq_u16_e32 vcc, 29, v3
	s_cbranch_vccz .LBB23_1230
; %bb.1229:
	global_load_dwordx2 v[8:9], v[4:5], off
	s_mov_b64 s[10:11], 0
	s_mov_b64 s[14:15], -1
	s_mov_b64 s[16:17], 0
	s_waitcnt vmcnt(0)
	v_ffbh_u32_e32 v1, v9
	v_min_u32_e32 v1, 32, v1
	v_lshlrev_b64 v[8:9], v1, v[8:9]
	v_min_u32_e32 v8, 1, v8
	v_or_b32_e32 v8, v9, v8
	v_cvt_f32_u32_e32 v8, v8
	v_sub_u32_e32 v1, 32, v1
	v_ldexp_f32 v1, v8, v1
	v_cvt_f16_f32_e32 v1, v1
	s_branch .LBB23_1232
.LBB23_1230:
	s_mov_b64 s[10:11], -1
                                        ; implicit-def: $vgpr1
.LBB23_1231:
	s_mov_b64 s[16:17], 0
.LBB23_1232:
	s_and_b64 vcc, exec, s[16:17]
	s_cbranch_vccz .LBB23_1250
; %bb.1233:
	v_cmp_gt_i16_e32 vcc, 27, v3
	s_cbranch_vccnz .LBB23_1236
; %bb.1234:
	v_cmp_lt_i16_e32 vcc, 27, v3
	s_cbranch_vccz .LBB23_1237
; %bb.1235:
	global_load_dword v1, v[4:5], off
	s_mov_b64 s[14:15], 0
	s_waitcnt vmcnt(0)
	v_cvt_f32_u32_e32 v1, v1
	v_cvt_f16_f32_e32 v1, v1
	s_branch .LBB23_1238
.LBB23_1236:
	s_mov_b64 s[14:15], -1
                                        ; implicit-def: $vgpr1
	s_branch .LBB23_1241
.LBB23_1237:
	s_mov_b64 s[14:15], -1
                                        ; implicit-def: $vgpr1
.LBB23_1238:
	s_andn2_b64 vcc, exec, s[14:15]
	s_cbranch_vccnz .LBB23_1240
; %bb.1239:
	global_load_ushort v1, v[4:5], off
	s_waitcnt vmcnt(0)
	v_cvt_f16_u16_e32 v1, v1
.LBB23_1240:
	s_mov_b64 s[14:15], 0
.LBB23_1241:
	s_andn2_b64 vcc, exec, s[14:15]
	s_cbranch_vccnz .LBB23_1249
; %bb.1242:
	global_load_ubyte v8, v[4:5], off
	s_movk_i32 s14, 0x7f
                                        ; implicit-def: $sgpr26
	s_waitcnt vmcnt(0)
	v_cmp_lt_i16_e32 vcc, s14, v8
	s_mov_b64 s[14:15], 0
	s_and_saveexec_b64 s[16:17], vcc
	s_xor_b64 s[16:17], exec, s[16:17]
	s_cbranch_execz .LBB23_1263
; %bb.1243:
	s_movk_i32 s14, 0x80
	v_cmp_eq_u16_e32 vcc, s14, v8
	s_mov_b64 s[14:15], -1
                                        ; implicit-def: $sgpr26
	s_and_saveexec_b64 s[18:19], vcc
; %bb.1244:
	s_movk_i32 s26, 0x7e00
	s_xor_b64 s[14:15], exec, -1
; %bb.1245:
	s_or_b64 exec, exec, s[18:19]
	s_and_b64 s[14:15], s[14:15], exec
	s_or_saveexec_b64 s[16:17], s[16:17]
	v_mov_b32_e32 v1, s26
	s_xor_b64 exec, exec, s[16:17]
	s_cbranch_execnz .LBB23_1264
.LBB23_1246:
	s_or_b64 exec, exec, s[16:17]
	s_and_saveexec_b64 s[16:17], s[14:15]
	s_cbranch_execz .LBB23_1248
.LBB23_1247:
	v_lshlrev_b32_e32 v1, 24, v8
	v_and_b32_e32 v8, 0xffff, v8
	v_and_b32_e32 v9, 7, v8
	v_ffbh_u32_e32 v11, v9
	v_min_u32_e32 v11, 32, v11
	v_subrev_u32_e32 v12, 28, v11
	v_bfe_u32 v10, v8, 3, 4
	v_lshlrev_b32_e32 v8, v12, v8
	v_sub_u32_e32 v11, 29, v11
	v_and_b32_e32 v8, 7, v8
	v_cmp_eq_u32_e32 vcc, 0, v10
	v_cndmask_b32_e32 v10, v10, v11, vcc
	v_cndmask_b32_e32 v8, v9, v8, vcc
	v_mov_b32_e32 v9, 0x3b800000
	v_lshlrev_b32_e32 v8, 20, v8
	v_and_b32_e32 v1, 0x80000000, v1
	v_lshl_add_u32 v9, v10, 23, v9
	v_or3_b32 v1, v1, v9, v8
	v_cvt_f16_f32_e32 v1, v1
.LBB23_1248:
	s_or_b64 exec, exec, s[16:17]
.LBB23_1249:
	s_mov_b64 s[14:15], -1
.LBB23_1250:
	s_mov_b64 s[16:17], 0
.LBB23_1251:
	s_and_b64 vcc, exec, s[16:17]
	s_cbranch_vccz .LBB23_1284
; %bb.1252:
	v_cmp_lt_i16_e32 vcc, 22, v3
	s_cbranch_vccz .LBB23_1262
; %bb.1253:
	v_cmp_gt_i16_e32 vcc, 24, v3
	s_cbranch_vccnz .LBB23_1265
; %bb.1254:
	v_cmp_lt_i16_e32 vcc, 24, v3
	s_cbranch_vccz .LBB23_1266
; %bb.1255:
	global_load_ubyte v8, v[4:5], off
	s_movk_i32 s12, 0x7f
                                        ; implicit-def: $sgpr18
	s_waitcnt vmcnt(0)
	v_cmp_lt_i16_e32 vcc, s12, v8
	s_mov_b64 s[12:13], 0
	s_and_saveexec_b64 s[14:15], vcc
	s_xor_b64 s[14:15], exec, s[14:15]
	s_cbranch_execz .LBB23_1278
; %bb.1256:
	s_movk_i32 s12, 0x80
	v_cmp_eq_u16_e32 vcc, s12, v8
	s_mov_b64 s[12:13], -1
                                        ; implicit-def: $sgpr18
	s_and_saveexec_b64 s[16:17], vcc
; %bb.1257:
	s_movk_i32 s18, 0x7e00
	s_xor_b64 s[12:13], exec, -1
; %bb.1258:
	s_or_b64 exec, exec, s[16:17]
	s_and_b64 s[12:13], s[12:13], exec
	s_or_saveexec_b64 s[14:15], s[14:15]
	v_mov_b32_e32 v1, s18
	s_xor_b64 exec, exec, s[14:15]
	s_cbranch_execnz .LBB23_1279
.LBB23_1259:
	s_or_b64 exec, exec, s[14:15]
	s_and_saveexec_b64 s[14:15], s[12:13]
	s_cbranch_execz .LBB23_1261
.LBB23_1260:
	v_lshlrev_b32_e32 v1, 24, v8
	v_and_b32_e32 v8, 0xffff, v8
	v_and_b32_e32 v9, 3, v8
	v_ffbh_u32_e32 v11, v9
	v_min_u32_e32 v11, 32, v11
	v_subrev_u32_e32 v12, 29, v11
	v_bfe_u32 v10, v8, 2, 5
	v_lshlrev_b32_e32 v8, v12, v8
	v_sub_u32_e32 v11, 30, v11
	v_and_b32_e32 v8, 3, v8
	v_cmp_eq_u32_e32 vcc, 0, v10
	v_cndmask_b32_e32 v10, v10, v11, vcc
	v_cndmask_b32_e32 v8, v9, v8, vcc
	v_mov_b32_e32 v9, 0x37800000
	v_lshlrev_b32_e32 v8, 21, v8
	v_and_b32_e32 v1, 0x80000000, v1
	v_lshl_add_u32 v9, v10, 23, v9
	v_or3_b32 v1, v1, v9, v8
	v_cvt_f16_f32_e32 v1, v1
.LBB23_1261:
	s_or_b64 exec, exec, s[14:15]
	s_mov_b64 s[12:13], 0
	s_branch .LBB23_1267
.LBB23_1262:
	s_mov_b64 s[12:13], -1
                                        ; implicit-def: $vgpr1
	s_branch .LBB23_1273
.LBB23_1263:
	s_or_saveexec_b64 s[16:17], s[16:17]
	v_mov_b32_e32 v1, s26
	s_xor_b64 exec, exec, s[16:17]
	s_cbranch_execz .LBB23_1246
.LBB23_1264:
	v_cmp_ne_u16_e32 vcc, 0, v8
	s_andn2_b64 s[14:15], s[14:15], exec
	s_and_b64 s[18:19], vcc, exec
	s_or_b64 s[14:15], s[14:15], s[18:19]
	v_mov_b32_e32 v1, v8
	s_or_b64 exec, exec, s[16:17]
	s_and_saveexec_b64 s[16:17], s[14:15]
	s_cbranch_execnz .LBB23_1247
	s_branch .LBB23_1248
.LBB23_1265:
	s_mov_b64 s[12:13], -1
                                        ; implicit-def: $vgpr1
	s_branch .LBB23_1270
.LBB23_1266:
	s_mov_b64 s[12:13], -1
                                        ; implicit-def: $vgpr1
.LBB23_1267:
	s_and_b64 vcc, exec, s[12:13]
	s_cbranch_vccz .LBB23_1269
; %bb.1268:
	global_load_ubyte v1, v[4:5], off
	s_mov_b32 s12, 0x7f800000
	s_waitcnt vmcnt(0)
	v_lshlrev_b32_e32 v1, 24, v1
	v_and_b32_e32 v8, 0x7f000000, v1
	v_ffbh_u32_e32 v9, v8
	v_min_u32_e32 v9, 32, v9
	v_sub_u32_e64 v9, v9, 4 clamp
	v_lshlrev_b32_e32 v11, v9, v8
	v_lshlrev_b32_e32 v9, 23, v9
	v_lshrrev_b32_e32 v11, 4, v11
	v_add_u32_e32 v10, 0x1000000, v8
	v_sub_u32_e32 v9, v11, v9
	v_ashrrev_i32_e32 v10, 8, v10
	v_add_u32_e32 v9, 0x3c000000, v9
	v_and_or_b32 v9, v10, s12, v9
	v_cmp_ne_u32_e32 vcc, 0, v8
	v_cndmask_b32_e32 v8, 0, v9, vcc
	s_brev_b32 s12, 1
	v_and_or_b32 v1, v1, s12, v8
	v_cvt_f16_f32_e32 v1, v1
.LBB23_1269:
	s_mov_b64 s[12:13], 0
.LBB23_1270:
	s_andn2_b64 vcc, exec, s[12:13]
	s_cbranch_vccnz .LBB23_1272
; %bb.1271:
	global_load_ubyte v1, v[4:5], off
	s_movk_i32 s12, 0x7f00
	s_brev_b32 s13, 16
	s_waitcnt vmcnt(0)
	v_lshlrev_b16_e32 v8, 8, v1
	v_lshlrev_b32_e32 v1, 25, v1
	v_lshrrev_b32_e32 v9, 4, v1
	v_and_or_b32 v10, v8, s12, 0.5
	v_or_b32_e32 v9, 0x70000000, v9
	v_add_f32_e32 v10, -0.5, v10
	v_mul_f32_e32 v9, 0x7800000, v9
	v_cmp_gt_u32_e32 vcc, s13, v1
	v_bfe_i32 v8, v8, 0, 16
	v_cndmask_b32_e32 v1, v9, v10, vcc
	s_brev_b32 s12, 1
	v_and_or_b32 v1, v8, s12, v1
	v_cvt_f16_f32_e32 v1, v1
.LBB23_1272:
	s_mov_b64 s[12:13], 0
	s_mov_b64 s[14:15], -1
.LBB23_1273:
	s_andn2_b64 vcc, exec, s[12:13]
	s_mov_b64 s[12:13], 0
	s_cbranch_vccnz .LBB23_1284
; %bb.1274:
	v_cmp_lt_i16_e32 vcc, 14, v3
	s_cbranch_vccz .LBB23_1277
; %bb.1275:
	v_cmp_eq_u16_e32 vcc, 15, v3
	s_cbranch_vccz .LBB23_1280
; %bb.1276:
	global_load_ushort v1, v[4:5], off
	s_mov_b64 s[10:11], 0
	s_mov_b64 s[14:15], -1
	s_waitcnt vmcnt(0)
	v_lshlrev_b32_e32 v1, 16, v1
	v_cvt_f16_f32_e32 v1, v1
	s_branch .LBB23_1281
.LBB23_1277:
	s_mov_b64 s[16:17], -1
                                        ; implicit-def: $vgpr1
	s_branch .LBB23_1282
.LBB23_1278:
	s_or_saveexec_b64 s[14:15], s[14:15]
	v_mov_b32_e32 v1, s18
	s_xor_b64 exec, exec, s[14:15]
	s_cbranch_execz .LBB23_1259
.LBB23_1279:
	v_cmp_ne_u16_e32 vcc, 0, v8
	s_andn2_b64 s[12:13], s[12:13], exec
	s_and_b64 s[16:17], vcc, exec
	s_or_b64 s[12:13], s[12:13], s[16:17]
	v_mov_b32_e32 v1, v8
	s_or_b64 exec, exec, s[14:15]
	s_and_saveexec_b64 s[14:15], s[12:13]
	s_cbranch_execnz .LBB23_1260
	s_branch .LBB23_1261
.LBB23_1280:
	s_mov_b64 s[10:11], -1
                                        ; implicit-def: $vgpr1
.LBB23_1281:
	s_mov_b64 s[16:17], 0
.LBB23_1282:
	s_and_b64 vcc, exec, s[16:17]
	s_cbranch_vccz .LBB23_1284
; %bb.1283:
	v_cmp_ne_u16_e32 vcc, 11, v3
	s_andn2_b64 s[10:11], s[10:11], exec
	s_and_b64 s[16:17], vcc, exec
	s_mov_b64 s[12:13], -1
	s_or_b64 s[10:11], s[10:11], s[16:17]
                                        ; implicit-def: $vgpr1
.LBB23_1284:
	s_mov_b64 s[16:17], 0
.LBB23_1285:
	s_and_b64 s[60:61], s[12:13], exec
	s_andn2_b64 s[12:13], s[0:1], exec
	s_and_b64 s[10:11], s[10:11], exec
	s_and_b64 s[62:63], s[14:15], exec
	;; [unrolled: 1-line block ×3, first 2 shown]
	s_or_b64 s[64:65], s[12:13], s[10:11]
.LBB23_1286:
	s_or_b64 exec, exec, s[54:55]
	s_andn2_b64 s[0:1], s[0:1], exec
	s_waitcnt lgkmcnt(0)
	s_and_b64 s[10:11], s[64:65], exec
	s_and_b64 s[62:63], s[62:63], exec
	;; [unrolled: 1-line block ×4, first 2 shown]
	s_or_b64 s[0:1], s[0:1], s[10:11]
.LBB23_1287:
	s_or_b64 exec, exec, s[52:53]
	s_waitcnt lgkmcnt(0)
	s_andn2_b64 s[10:11], s[48:49], exec
	s_and_b64 s[12:13], s[58:59], exec
	s_or_b64 s[48:49], s[10:11], s[12:13]
	s_andn2_b64 s[10:11], s[46:47], exec
	s_and_b64 s[12:13], s[56:57], exec
	s_or_b64 s[46:47], s[10:11], s[12:13]
	s_andn2_b64 s[10:11], s[44:45], exec
	s_and_b64 s[0:1], s[0:1], exec
	s_and_b64 s[56:57], s[62:63], exec
	;; [unrolled: 1-line block ×4, first 2 shown]
	s_or_b64 s[44:45], s[10:11], s[0:1]
.LBB23_1288:
	s_or_b64 exec, exec, s[50:51]
	s_andn2_b64 s[0:1], s[36:37], exec
	s_waitcnt lgkmcnt(0)
	s_and_b64 s[10:11], s[48:49], exec
	s_or_b64 s[36:37], s[0:1], s[10:11]
	s_andn2_b64 s[0:1], s[38:39], exec
	s_and_b64 s[10:11], s[46:47], exec
	s_or_b64 s[38:39], s[0:1], s[10:11]
	s_andn2_b64 s[0:1], s[40:41], exec
	s_and_b64 s[10:11], s[44:45], exec
	s_and_b64 s[48:49], s[56:57], exec
	;; [unrolled: 1-line block ×4, first 2 shown]
	s_or_b64 s[40:41], s[0:1], s[10:11]
	s_or_b64 exec, exec, s[42:43]
	s_mov_b64 s[10:11], 0
	s_and_saveexec_b64 s[0:1], s[40:41]
	s_cbranch_execz .LBB23_403
.LBB23_1289:
	s_mov_b64 s[10:11], exec
	s_andn2_b64 s[46:47], s[46:47], exec
	s_trap 2
                                        ; implicit-def: $vgpr1
	s_or_b64 exec, exec, s[0:1]
	s_and_saveexec_b64 s[0:1], s[46:47]
	s_xor_b64 s[0:1], exec, s[0:1]
	s_cbranch_execnz .LBB23_404
.LBB23_1290:
	s_or_b64 exec, exec, s[0:1]
	s_and_saveexec_b64 s[0:1], s[50:51]
	s_cbranch_execz .LBB23_1336
.LBB23_1291:
	v_cmp_gt_i16_e32 vcc, 5, v3
	s_cbranch_vccnz .LBB23_1296
; %bb.1292:
	v_cmp_gt_i16_e32 vcc, 8, v3
	s_cbranch_vccnz .LBB23_1297
; %bb.1293:
	v_cmp_gt_i16_e32 vcc, 9, v3
	s_cbranch_vccnz .LBB23_1298
; %bb.1294:
	v_cmp_lt_i16_e32 vcc, 9, v3
	s_cbranch_vccz .LBB23_1299
; %bb.1295:
	s_waitcnt vmcnt(0)
	global_load_dwordx2 v[8:9], v[4:5], off
	s_mov_b64 s[12:13], 0
	s_waitcnt vmcnt(0)
	v_cvt_f32_f64_e32 v1, v[8:9]
	v_cvt_f16_f32_e32 v1, v1
	s_branch .LBB23_1300
.LBB23_1296:
                                        ; implicit-def: $vgpr1
	s_branch .LBB23_1317
.LBB23_1297:
                                        ; implicit-def: $vgpr1
	s_branch .LBB23_1306
.LBB23_1298:
	s_mov_b64 s[12:13], -1
                                        ; implicit-def: $vgpr1
	s_branch .LBB23_1303
.LBB23_1299:
	s_mov_b64 s[12:13], -1
                                        ; implicit-def: $vgpr1
.LBB23_1300:
	s_andn2_b64 vcc, exec, s[12:13]
	s_cbranch_vccnz .LBB23_1302
; %bb.1301:
	s_waitcnt vmcnt(0)
	global_load_dword v1, v[4:5], off
	s_waitcnt vmcnt(0)
	v_cvt_f16_f32_e32 v1, v1
.LBB23_1302:
	s_mov_b64 s[12:13], 0
.LBB23_1303:
	s_andn2_b64 vcc, exec, s[12:13]
	s_cbranch_vccnz .LBB23_1305
; %bb.1304:
	s_waitcnt vmcnt(0)
	global_load_dword v1, v[4:5], off
.LBB23_1305:
	s_cbranch_execnz .LBB23_1316
.LBB23_1306:
	v_cmp_gt_i16_e32 vcc, 6, v3
	s_cbranch_vccnz .LBB23_1309
; %bb.1307:
	v_cmp_lt_i16_e32 vcc, 6, v3
	s_cbranch_vccz .LBB23_1310
; %bb.1308:
	s_waitcnt vmcnt(0)
	global_load_dwordx2 v[8:9], v[4:5], off
	s_mov_b64 s[12:13], 0
	s_waitcnt vmcnt(0)
	v_cvt_f32_f64_e32 v1, v[8:9]
	v_cvt_f16_f32_e32 v1, v1
	s_branch .LBB23_1311
.LBB23_1309:
	s_mov_b64 s[12:13], -1
                                        ; implicit-def: $vgpr1
	s_branch .LBB23_1314
.LBB23_1310:
	s_mov_b64 s[12:13], -1
                                        ; implicit-def: $vgpr1
.LBB23_1311:
	s_andn2_b64 vcc, exec, s[12:13]
	s_cbranch_vccnz .LBB23_1313
; %bb.1312:
	s_waitcnt vmcnt(0)
	global_load_dword v1, v[4:5], off
	s_waitcnt vmcnt(0)
	v_cvt_f16_f32_e32 v1, v1
.LBB23_1313:
	s_mov_b64 s[12:13], 0
.LBB23_1314:
	s_andn2_b64 vcc, exec, s[12:13]
	s_cbranch_vccnz .LBB23_1316
; %bb.1315:
	s_waitcnt vmcnt(0)
	global_load_ushort v1, v[4:5], off
.LBB23_1316:
	s_cbranch_execnz .LBB23_1335
.LBB23_1317:
	v_cmp_gt_i16_e32 vcc, 2, v3
	s_cbranch_vccnz .LBB23_1321
; %bb.1318:
	v_cmp_gt_i16_e32 vcc, 3, v3
	s_cbranch_vccnz .LBB23_1322
; %bb.1319:
	v_cmp_lt_i16_e32 vcc, 3, v3
	s_cbranch_vccz .LBB23_1323
; %bb.1320:
	s_waitcnt vmcnt(0)
	global_load_dwordx2 v[8:9], v[4:5], off
	s_mov_b64 s[12:13], 0
	s_waitcnt vmcnt(0)
	v_xor_b32_e32 v10, v8, v9
	v_ffbh_i32_e32 v1, v9
	v_ashrrev_i32_e32 v10, 31, v10
	v_add_u32_e32 v1, -1, v1
	v_add_u32_e32 v10, 32, v10
	v_min_u32_e32 v1, v1, v10
	v_lshlrev_b64 v[8:9], v1, v[8:9]
	v_min_u32_e32 v8, 1, v8
	v_or_b32_e32 v8, v9, v8
	v_cvt_f32_i32_e32 v8, v8
	v_sub_u32_e32 v1, 32, v1
	v_ldexp_f32 v1, v8, v1
	v_cvt_f16_f32_e32 v1, v1
	s_branch .LBB23_1324
.LBB23_1321:
                                        ; implicit-def: $vgpr1
	s_branch .LBB23_1330
.LBB23_1322:
	s_mov_b64 s[12:13], -1
                                        ; implicit-def: $vgpr1
	s_branch .LBB23_1327
.LBB23_1323:
	s_mov_b64 s[12:13], -1
                                        ; implicit-def: $vgpr1
.LBB23_1324:
	s_andn2_b64 vcc, exec, s[12:13]
	s_cbranch_vccnz .LBB23_1326
; %bb.1325:
	s_waitcnt vmcnt(0)
	global_load_dword v1, v[4:5], off
	s_waitcnt vmcnt(0)
	v_cvt_f32_i32_e32 v1, v1
	v_cvt_f16_f32_e32 v1, v1
.LBB23_1326:
	s_mov_b64 s[12:13], 0
.LBB23_1327:
	s_andn2_b64 vcc, exec, s[12:13]
	s_cbranch_vccnz .LBB23_1329
; %bb.1328:
	s_waitcnt vmcnt(0)
	global_load_ushort v1, v[4:5], off
	s_waitcnt vmcnt(0)
	v_cvt_f16_i16_e32 v1, v1
.LBB23_1329:
	s_cbranch_execnz .LBB23_1335
.LBB23_1330:
	v_cmp_lt_i16_e32 vcc, 0, v3
	s_cbranch_vccz .LBB23_1332
; %bb.1331:
	s_waitcnt vmcnt(0)
	global_load_sbyte v1, v[4:5], off
	s_mov_b64 s[12:13], 0
	s_waitcnt vmcnt(0)
	v_cvt_f16_i16_e32 v1, v1
	s_branch .LBB23_1333
.LBB23_1332:
	s_mov_b64 s[12:13], -1
                                        ; implicit-def: $vgpr1
.LBB23_1333:
	s_andn2_b64 vcc, exec, s[12:13]
	s_cbranch_vccnz .LBB23_1335
; %bb.1334:
	s_waitcnt vmcnt(0)
	global_load_ubyte v1, v[4:5], off
	s_waitcnt vmcnt(0)
	v_cvt_f16_u16_e32 v1, v1
.LBB23_1335:
	s_or_b64 s[48:49], s[48:49], exec
.LBB23_1336:
	s_or_b64 exec, exec, s[0:1]
	s_mov_b64 s[14:15], 0
	s_mov_b64 s[18:19], 0
	;; [unrolled: 1-line block ×3, first 2 shown]
                                        ; implicit-def: $vgpr3
                                        ; implicit-def: $vgpr4_vgpr5
                                        ; implicit-def: $vgpr8
	s_and_saveexec_b64 s[0:1], s[48:49]
	s_cbranch_execz .LBB23_1344
; %bb.1337:
	v_mov_b32_e32 v3, s25
	s_waitcnt vmcnt(0)
	v_add_co_u32_e32 v4, vcc, s24, v2
	v_addc_co_u32_e32 v5, vcc, 0, v3, vcc
	v_and_b32_e32 v3, 0xff, v7
	v_cmp_gt_i16_e32 vcc, 11, v3
	s_cbranch_vccnz .LBB23_1347
; %bb.1338:
	v_cmp_lt_i16_e32 vcc, 25, v3
	s_cbranch_vccz .LBB23_1348
; %bb.1339:
	v_cmp_lt_i16_e32 vcc, 28, v3
	s_cbranch_vccz .LBB23_1349
	;; [unrolled: 3-line block ×4, first 2 shown]
; %bb.1342:
	v_cmp_eq_u16_e32 vcc, 46, v3
	s_cbranch_vccz .LBB23_1352
; %bb.1343:
	global_load_dword v2, v[4:5], off
	s_mov_b64 s[12:13], 0
	s_mov_b64 s[16:17], -1
	s_waitcnt vmcnt(0)
	v_lshlrev_b32_e32 v2, 16, v2
	v_cvt_f16_f32_e32 v8, v2
	s_branch .LBB23_1354
.LBB23_1344:
	s_or_b64 exec, exec, s[0:1]
	s_and_saveexec_b64 s[0:1], s[38:39]
	s_cbranch_execnz .LBB23_1417
.LBB23_1345:
	s_or_b64 exec, exec, s[0:1]
	s_and_saveexec_b64 s[0:1], s[14:15]
	s_xor_b64 s[0:1], exec, s[0:1]
	s_cbranch_execz .LBB23_1418
.LBB23_1346:
	s_waitcnt vmcnt(0)
	global_load_ubyte v2, v[4:5], off
	v_mov_b32_e32 v7, 0x3c00
	s_or_b64 s[16:17], s[16:17], exec
	s_waitcnt vmcnt(0)
	v_cmp_ne_u16_e32 vcc, 0, v2
	v_cndmask_b32_e32 v8, 0, v7, vcc
	s_or_b64 exec, exec, s[0:1]
	s_and_saveexec_b64 s[0:1], s[18:19]
	s_cbranch_execz .LBB23_1464
	s_branch .LBB23_1419
.LBB23_1347:
	s_mov_b64 s[18:19], -1
                                        ; implicit-def: $vgpr8
	s_mov_b64 s[12:13], s[38:39]
	s_branch .LBB23_1416
.LBB23_1348:
	s_mov_b64 s[12:13], s[38:39]
                                        ; implicit-def: $vgpr8
	s_cbranch_execnz .LBB23_1383
	s_branch .LBB23_1415
.LBB23_1349:
	s_mov_b64 s[18:19], -1
	s_mov_b64 s[12:13], s[38:39]
                                        ; implicit-def: $vgpr8
	s_branch .LBB23_1364
.LBB23_1350:
	s_mov_b64 s[18:19], -1
	s_mov_b64 s[12:13], s[38:39]
                                        ; implicit-def: $vgpr8
	s_branch .LBB23_1359
.LBB23_1351:
	s_mov_b64 s[18:19], -1
	s_mov_b64 s[12:13], s[38:39]
	s_branch .LBB23_1353
.LBB23_1352:
	s_mov_b64 s[12:13], -1
.LBB23_1353:
                                        ; implicit-def: $vgpr8
.LBB23_1354:
	s_and_b64 vcc, exec, s[18:19]
	s_cbranch_vccz .LBB23_1358
; %bb.1355:
	v_cmp_eq_u16_e32 vcc, 44, v3
	s_cbranch_vccz .LBB23_1357
; %bb.1356:
	global_load_ubyte v2, v[4:5], off
	s_movk_i32 s16, 0xff
	v_mov_b32_e32 v8, 0x7e00
	s_mov_b64 s[12:13], 0
	s_waitcnt vmcnt(0)
	v_lshlrev_b32_e32 v7, 23, v2
	v_cvt_f16_f32_e32 v7, v7
	v_cmp_ne_u32_e32 vcc, s16, v2
	s_mov_b64 s[16:17], -1
	v_cndmask_b32_e32 v7, v8, v7, vcc
	v_cmp_ne_u32_e32 vcc, 0, v2
	v_cndmask_b32_e32 v8, 0, v7, vcc
	s_branch .LBB23_1358
.LBB23_1357:
	s_mov_b64 s[12:13], -1
                                        ; implicit-def: $vgpr8
.LBB23_1358:
	s_mov_b64 s[18:19], 0
.LBB23_1359:
	s_and_b64 vcc, exec, s[18:19]
	s_cbranch_vccz .LBB23_1363
; %bb.1360:
	v_cmp_eq_u16_e32 vcc, 29, v3
	s_cbranch_vccz .LBB23_1362
; %bb.1361:
	global_load_dwordx2 v[8:9], v[4:5], off
	s_mov_b64 s[12:13], 0
	s_mov_b64 s[16:17], -1
	s_mov_b64 s[18:19], 0
	s_waitcnt vmcnt(0)
	v_ffbh_u32_e32 v2, v9
	v_min_u32_e32 v2, 32, v2
	v_lshlrev_b64 v[8:9], v2, v[8:9]
	v_min_u32_e32 v7, 1, v8
	v_or_b32_e32 v7, v9, v7
	v_cvt_f32_u32_e32 v7, v7
	v_sub_u32_e32 v2, 32, v2
	v_ldexp_f32 v2, v7, v2
	v_cvt_f16_f32_e32 v8, v2
	s_branch .LBB23_1364
.LBB23_1362:
	s_mov_b64 s[12:13], -1
                                        ; implicit-def: $vgpr8
.LBB23_1363:
	s_mov_b64 s[18:19], 0
.LBB23_1364:
	s_and_b64 vcc, exec, s[18:19]
	s_cbranch_vccz .LBB23_1382
; %bb.1365:
	v_cmp_gt_i16_e32 vcc, 27, v3
	s_cbranch_vccnz .LBB23_1368
; %bb.1366:
	v_cmp_lt_i16_e32 vcc, 27, v3
	s_cbranch_vccz .LBB23_1369
; %bb.1367:
	global_load_dword v2, v[4:5], off
	s_mov_b64 s[16:17], 0
	s_waitcnt vmcnt(0)
	v_cvt_f32_u32_e32 v2, v2
	v_cvt_f16_f32_e32 v8, v2
	s_branch .LBB23_1370
.LBB23_1368:
	s_mov_b64 s[16:17], -1
                                        ; implicit-def: $vgpr8
	s_branch .LBB23_1373
.LBB23_1369:
	s_mov_b64 s[16:17], -1
                                        ; implicit-def: $vgpr8
.LBB23_1370:
	s_andn2_b64 vcc, exec, s[16:17]
	s_cbranch_vccnz .LBB23_1372
; %bb.1371:
	global_load_ushort v2, v[4:5], off
	s_waitcnt vmcnt(0)
	v_cvt_f16_u16_e32 v8, v2
.LBB23_1372:
	s_mov_b64 s[16:17], 0
.LBB23_1373:
	s_andn2_b64 vcc, exec, s[16:17]
	s_cbranch_vccnz .LBB23_1381
; %bb.1374:
	global_load_ubyte v2, v[4:5], off
	s_movk_i32 s16, 0x7f
                                        ; implicit-def: $sgpr26
	s_waitcnt vmcnt(0)
	v_cmp_lt_i16_e32 vcc, s16, v2
	s_mov_b64 s[16:17], 0
	s_and_saveexec_b64 s[18:19], vcc
	s_xor_b64 s[18:19], exec, s[18:19]
	s_cbranch_execz .LBB23_1394
; %bb.1375:
	s_movk_i32 s16, 0x80
	v_cmp_eq_u16_e32 vcc, s16, v2
	s_mov_b64 s[16:17], -1
                                        ; implicit-def: $sgpr26
	s_and_saveexec_b64 s[24:25], vcc
; %bb.1376:
	s_movk_i32 s26, 0x7e00
	s_xor_b64 s[16:17], exec, -1
; %bb.1377:
	s_or_b64 exec, exec, s[24:25]
	s_and_b64 s[16:17], s[16:17], exec
	s_or_saveexec_b64 s[18:19], s[18:19]
	v_mov_b32_e32 v8, s26
	s_xor_b64 exec, exec, s[18:19]
	s_cbranch_execnz .LBB23_1395
.LBB23_1378:
	s_or_b64 exec, exec, s[18:19]
	s_and_saveexec_b64 s[18:19], s[16:17]
	s_cbranch_execz .LBB23_1380
.LBB23_1379:
	v_lshlrev_b32_e32 v7, 24, v2
	v_and_b32_e32 v2, 0xffff, v2
	v_and_b32_e32 v8, 7, v2
	v_ffbh_u32_e32 v10, v8
	v_min_u32_e32 v10, 32, v10
	v_subrev_u32_e32 v11, 28, v10
	v_bfe_u32 v9, v2, 3, 4
	v_lshlrev_b32_e32 v2, v11, v2
	v_sub_u32_e32 v10, 29, v10
	v_and_b32_e32 v2, 7, v2
	v_cmp_eq_u32_e32 vcc, 0, v9
	v_cndmask_b32_e32 v9, v9, v10, vcc
	v_cndmask_b32_e32 v2, v8, v2, vcc
	v_mov_b32_e32 v8, 0x3b800000
	v_lshlrev_b32_e32 v2, 20, v2
	v_and_b32_e32 v7, 0x80000000, v7
	v_lshl_add_u32 v8, v9, 23, v8
	v_or3_b32 v2, v7, v8, v2
	v_cvt_f16_f32_e32 v8, v2
.LBB23_1380:
	s_or_b64 exec, exec, s[18:19]
.LBB23_1381:
	s_mov_b64 s[16:17], -1
.LBB23_1382:
	s_branch .LBB23_1415
.LBB23_1383:
	v_cmp_lt_i16_e32 vcc, 22, v3
	s_cbranch_vccz .LBB23_1393
; %bb.1384:
	v_cmp_gt_i16_e32 vcc, 24, v3
	s_cbranch_vccnz .LBB23_1396
; %bb.1385:
	v_cmp_lt_i16_e32 vcc, 24, v3
	s_cbranch_vccz .LBB23_1397
; %bb.1386:
	global_load_ubyte v2, v[4:5], off
	s_movk_i32 s14, 0x7f
                                        ; implicit-def: $sgpr24
	s_waitcnt vmcnt(0)
	v_cmp_lt_i16_e32 vcc, s14, v2
	s_mov_b64 s[14:15], 0
	s_and_saveexec_b64 s[16:17], vcc
	s_xor_b64 s[16:17], exec, s[16:17]
	s_cbranch_execz .LBB23_1409
; %bb.1387:
	s_movk_i32 s14, 0x80
	v_cmp_eq_u16_e32 vcc, s14, v2
	s_mov_b64 s[14:15], -1
                                        ; implicit-def: $sgpr24
	s_and_saveexec_b64 s[18:19], vcc
; %bb.1388:
	s_movk_i32 s24, 0x7e00
	s_xor_b64 s[14:15], exec, -1
; %bb.1389:
	s_or_b64 exec, exec, s[18:19]
	s_and_b64 s[14:15], s[14:15], exec
	s_or_saveexec_b64 s[16:17], s[16:17]
	v_mov_b32_e32 v8, s24
	s_xor_b64 exec, exec, s[16:17]
	s_cbranch_execnz .LBB23_1410
.LBB23_1390:
	s_or_b64 exec, exec, s[16:17]
	s_and_saveexec_b64 s[16:17], s[14:15]
	s_cbranch_execz .LBB23_1392
.LBB23_1391:
	v_lshlrev_b32_e32 v7, 24, v2
	v_and_b32_e32 v2, 0xffff, v2
	v_and_b32_e32 v8, 3, v2
	v_ffbh_u32_e32 v10, v8
	v_min_u32_e32 v10, 32, v10
	v_subrev_u32_e32 v11, 29, v10
	v_bfe_u32 v9, v2, 2, 5
	v_lshlrev_b32_e32 v2, v11, v2
	v_sub_u32_e32 v10, 30, v10
	v_and_b32_e32 v2, 3, v2
	v_cmp_eq_u32_e32 vcc, 0, v9
	v_cndmask_b32_e32 v9, v9, v10, vcc
	v_cndmask_b32_e32 v2, v8, v2, vcc
	v_mov_b32_e32 v8, 0x37800000
	v_lshlrev_b32_e32 v2, 21, v2
	v_and_b32_e32 v7, 0x80000000, v7
	v_lshl_add_u32 v8, v9, 23, v8
	v_or3_b32 v2, v7, v8, v2
	v_cvt_f16_f32_e32 v8, v2
.LBB23_1392:
	s_or_b64 exec, exec, s[16:17]
	s_mov_b64 s[14:15], 0
	s_branch .LBB23_1398
.LBB23_1393:
	s_mov_b64 s[14:15], -1
                                        ; implicit-def: $vgpr8
	s_branch .LBB23_1404
.LBB23_1394:
	s_or_saveexec_b64 s[18:19], s[18:19]
	v_mov_b32_e32 v8, s26
	s_xor_b64 exec, exec, s[18:19]
	s_cbranch_execz .LBB23_1378
.LBB23_1395:
	v_cmp_ne_u16_e32 vcc, 0, v2
	s_andn2_b64 s[16:17], s[16:17], exec
	s_and_b64 s[24:25], vcc, exec
	s_or_b64 s[16:17], s[16:17], s[24:25]
	v_mov_b32_e32 v8, v2
	s_or_b64 exec, exec, s[18:19]
	s_and_saveexec_b64 s[18:19], s[16:17]
	s_cbranch_execnz .LBB23_1379
	s_branch .LBB23_1380
.LBB23_1396:
	s_mov_b64 s[14:15], -1
                                        ; implicit-def: $vgpr8
	s_branch .LBB23_1401
.LBB23_1397:
	s_mov_b64 s[14:15], -1
                                        ; implicit-def: $vgpr8
.LBB23_1398:
	s_and_b64 vcc, exec, s[14:15]
	s_cbranch_vccz .LBB23_1400
; %bb.1399:
	global_load_ubyte v2, v[4:5], off
	s_mov_b32 s14, 0x7f800000
	s_waitcnt vmcnt(0)
	v_lshlrev_b32_e32 v2, 24, v2
	v_and_b32_e32 v7, 0x7f000000, v2
	v_ffbh_u32_e32 v8, v7
	v_min_u32_e32 v8, 32, v8
	v_sub_u32_e64 v8, v8, 4 clamp
	v_lshlrev_b32_e32 v10, v8, v7
	v_lshlrev_b32_e32 v8, 23, v8
	v_lshrrev_b32_e32 v10, 4, v10
	v_add_u32_e32 v9, 0x1000000, v7
	v_sub_u32_e32 v8, v10, v8
	v_ashrrev_i32_e32 v9, 8, v9
	v_add_u32_e32 v8, 0x3c000000, v8
	v_and_or_b32 v8, v9, s14, v8
	v_cmp_ne_u32_e32 vcc, 0, v7
	v_cndmask_b32_e32 v7, 0, v8, vcc
	s_brev_b32 s14, 1
	v_and_or_b32 v2, v2, s14, v7
	v_cvt_f16_f32_e32 v8, v2
.LBB23_1400:
	s_mov_b64 s[14:15], 0
.LBB23_1401:
	s_andn2_b64 vcc, exec, s[14:15]
	s_cbranch_vccnz .LBB23_1403
; %bb.1402:
	global_load_ubyte v2, v[4:5], off
	s_movk_i32 s14, 0x7f00
	s_brev_b32 s15, 16
	s_waitcnt vmcnt(0)
	v_lshlrev_b16_e32 v7, 8, v2
	v_lshlrev_b32_e32 v2, 25, v2
	v_lshrrev_b32_e32 v8, 4, v2
	v_and_or_b32 v9, v7, s14, 0.5
	v_or_b32_e32 v8, 0x70000000, v8
	v_add_f32_e32 v9, -0.5, v9
	v_mul_f32_e32 v8, 0x7800000, v8
	v_cmp_gt_u32_e32 vcc, s15, v2
	v_bfe_i32 v7, v7, 0, 16
	v_cndmask_b32_e32 v2, v8, v9, vcc
	s_brev_b32 s14, 1
	v_and_or_b32 v2, v7, s14, v2
	v_cvt_f16_f32_e32 v8, v2
.LBB23_1403:
	s_mov_b64 s[14:15], 0
	s_mov_b64 s[16:17], -1
.LBB23_1404:
	s_andn2_b64 vcc, exec, s[14:15]
	s_mov_b64 s[14:15], 0
	s_cbranch_vccnz .LBB23_1415
; %bb.1405:
	v_cmp_lt_i16_e32 vcc, 14, v3
	s_cbranch_vccz .LBB23_1408
; %bb.1406:
	v_cmp_eq_u16_e32 vcc, 15, v3
	s_cbranch_vccz .LBB23_1411
; %bb.1407:
	global_load_ushort v2, v[4:5], off
	s_mov_b64 s[12:13], 0
	s_mov_b64 s[16:17], -1
	s_waitcnt vmcnt(0)
	v_lshlrev_b32_e32 v2, 16, v2
	v_cvt_f16_f32_e32 v8, v2
	s_branch .LBB23_1412
.LBB23_1408:
	s_mov_b64 s[18:19], -1
                                        ; implicit-def: $vgpr8
	s_branch .LBB23_1413
.LBB23_1409:
	s_or_saveexec_b64 s[16:17], s[16:17]
	v_mov_b32_e32 v8, s24
	s_xor_b64 exec, exec, s[16:17]
	s_cbranch_execz .LBB23_1390
.LBB23_1410:
	v_cmp_ne_u16_e32 vcc, 0, v2
	s_andn2_b64 s[14:15], s[14:15], exec
	s_and_b64 s[18:19], vcc, exec
	s_or_b64 s[14:15], s[14:15], s[18:19]
	v_mov_b32_e32 v8, v2
	s_or_b64 exec, exec, s[16:17]
	s_and_saveexec_b64 s[16:17], s[14:15]
	s_cbranch_execnz .LBB23_1391
	s_branch .LBB23_1392
.LBB23_1411:
	s_mov_b64 s[12:13], -1
                                        ; implicit-def: $vgpr8
.LBB23_1412:
	s_mov_b64 s[18:19], 0
.LBB23_1413:
	s_and_b64 vcc, exec, s[18:19]
	s_cbranch_vccz .LBB23_1415
; %bb.1414:
	v_cmp_ne_u16_e32 vcc, 11, v3
	s_andn2_b64 s[12:13], s[12:13], exec
	s_and_b64 s[18:19], vcc, exec
	s_mov_b64 s[14:15], -1
	s_or_b64 s[12:13], s[12:13], s[18:19]
                                        ; implicit-def: $vgpr8
.LBB23_1415:
	s_mov_b64 s[18:19], 0
.LBB23_1416:
	s_andn2_b64 s[24:25], s[38:39], exec
	s_and_b64 s[12:13], s[12:13], exec
	s_and_b64 s[16:17], s[16:17], exec
	;; [unrolled: 1-line block ×4, first 2 shown]
	s_or_b64 s[38:39], s[24:25], s[12:13]
	s_or_b64 exec, exec, s[0:1]
	s_and_saveexec_b64 s[0:1], s[38:39]
	s_cbranch_execz .LBB23_1345
.LBB23_1417:
	s_or_b64 s[10:11], s[10:11], exec
	s_andn2_b64 s[14:15], s[14:15], exec
	s_trap 2
                                        ; implicit-def: $vgpr8
	s_or_b64 exec, exec, s[0:1]
	s_and_saveexec_b64 s[0:1], s[14:15]
	s_xor_b64 s[0:1], exec, s[0:1]
	s_cbranch_execnz .LBB23_1346
.LBB23_1418:
	s_or_b64 exec, exec, s[0:1]
	s_and_saveexec_b64 s[0:1], s[18:19]
	s_cbranch_execz .LBB23_1464
.LBB23_1419:
	v_cmp_gt_i16_e32 vcc, 5, v3
	s_cbranch_vccnz .LBB23_1424
; %bb.1420:
	v_cmp_gt_i16_e32 vcc, 8, v3
	s_cbranch_vccnz .LBB23_1425
; %bb.1421:
	;; [unrolled: 3-line block ×3, first 2 shown]
	v_cmp_lt_i16_e32 vcc, 9, v3
	s_cbranch_vccz .LBB23_1427
; %bb.1423:
	s_waitcnt vmcnt(0)
	global_load_dwordx2 v[8:9], v[4:5], off
	s_mov_b64 s[12:13], 0
	s_waitcnt vmcnt(0)
	v_cvt_f32_f64_e32 v2, v[8:9]
	v_cvt_f16_f32_e32 v8, v2
	s_branch .LBB23_1428
.LBB23_1424:
                                        ; implicit-def: $vgpr8
	s_branch .LBB23_1445
.LBB23_1425:
                                        ; implicit-def: $vgpr8
	s_branch .LBB23_1434
.LBB23_1426:
	s_mov_b64 s[12:13], -1
                                        ; implicit-def: $vgpr8
	s_branch .LBB23_1431
.LBB23_1427:
	s_mov_b64 s[12:13], -1
                                        ; implicit-def: $vgpr8
.LBB23_1428:
	s_andn2_b64 vcc, exec, s[12:13]
	s_cbranch_vccnz .LBB23_1430
; %bb.1429:
	s_waitcnt vmcnt(0)
	global_load_dword v2, v[4:5], off
	s_waitcnt vmcnt(0)
	v_cvt_f16_f32_e32 v8, v2
.LBB23_1430:
	s_mov_b64 s[12:13], 0
.LBB23_1431:
	s_andn2_b64 vcc, exec, s[12:13]
	s_cbranch_vccnz .LBB23_1433
; %bb.1432:
	s_waitcnt vmcnt(0)
	global_load_dword v8, v[4:5], off
.LBB23_1433:
	s_cbranch_execnz .LBB23_1444
.LBB23_1434:
	v_cmp_gt_i16_e32 vcc, 6, v3
	s_cbranch_vccnz .LBB23_1437
; %bb.1435:
	v_cmp_lt_i16_e32 vcc, 6, v3
	s_cbranch_vccz .LBB23_1438
; %bb.1436:
	s_waitcnt vmcnt(0)
	global_load_dwordx2 v[8:9], v[4:5], off
	s_mov_b64 s[12:13], 0
	s_waitcnt vmcnt(0)
	v_cvt_f32_f64_e32 v2, v[8:9]
	v_cvt_f16_f32_e32 v8, v2
	s_branch .LBB23_1439
.LBB23_1437:
	s_mov_b64 s[12:13], -1
                                        ; implicit-def: $vgpr8
	s_branch .LBB23_1442
.LBB23_1438:
	s_mov_b64 s[12:13], -1
                                        ; implicit-def: $vgpr8
.LBB23_1439:
	s_andn2_b64 vcc, exec, s[12:13]
	s_cbranch_vccnz .LBB23_1441
; %bb.1440:
	s_waitcnt vmcnt(0)
	global_load_dword v2, v[4:5], off
	s_waitcnt vmcnt(0)
	v_cvt_f16_f32_e32 v8, v2
.LBB23_1441:
	s_mov_b64 s[12:13], 0
.LBB23_1442:
	s_andn2_b64 vcc, exec, s[12:13]
	s_cbranch_vccnz .LBB23_1444
; %bb.1443:
	s_waitcnt vmcnt(0)
	global_load_ushort v8, v[4:5], off
.LBB23_1444:
	s_cbranch_execnz .LBB23_1463
.LBB23_1445:
	v_cmp_gt_i16_e32 vcc, 2, v3
	s_cbranch_vccnz .LBB23_1449
; %bb.1446:
	v_cmp_gt_i16_e32 vcc, 3, v3
	s_cbranch_vccnz .LBB23_1450
; %bb.1447:
	v_cmp_lt_i16_e32 vcc, 3, v3
	s_cbranch_vccz .LBB23_1451
; %bb.1448:
	s_waitcnt vmcnt(0)
	global_load_dwordx2 v[8:9], v[4:5], off
	s_mov_b64 s[12:13], 0
	s_waitcnt vmcnt(0)
	v_xor_b32_e32 v7, v8, v9
	v_ffbh_i32_e32 v2, v9
	v_ashrrev_i32_e32 v7, 31, v7
	v_add_u32_e32 v2, -1, v2
	v_add_u32_e32 v7, 32, v7
	v_min_u32_e32 v2, v2, v7
	v_lshlrev_b64 v[8:9], v2, v[8:9]
	v_min_u32_e32 v7, 1, v8
	v_or_b32_e32 v7, v9, v7
	v_cvt_f32_i32_e32 v7, v7
	v_sub_u32_e32 v2, 32, v2
	v_ldexp_f32 v2, v7, v2
	v_cvt_f16_f32_e32 v8, v2
	s_branch .LBB23_1452
.LBB23_1449:
                                        ; implicit-def: $vgpr8
	s_branch .LBB23_1458
.LBB23_1450:
	s_mov_b64 s[12:13], -1
                                        ; implicit-def: $vgpr8
	s_branch .LBB23_1455
.LBB23_1451:
	s_mov_b64 s[12:13], -1
                                        ; implicit-def: $vgpr8
.LBB23_1452:
	s_andn2_b64 vcc, exec, s[12:13]
	s_cbranch_vccnz .LBB23_1454
; %bb.1453:
	s_waitcnt vmcnt(0)
	global_load_dword v2, v[4:5], off
	s_waitcnt vmcnt(0)
	v_cvt_f32_i32_e32 v2, v2
	v_cvt_f16_f32_e32 v8, v2
.LBB23_1454:
	s_mov_b64 s[12:13], 0
.LBB23_1455:
	s_andn2_b64 vcc, exec, s[12:13]
	s_cbranch_vccnz .LBB23_1457
; %bb.1456:
	s_waitcnt vmcnt(0)
	global_load_ushort v2, v[4:5], off
	s_waitcnt vmcnt(0)
	v_cvt_f16_i16_e32 v8, v2
.LBB23_1457:
	s_cbranch_execnz .LBB23_1463
.LBB23_1458:
	v_cmp_lt_i16_e32 vcc, 0, v3
	s_cbranch_vccz .LBB23_1460
; %bb.1459:
	s_waitcnt vmcnt(0)
	global_load_sbyte v2, v[4:5], off
	s_mov_b64 s[12:13], 0
	s_waitcnt vmcnt(0)
	v_cvt_f16_i16_e32 v8, v2
	s_branch .LBB23_1461
.LBB23_1460:
	s_mov_b64 s[12:13], -1
                                        ; implicit-def: $vgpr8
.LBB23_1461:
	s_andn2_b64 vcc, exec, s[12:13]
	s_cbranch_vccnz .LBB23_1463
; %bb.1462:
	s_waitcnt vmcnt(0)
	global_load_ubyte v2, v[4:5], off
	s_waitcnt vmcnt(0)
	v_cvt_f16_u16_e32 v8, v2
.LBB23_1463:
	s_or_b64 s[16:17], s[16:17], exec
.LBB23_1464:
	s_or_b64 exec, exec, s[0:1]
	s_mov_b64 s[18:19], 0
	s_mov_b64 s[14:15], 0
                                        ; implicit-def: $vgpr5
                                        ; implicit-def: $vgpr2_vgpr3
                                        ; implicit-def: $vgpr4
                                        ; implicit-def: $vgpr7
	s_and_saveexec_b64 s[12:13], s[16:17]
	s_cbranch_execz .LBB23_1482
; %bb.1465:
	s_waitcnt vmcnt(0)
	v_and_b32_e32 v7, 0x7fff, v1
	v_and_b32_e32 v1, 0xffff8000, v8
	v_or_b32_e32 v4, v1, v7
	v_mov_b32_e32 v1, s9
	v_add_co_u32_e32 v2, vcc, s8, v0
	v_addc_co_u32_e32 v3, vcc, 0, v1, vcc
	v_and_b32_e32 v5, 0xff, v6
	v_cmp_gt_i16_e32 vcc, 11, v5
	s_cbranch_vccnz .LBB23_1485
; %bb.1466:
	v_cmp_lt_i16_e32 vcc, 25, v5
	s_mov_b64 s[14:15], -1
	s_mov_b64 s[0:1], s[36:37]
	s_cbranch_vccz .LBB23_1503
; %bb.1467:
	v_cmp_lt_i16_e32 vcc, 28, v5
	s_mov_b64 s[8:9], -1
	s_mov_b64 s[0:1], s[36:37]
	s_cbranch_vccz .LBB23_1487
; %bb.1468:
	v_cmp_lt_i16_e32 vcc, 43, v5
	s_mov_b64 s[0:1], s[36:37]
	s_cbranch_vccz .LBB23_1479
; %bb.1469:
	v_cmp_lt_i16_e32 vcc, 45, v5
	s_mov_b64 s[0:1], s[36:37]
	s_cbranch_vccz .LBB23_1473
; %bb.1470:
	v_cmp_eq_u16_e32 vcc, 46, v5
	s_mov_b64 s[0:1], -1
	s_cbranch_vccz .LBB23_1472
; %bb.1471:
	v_cvt_f32_f16_e32 v0, v4
	s_movk_i32 s0, 0x7fff
	v_mov_b32_e32 v1, 0x7fc0
	v_cmp_o_f16_e32 vcc, v4, v4
	v_bfe_u32 v6, v0, 16, 1
	v_add3_u32 v0, v0, v6, s0
	v_lshrrev_b32_e32 v0, 16, v0
	v_cndmask_b32_e32 v0, v1, v0, vcc
	global_store_dword v[2:3], v0, off
	s_mov_b64 s[0:1], 0
.LBB23_1472:
	s_mov_b64 s[8:9], 0
.LBB23_1473:
	s_and_b64 vcc, exec, s[8:9]
	s_cbranch_vccz .LBB23_1478
; %bb.1474:
	v_cmp_eq_u16_e32 vcc, 44, v5
	s_mov_b64 s[0:1], -1
	s_cbranch_vccz .LBB23_1478
; %bb.1475:
	v_cvt_f32_f16_e32 v0, v4
	s_movk_i32 s0, 0xff
	v_mov_b32_e32 v6, 0xff
	v_bfe_u32 v1, v0, 23, 8
	v_cmp_ne_u32_e32 vcc, s0, v1
	s_and_saveexec_b64 s[8:9], vcc
; %bb.1476:
	s_mov_b32 s0, 0x3fffff
	v_lshrrev_b32_e32 v6, 23, v0
	v_and_b32_e32 v8, 0x400000, v0
	v_and_or_b32 v0, v0, s0, v1
	v_cmp_ne_u32_e32 vcc, 0, v8
	v_cmp_ne_u32_e64 s[0:1], 0, v0
	s_and_b64 s[0:1], vcc, s[0:1]
	v_cndmask_b32_e64 v0, 0, 1, s[0:1]
	v_add_u32_e32 v6, v6, v0
; %bb.1477:
	s_or_b64 exec, exec, s[8:9]
	s_mov_b64 s[0:1], 0
	global_store_byte v[2:3], v6, off
.LBB23_1478:
	s_mov_b64 s[8:9], 0
.LBB23_1479:
	s_and_b64 vcc, exec, s[8:9]
	s_cbranch_vccz .LBB23_1486
; %bb.1480:
	v_cmp_eq_u16_e32 vcc, 29, v5
	s_mov_b64 s[0:1], -1
	s_cbranch_vccz .LBB23_1486
; %bb.1481:
	v_cvt_f32_f16_e32 v0, v4
	v_mov_b32_e32 v1, 0
	s_mov_b64 s[0:1], 0
	s_mov_b64 s[8:9], 0
	v_cvt_u32_f32_e32 v0, v0
	global_store_dwordx2 v[2:3], v[0:1], off
	s_branch .LBB23_1487
.LBB23_1482:
	s_or_b64 exec, exec, s[12:13]
	s_and_saveexec_b64 s[0:1], s[36:37]
	s_cbranch_execnz .LBB23_1545
.LBB23_1483:
	s_or_b64 exec, exec, s[0:1]
	s_and_saveexec_b64 s[0:1], s[18:19]
	s_xor_b64 s[0:1], exec, s[0:1]
	s_cbranch_execz .LBB23_1546
.LBB23_1484:
	s_waitcnt vmcnt(0)
	v_cmp_ne_u16_e32 vcc, 0, v7
	v_cndmask_b32_e64 v0, 0, 1, vcc
	global_store_byte v[2:3], v0, off
	s_or_b64 exec, exec, s[0:1]
	s_and_saveexec_b64 s[0:1], s[14:15]
	s_xor_b64 s[0:1], exec, s[0:1]
	s_cbranch_execz .LBB23_1584
	s_branch .LBB23_1547
.LBB23_1485:
	s_mov_b64 s[16:17], 0
	s_mov_b64 s[8:9], -1
	s_mov_b64 s[0:1], s[36:37]
	s_branch .LBB23_1544
.LBB23_1486:
	s_mov_b64 s[8:9], 0
.LBB23_1487:
	s_and_b64 vcc, exec, s[8:9]
	s_cbranch_vccz .LBB23_1502
; %bb.1488:
	v_cmp_gt_i16_e32 vcc, 27, v5
	s_mov_b64 s[8:9], -1
	s_cbranch_vccnz .LBB23_1494
; %bb.1489:
	v_cmp_lt_i16_e32 vcc, 27, v5
	s_cbranch_vccz .LBB23_1491
; %bb.1490:
	v_cvt_f32_f16_e32 v0, v4
	s_mov_b64 s[8:9], 0
	v_cvt_u32_f32_e32 v0, v0
	global_store_dword v[2:3], v0, off
.LBB23_1491:
	s_andn2_b64 vcc, exec, s[8:9]
	s_cbranch_vccnz .LBB23_1493
; %bb.1492:
	v_cvt_u16_f16_e32 v0, v4
	global_store_short v[2:3], v0, off
.LBB23_1493:
	s_mov_b64 s[8:9], 0
.LBB23_1494:
	s_andn2_b64 vcc, exec, s[8:9]
	s_cbranch_vccnz .LBB23_1502
; %bb.1495:
	v_cvt_f32_f16_e32 v0, v4
	s_mov_b32 s8, 0x43800000
	v_mov_b32_e32 v6, 0x80
	v_and_b32_e32 v1, 0x7fffffff, v0
	v_cmp_gt_u32_e32 vcc, s8, v1
	s_and_saveexec_b64 s[8:9], vcc
	s_cbranch_execz .LBB23_1501
; %bb.1496:
	s_mov_b32 s14, 0x3bffffff
	v_cmp_lt_u32_e32 vcc, s14, v1
	s_mov_b64 s[14:15], 0
                                        ; implicit-def: $vgpr1
	s_and_saveexec_b64 s[16:17], vcc
	s_xor_b64 s[16:17], exec, s[16:17]
	s_cbranch_execz .LBB23_1639
; %bb.1497:
	v_bfe_u32 v1, v0, 20, 1
	s_mov_b32 s18, 0x487ffff
	v_add3_u32 v1, v0, v1, s18
	s_mov_b64 s[14:15], exec
	v_lshrrev_b32_e32 v1, 20, v1
	s_or_saveexec_b64 s[16:17], s[16:17]
                                        ; implicit-def: $sgpr18
	s_xor_b64 exec, exec, s[16:17]
	s_cbranch_execnz .LBB23_1640
.LBB23_1498:
	s_or_b64 exec, exec, s[16:17]
	v_mov_b32_e32 v6, s18
	s_and_saveexec_b64 s[16:17], s[14:15]
.LBB23_1499:
	v_lshrrev_b32_e32 v0, 24, v0
	s_movk_i32 s14, 0x80
	v_and_or_b32 v6, v0, s14, v1
.LBB23_1500:
	s_or_b64 exec, exec, s[16:17]
.LBB23_1501:
	s_or_b64 exec, exec, s[8:9]
	global_store_byte v[2:3], v6, off
.LBB23_1502:
	s_mov_b64 s[14:15], 0
.LBB23_1503:
	s_mov_b64 s[8:9], 0
	s_and_b64 vcc, exec, s[14:15]
	s_cbranch_vccz .LBB23_1543
; %bb.1504:
	v_cmp_lt_i16_e32 vcc, 22, v5
	s_mov_b64 s[14:15], -1
	s_cbranch_vccz .LBB23_1536
; %bb.1505:
	v_cmp_gt_i16_e32 vcc, 24, v5
	s_cbranch_vccnz .LBB23_1525
; %bb.1506:
	v_cmp_lt_i16_e32 vcc, 24, v5
	s_cbranch_vccz .LBB23_1514
; %bb.1507:
	v_cvt_f32_f16_e32 v0, v4
	s_mov_b32 s14, 0x47800000
	v_mov_b32_e32 v6, 0x80
	v_and_b32_e32 v1, 0x7fffffff, v0
	v_cmp_gt_u32_e32 vcc, s14, v1
	s_and_saveexec_b64 s[14:15], vcc
	s_cbranch_execz .LBB23_1513
; %bb.1508:
	s_mov_b32 s16, 0x37ffffff
	v_cmp_lt_u32_e32 vcc, s16, v1
	s_mov_b64 s[16:17], 0
                                        ; implicit-def: $vgpr1
	s_and_saveexec_b64 s[18:19], vcc
	s_xor_b64 s[18:19], exec, s[18:19]
	s_cbranch_execz .LBB23_1764
; %bb.1509:
	v_bfe_u32 v1, v0, 21, 1
	s_mov_b32 s24, 0x88fffff
	v_add3_u32 v1, v0, v1, s24
	s_mov_b64 s[16:17], exec
	v_lshrrev_b32_e32 v1, 21, v1
	s_or_saveexec_b64 s[18:19], s[18:19]
                                        ; implicit-def: $sgpr24
	s_xor_b64 exec, exec, s[18:19]
	s_cbranch_execnz .LBB23_1765
.LBB23_1510:
	s_or_b64 exec, exec, s[18:19]
	v_mov_b32_e32 v6, s24
	s_and_saveexec_b64 s[18:19], s[16:17]
.LBB23_1511:
	v_lshrrev_b32_e32 v0, 24, v0
	s_movk_i32 s16, 0x80
	v_and_or_b32 v6, v0, s16, v1
.LBB23_1512:
	s_or_b64 exec, exec, s[18:19]
.LBB23_1513:
	s_or_b64 exec, exec, s[14:15]
	s_mov_b64 s[14:15], 0
	global_store_byte v[2:3], v6, off
.LBB23_1514:
	s_and_b64 vcc, exec, s[14:15]
	s_cbranch_vccz .LBB23_1524
; %bb.1515:
	v_cvt_f32_f16_e32 v0, v4
	s_mov_b32 s14, 0x43f00000
                                        ; implicit-def: $vgpr1
	v_and_b32_e32 v6, 0x7fffffff, v0
	v_cmp_gt_u32_e32 vcc, s14, v6
	s_and_saveexec_b64 s[14:15], vcc
	s_xor_b64 s[14:15], exec, s[14:15]
	s_cbranch_execz .LBB23_1521
; %bb.1516:
	s_mov_b32 s16, 0x3c7fffff
	v_cmp_lt_u32_e32 vcc, s16, v6
                                        ; implicit-def: $vgpr1
	s_and_saveexec_b64 s[16:17], vcc
	s_xor_b64 s[16:17], exec, s[16:17]
; %bb.1517:
	v_bfe_u32 v1, v0, 20, 1
	s_mov_b32 s18, 0x407ffff
	v_add3_u32 v1, v0, v1, s18
	v_lshrrev_b32_e32 v6, 20, v1
	v_and_b32_e32 v1, 0xff00000, v1
	s_mov_b32 s18, 0x7f00000
	v_mov_b32_e32 v8, 0x7e
	v_cmp_ne_u32_e32 vcc, s18, v1
	v_cndmask_b32_e32 v1, v8, v6, vcc
; %bb.1518:
	s_andn2_saveexec_b64 s[16:17], s[16:17]
; %bb.1519:
	s_mov_b32 s18, 0x46800000
	v_add_f32_e64 v1, |v0|, s18
; %bb.1520:
	s_or_b64 exec, exec, s[16:17]
                                        ; implicit-def: $vgpr6
.LBB23_1521:
	s_andn2_saveexec_b64 s[14:15], s[14:15]
; %bb.1522:
	s_mov_b32 s16, 0x7f800000
	v_mov_b32_e32 v1, 0x7e
	v_mov_b32_e32 v8, 0x7f
	v_cmp_lt_u32_e32 vcc, s16, v6
	v_cndmask_b32_e32 v1, v1, v8, vcc
; %bb.1523:
	s_or_b64 exec, exec, s[14:15]
	v_lshrrev_b32_e32 v0, 24, v0
	s_movk_i32 s14, 0x80
	v_and_or_b32 v0, v0, s14, v1
	global_store_byte v[2:3], v0, off
.LBB23_1524:
	s_mov_b64 s[14:15], 0
.LBB23_1525:
	s_andn2_b64 vcc, exec, s[14:15]
	s_cbranch_vccnz .LBB23_1535
; %bb.1526:
	v_cvt_f32_f16_e32 v0, v4
	s_mov_b32 s14, 0x47800000
                                        ; implicit-def: $vgpr1
	v_and_b32_e32 v6, 0x7fffffff, v0
	v_cmp_gt_u32_e32 vcc, s14, v6
	s_and_saveexec_b64 s[14:15], vcc
	s_xor_b64 s[14:15], exec, s[14:15]
	s_cbranch_execz .LBB23_1532
; %bb.1527:
	s_mov_b32 s16, 0x387fffff
	v_cmp_lt_u32_e32 vcc, s16, v6
                                        ; implicit-def: $vgpr1
	s_and_saveexec_b64 s[16:17], vcc
	s_xor_b64 s[16:17], exec, s[16:17]
; %bb.1528:
	v_bfe_u32 v1, v0, 21, 1
	s_mov_b32 s18, 0x80fffff
	v_add3_u32 v1, v0, v1, s18
	v_lshrrev_b32_e32 v1, 21, v1
; %bb.1529:
	s_andn2_saveexec_b64 s[16:17], s[16:17]
; %bb.1530:
	s_mov_b32 s18, 0x43000000
	v_add_f32_e64 v1, |v0|, s18
; %bb.1531:
	s_or_b64 exec, exec, s[16:17]
                                        ; implicit-def: $vgpr6
.LBB23_1532:
	s_andn2_saveexec_b64 s[14:15], s[14:15]
; %bb.1533:
	s_mov_b32 s16, 0x7f800000
	v_mov_b32_e32 v1, 0x7c
	v_mov_b32_e32 v8, 0x7f
	v_cmp_lt_u32_e32 vcc, s16, v6
	v_cndmask_b32_e32 v1, v1, v8, vcc
; %bb.1534:
	s_or_b64 exec, exec, s[14:15]
	v_lshrrev_b32_e32 v0, 24, v0
	s_movk_i32 s14, 0x80
	v_and_or_b32 v0, v0, s14, v1
	global_store_byte v[2:3], v0, off
.LBB23_1535:
	s_mov_b64 s[14:15], 0
.LBB23_1536:
	s_andn2_b64 vcc, exec, s[14:15]
	s_mov_b64 s[16:17], 0
	s_cbranch_vccnz .LBB23_1544
; %bb.1537:
	v_cmp_lt_i16_e32 vcc, 14, v5
	s_mov_b64 s[14:15], -1
	s_cbranch_vccz .LBB23_1541
; %bb.1538:
	v_cmp_eq_u16_e32 vcc, 15, v5
	s_mov_b64 s[0:1], -1
	s_cbranch_vccz .LBB23_1540
; %bb.1539:
	v_cvt_f32_f16_e32 v0, v4
	s_movk_i32 s0, 0x7fff
	v_mov_b32_e32 v1, 0x7fc0
	v_cmp_o_f16_e32 vcc, v4, v4
	v_bfe_u32 v6, v0, 16, 1
	v_add3_u32 v0, v0, v6, s0
	v_lshrrev_b32_e32 v0, 16, v0
	v_cndmask_b32_e32 v0, v1, v0, vcc
	global_store_short v[2:3], v0, off
	s_mov_b64 s[0:1], 0
.LBB23_1540:
	s_mov_b64 s[14:15], 0
.LBB23_1541:
	s_and_b64 vcc, exec, s[14:15]
	s_cbranch_vccz .LBB23_1544
; %bb.1542:
	v_cmp_ne_u16_e32 vcc, 11, v5
	s_andn2_b64 s[0:1], s[0:1], exec
	s_and_b64 s[14:15], vcc, exec
	s_mov_b64 s[16:17], -1
	s_or_b64 s[0:1], s[0:1], s[14:15]
	s_branch .LBB23_1544
.LBB23_1543:
	s_mov_b64 s[16:17], 0
.LBB23_1544:
	s_and_b64 s[14:15], s[8:9], exec
	s_andn2_b64 s[8:9], s[36:37], exec
	s_and_b64 s[0:1], s[0:1], exec
	s_and_b64 s[18:19], s[16:17], exec
	s_or_b64 s[36:37], s[8:9], s[0:1]
	s_or_b64 exec, exec, s[12:13]
	s_and_saveexec_b64 s[0:1], s[36:37]
	s_cbranch_execz .LBB23_1483
.LBB23_1545:
	s_or_b64 s[10:11], s[10:11], exec
	s_andn2_b64 s[18:19], s[18:19], exec
	s_trap 2
	s_or_b64 exec, exec, s[0:1]
	s_and_saveexec_b64 s[0:1], s[18:19]
	s_xor_b64 s[0:1], exec, s[0:1]
	s_cbranch_execnz .LBB23_1484
.LBB23_1546:
	s_or_b64 exec, exec, s[0:1]
	s_and_saveexec_b64 s[0:1], s[14:15]
	s_xor_b64 s[0:1], exec, s[0:1]
	s_cbranch_execz .LBB23_1584
.LBB23_1547:
	v_cmp_gt_i16_e32 vcc, 5, v5
	s_mov_b64 s[8:9], -1
	s_cbranch_vccnz .LBB23_1568
; %bb.1548:
	v_cmp_gt_i16_e32 vcc, 8, v5
	s_cbranch_vccnz .LBB23_1558
; %bb.1549:
	v_cmp_gt_i16_e32 vcc, 9, v5
	s_cbranch_vccnz .LBB23_1555
; %bb.1550:
	v_cmp_lt_i16_e32 vcc, 9, v5
	s_cbranch_vccz .LBB23_1552
; %bb.1551:
	s_waitcnt vmcnt(0)
	v_cvt_f32_f16_e32 v0, v4
	v_mov_b32_e32 v8, 0
	v_mov_b32_e32 v9, v8
	s_mov_b64 s[8:9], 0
	v_cvt_f64_f32_e32 v[6:7], v0
	global_store_dwordx4 v[2:3], v[6:9], off
.LBB23_1552:
	s_andn2_b64 vcc, exec, s[8:9]
	s_cbranch_vccnz .LBB23_1554
; %bb.1553:
	s_waitcnt vmcnt(0)
	v_cvt_f32_f16_e32 v0, v4
	v_mov_b32_e32 v1, 0
	global_store_dwordx2 v[2:3], v[0:1], off
.LBB23_1554:
	s_mov_b64 s[8:9], 0
.LBB23_1555:
	s_andn2_b64 vcc, exec, s[8:9]
	s_cbranch_vccnz .LBB23_1557
; %bb.1556:
	s_waitcnt vmcnt(0)
	v_and_b32_e32 v0, 0xffff, v4
	global_store_dword v[2:3], v0, off
.LBB23_1557:
	s_mov_b64 s[8:9], 0
.LBB23_1558:
	s_andn2_b64 vcc, exec, s[8:9]
	s_cbranch_vccnz .LBB23_1567
; %bb.1559:
	v_cmp_gt_i16_e32 vcc, 6, v5
	s_mov_b64 s[8:9], -1
	s_cbranch_vccnz .LBB23_1565
; %bb.1560:
	v_cmp_lt_i16_e32 vcc, 6, v5
	s_cbranch_vccz .LBB23_1562
; %bb.1561:
	s_waitcnt vmcnt(0)
	v_cvt_f32_f16_e32 v0, v4
	s_mov_b64 s[8:9], 0
	v_cvt_f64_f32_e32 v[0:1], v0
	global_store_dwordx2 v[2:3], v[0:1], off
.LBB23_1562:
	s_andn2_b64 vcc, exec, s[8:9]
	s_cbranch_vccnz .LBB23_1564
; %bb.1563:
	s_waitcnt vmcnt(0)
	v_cvt_f32_f16_e32 v0, v4
	global_store_dword v[2:3], v0, off
.LBB23_1564:
	s_mov_b64 s[8:9], 0
.LBB23_1565:
	s_andn2_b64 vcc, exec, s[8:9]
	s_cbranch_vccnz .LBB23_1567
; %bb.1566:
	s_waitcnt vmcnt(0)
	global_store_short v[2:3], v4, off
.LBB23_1567:
	s_mov_b64 s[8:9], 0
.LBB23_1568:
	s_andn2_b64 vcc, exec, s[8:9]
	s_cbranch_vccnz .LBB23_1584
; %bb.1569:
	v_cmp_gt_i16_e32 vcc, 2, v5
	s_mov_b64 s[8:9], -1
	s_cbranch_vccnz .LBB23_1579
; %bb.1570:
	v_cmp_gt_i16_e32 vcc, 3, v5
	s_cbranch_vccnz .LBB23_1576
; %bb.1571:
	v_cmp_lt_i16_e32 vcc, 3, v5
	s_cbranch_vccz .LBB23_1573
; %bb.1572:
	s_waitcnt vmcnt(0)
	v_cvt_f32_f16_e32 v0, v4
	s_mov_b64 s[8:9], 0
	v_cvt_i32_f32_e32 v0, v0
	v_ashrrev_i32_e32 v1, 31, v0
	global_store_dwordx2 v[2:3], v[0:1], off
.LBB23_1573:
	s_andn2_b64 vcc, exec, s[8:9]
	s_cbranch_vccnz .LBB23_1575
; %bb.1574:
	s_waitcnt vmcnt(0)
	v_cvt_f32_f16_e32 v0, v4
	v_cvt_i32_f32_e32 v0, v0
	global_store_dword v[2:3], v0, off
.LBB23_1575:
	s_mov_b64 s[8:9], 0
.LBB23_1576:
	s_andn2_b64 vcc, exec, s[8:9]
	s_cbranch_vccnz .LBB23_1578
; %bb.1577:
	s_waitcnt vmcnt(0)
	v_cvt_i16_f16_e32 v0, v4
	global_store_short v[2:3], v0, off
.LBB23_1578:
	s_mov_b64 s[8:9], 0
.LBB23_1579:
	s_andn2_b64 vcc, exec, s[8:9]
	s_cbranch_vccnz .LBB23_1584
; %bb.1580:
	v_cmp_lt_i16_e32 vcc, 0, v5
	s_mov_b64 s[8:9], -1
	s_cbranch_vccz .LBB23_1582
; %bb.1581:
	s_waitcnt vmcnt(0)
	v_cvt_i16_f16_e32 v0, v4
	s_mov_b64 s[8:9], 0
	global_store_byte v[2:3], v0, off
.LBB23_1582:
	s_andn2_b64 vcc, exec, s[8:9]
	s_cbranch_vccnz .LBB23_1584
; %bb.1583:
	s_waitcnt vmcnt(0)
	v_cvt_f32_f16_e32 v0, v4
	v_cvt_i32_f32_e32 v0, v0
	global_store_byte v[2:3], v0, off
.LBB23_1584:
	s_or_b64 exec, exec, s[0:1]
	s_and_b64 s[12:13], s[10:11], exec
                                        ; implicit-def: $vgpr24
                                        ; implicit-def: $vgpr8
.LBB23_1585:
	s_or_saveexec_b64 s[14:15], s[22:23]
	s_mov_b64 s[0:1], 0
                                        ; implicit-def: $vgpr0_vgpr1
                                        ; implicit-def: $vgpr3
                                        ; implicit-def: $vgpr2
                                        ; implicit-def: $vgpr4
	s_xor_b64 exec, exec, s[14:15]
	s_cbranch_execz .LBB23_3115
; %bb.1586:
	v_cndmask_b32_e64 v0, 0, 1, s[20:21]
	v_cmp_ne_u32_e64 s[0:1], 1, v0
	s_andn2_b64 vcc, exec, s[20:21]
	s_cbranch_vccnz .LBB23_1592
; %bb.1587:
	s_cmp_lg_u32 s33, 0
	v_mov_b32_e32 v20, 0
	v_mov_b32_e32 v22, 0
	v_mov_b32_e32 v6, 0
	s_cbranch_scc0 .LBB23_1593
; %bb.1588:
	s_min_u32 s8, s68, 15
	s_add_i32 s6, s8, 1
	s_and_b32 s9, s6, 30
	s_add_u32 s6, s2, 0xffffffec
	s_addc_u32 s7, s3, -1
	v_mov_b32_e32 v6, 0
	s_waitcnt vmcnt(0)
	v_mov_b32_e32 v0, v8
	v_mov_b32_e32 v22, 0
	;; [unrolled: 1-line block ×3, first 2 shown]
.LBB23_1589:                            ; =>This Inner Loop Header: Depth=1
	s_mov_b64 s[10:11], s[6:7]
	s_load_dwordx4 s[16:19], s[10:11], 0x18
	s_load_dwordx2 s[24:25], s[10:11], 0x28
	s_load_dwordx2 s[26:27], s[10:11], 0xe8
	s_load_dwordx4 s[20:23], s[10:11], 0xd8
	s_add_u32 s6, s10, 24
	s_waitcnt lgkmcnt(0)
	v_mul_hi_u32 v1, s17, v0
	v_add_u32_e32 v1, v0, v1
	v_lshrrev_b32_e32 v1, s18, v1
	v_mul_lo_u32 v2, v1, s16
	v_mul_hi_u32 v3, s24, v1
	v_sub_u32_e32 v0, v0, v2
	v_add_u32_e32 v2, v1, v3
	v_mul_lo_u32 v3, v0, s20
	v_mul_lo_u32 v4, v0, s21
	;; [unrolled: 1-line block ×3, first 2 shown]
	v_lshrrev_b32_e32 v0, s25, v2
	v_mul_lo_u32 v2, v0, s19
	v_sub_u32_e32 v1, v1, v2
	s_addc_u32 s7, s11, 0
	s_add_i32 s9, s9, -2
	v_mul_lo_u32 v2, v1, s23
	v_mul_lo_u32 v7, v1, s26
	v_mul_lo_u32 v1, v1, s27
	s_cmp_lg_u32 s9, 0
	v_add3_u32 v6, v3, v6, v2
	v_add3_u32 v20, v5, v20, v1
	;; [unrolled: 1-line block ×3, first 2 shown]
	s_cbranch_scc1 .LBB23_1589
; %bb.1590:
	s_bitcmp1_b32 s8, 0
	s_cselect_b64 s[8:9], -1, 0
	s_and_b64 vcc, exec, s[8:9]
	s_cbranch_vccnz .LBB23_1593
; %bb.1591:
	s_load_dwordx2 s[8:9], s[6:7], 0x18
	s_load_dword s16, s[6:7], 0x20
	s_load_dword s17, s[6:7], 0xe0
	s_load_dwordx2 s[10:11], s[6:7], 0xd8
	s_waitcnt lgkmcnt(0)
	v_mul_hi_u32 v1, s9, v0
	v_add_u32_e32 v1, v0, v1
	v_lshrrev_b32_e32 v1, s16, v1
	v_mul_lo_u32 v1, v1, s8
	v_sub_u32_e32 v0, v0, v1
	v_mad_u64_u32 v[6:7], s[6:7], v0, s10, v[6:7]
	v_mad_u64_u32 v[22:23], s[6:7], v0, s11, v[22:23]
	;; [unrolled: 1-line block ×3, first 2 shown]
	s_cbranch_execz .LBB23_1594
	s_branch .LBB23_1596
.LBB23_1592:
                                        ; implicit-def: $vgpr20
                                        ; implicit-def: $vgpr22
                                        ; implicit-def: $vgpr6
	s_branch .LBB23_1594
.LBB23_1593:
	s_cbranch_execnz .LBB23_1596
.LBB23_1594:
	s_load_dwordx4 s[8:11], s[2:3], 0x4
	s_load_dwordx4 s[16:19], s[2:3], 0xc4
	s_cmp_lt_u32 s33, 2
	s_waitcnt vmcnt(0) lgkmcnt(0)
	v_mul_hi_u32 v0, s9, v8
	v_add_u32_e32 v0, v8, v0
	v_lshrrev_b32_e32 v0, s10, v0
	v_mul_lo_u32 v1, v0, s8
	v_sub_u32_e32 v1, v8, v1
	v_mul_lo_u32 v6, v1, s16
	v_mul_lo_u32 v20, v1, s18
	;; [unrolled: 1-line block ×3, first 2 shown]
	s_cbranch_scc1 .LBB23_1596
; %bb.1595:
	s_load_dwordx4 s[8:11], s[2:3], 0x10
	s_load_dwordx4 s[16:19], s[2:3], 0xd0
	s_waitcnt lgkmcnt(0)
	v_mul_hi_u32 v1, s9, v0
	v_add_u32_e32 v1, v0, v1
	v_lshrrev_b32_e32 v1, s10, v1
	v_mul_lo_u32 v1, v1, s8
	v_sub_u32_e32 v0, v0, v1
	v_mad_u64_u32 v[6:7], s[6:7], v0, s16, v[6:7]
	v_mad_u64_u32 v[22:23], s[6:7], v0, s17, v[22:23]
	;; [unrolled: 1-line block ×3, first 2 shown]
.LBB23_1596:
	s_and_b64 vcc, exec, s[0:1]
	s_waitcnt vmcnt(0)
	v_add_u32_e32 v0, 0x80, v8
	s_cbranch_vccnz .LBB23_1602
; %bb.1597:
	s_cmp_lg_u32 s33, 0
	v_mov_b32_e32 v16, 0
	v_mov_b32_e32 v18, 0
	;; [unrolled: 1-line block ×3, first 2 shown]
	s_cbranch_scc0 .LBB23_1603
; %bb.1598:
	s_min_u32 s8, s68, 15
	s_add_i32 s6, s8, 1
	s_and_b32 s9, s6, 30
	s_add_u32 s6, s2, 0xffffffec
	s_addc_u32 s7, s3, -1
	v_mov_b32_e32 v4, 0
	v_mov_b32_e32 v1, v0
	;; [unrolled: 1-line block ×4, first 2 shown]
.LBB23_1599:                            ; =>This Inner Loop Header: Depth=1
	s_mov_b64 s[10:11], s[6:7]
	s_load_dwordx4 s[16:19], s[10:11], 0x18
	s_load_dwordx2 s[24:25], s[10:11], 0x28
	s_load_dwordx2 s[26:27], s[10:11], 0xe8
	s_load_dwordx4 s[20:23], s[10:11], 0xd8
	s_add_u32 s6, s10, 24
	s_waitcnt lgkmcnt(0)
	v_mul_hi_u32 v2, s17, v1
	v_add_u32_e32 v2, v1, v2
	v_lshrrev_b32_e32 v2, s18, v2
	v_mul_lo_u32 v3, v2, s16
	v_mul_hi_u32 v5, s24, v2
	v_sub_u32_e32 v1, v1, v3
	v_add_u32_e32 v3, v2, v5
	v_mul_lo_u32 v5, v1, s20
	v_mul_lo_u32 v7, v1, s21
	;; [unrolled: 1-line block ×3, first 2 shown]
	v_lshrrev_b32_e32 v1, s25, v3
	v_mul_lo_u32 v3, v1, s19
	v_sub_u32_e32 v2, v2, v3
	s_addc_u32 s7, s11, 0
	s_add_i32 s9, s9, -2
	v_mul_lo_u32 v3, v2, s23
	v_mul_lo_u32 v10, v2, s26
	;; [unrolled: 1-line block ×3, first 2 shown]
	s_cmp_lg_u32 s9, 0
	v_add3_u32 v4, v5, v4, v3
	v_add3_u32 v16, v9, v16, v2
	;; [unrolled: 1-line block ×3, first 2 shown]
	s_cbranch_scc1 .LBB23_1599
; %bb.1600:
	s_bitcmp1_b32 s8, 0
	s_cselect_b64 s[8:9], -1, 0
	s_and_b64 vcc, exec, s[8:9]
	s_cbranch_vccnz .LBB23_1603
; %bb.1601:
	s_load_dwordx2 s[8:9], s[6:7], 0x18
	s_load_dword s16, s[6:7], 0x20
	s_load_dword s17, s[6:7], 0xe0
	s_load_dwordx2 s[10:11], s[6:7], 0xd8
	s_waitcnt lgkmcnt(0)
	v_mul_hi_u32 v2, s9, v1
	v_add_u32_e32 v2, v1, v2
	v_lshrrev_b32_e32 v2, s16, v2
	v_mul_lo_u32 v2, v2, s8
	v_sub_u32_e32 v1, v1, v2
	v_mad_u64_u32 v[4:5], s[6:7], v1, s10, v[4:5]
	v_mad_u64_u32 v[18:19], s[6:7], v1, s11, v[18:19]
	;; [unrolled: 1-line block ×3, first 2 shown]
	s_cbranch_execz .LBB23_1604
	s_branch .LBB23_1606
.LBB23_1602:
                                        ; implicit-def: $vgpr16
                                        ; implicit-def: $vgpr18
                                        ; implicit-def: $vgpr4
	s_branch .LBB23_1604
.LBB23_1603:
	s_cbranch_execnz .LBB23_1606
.LBB23_1604:
	s_load_dwordx4 s[8:11], s[2:3], 0x4
	s_load_dwordx4 s[16:19], s[2:3], 0xc4
	s_cmp_lt_u32 s33, 2
	s_waitcnt lgkmcnt(0)
	v_mul_hi_u32 v1, s9, v0
	v_add_u32_e32 v1, v0, v1
	v_lshrrev_b32_e32 v1, s10, v1
	v_mul_lo_u32 v2, v1, s8
	v_sub_u32_e32 v0, v0, v2
	v_mul_lo_u32 v4, v0, s16
	v_mul_lo_u32 v16, v0, s18
	;; [unrolled: 1-line block ×3, first 2 shown]
	s_cbranch_scc1 .LBB23_1606
; %bb.1605:
	s_load_dwordx4 s[8:11], s[2:3], 0x10
	s_load_dwordx4 s[16:19], s[2:3], 0xd0
	s_waitcnt lgkmcnt(0)
	v_mul_hi_u32 v0, s9, v1
	v_add_u32_e32 v0, v1, v0
	v_lshrrev_b32_e32 v0, s10, v0
	v_mul_lo_u32 v0, v0, s8
	v_sub_u32_e32 v0, v1, v0
	v_mad_u64_u32 v[4:5], s[6:7], v0, s16, v[4:5]
	v_mad_u64_u32 v[18:19], s[6:7], v0, s17, v[18:19]
	;; [unrolled: 1-line block ×3, first 2 shown]
.LBB23_1606:
	s_and_b64 vcc, exec, s[0:1]
	v_add_u32_e32 v0, 0x100, v8
	s_cbranch_vccnz .LBB23_1612
; %bb.1607:
	s_cmp_lg_u32 s33, 0
	v_mov_b32_e32 v12, 0
	v_mov_b32_e32 v14, 0
	;; [unrolled: 1-line block ×3, first 2 shown]
	s_cbranch_scc0 .LBB23_1613
; %bb.1608:
	s_min_u32 s8, s68, 15
	s_add_i32 s6, s8, 1
	s_and_b32 s9, s6, 30
	s_add_u32 s6, s2, 0xffffffec
	s_addc_u32 s7, s3, -1
	v_mov_b32_e32 v2, 0
	v_mov_b32_e32 v1, v0
	;; [unrolled: 1-line block ×4, first 2 shown]
.LBB23_1609:                            ; =>This Inner Loop Header: Depth=1
	s_mov_b64 s[10:11], s[6:7]
	s_load_dwordx4 s[16:19], s[10:11], 0x18
	s_load_dwordx2 s[24:25], s[10:11], 0x28
	s_load_dwordx2 s[26:27], s[10:11], 0xe8
	s_load_dwordx4 s[20:23], s[10:11], 0xd8
	s_add_u32 s6, s10, 24
	s_waitcnt lgkmcnt(0)
	v_mul_hi_u32 v3, s17, v1
	v_add_u32_e32 v3, v1, v3
	v_lshrrev_b32_e32 v3, s18, v3
	v_mul_lo_u32 v5, v3, s16
	v_mul_hi_u32 v7, s24, v3
	v_sub_u32_e32 v1, v1, v5
	v_add_u32_e32 v5, v3, v7
	v_mul_lo_u32 v7, v1, s20
	v_mul_lo_u32 v8, v1, s21
	;; [unrolled: 1-line block ×3, first 2 shown]
	v_lshrrev_b32_e32 v1, s25, v5
	v_mul_lo_u32 v5, v1, s19
	v_sub_u32_e32 v3, v3, v5
	s_addc_u32 s7, s11, 0
	s_add_i32 s9, s9, -2
	v_mul_lo_u32 v5, v3, s23
	v_mul_lo_u32 v10, v3, s26
	v_mul_lo_u32 v3, v3, s27
	s_cmp_lg_u32 s9, 0
	v_add3_u32 v2, v7, v2, v5
	v_add3_u32 v12, v9, v12, v3
	;; [unrolled: 1-line block ×3, first 2 shown]
	s_cbranch_scc1 .LBB23_1609
; %bb.1610:
	s_bitcmp1_b32 s8, 0
	s_cselect_b64 s[8:9], -1, 0
	s_and_b64 vcc, exec, s[8:9]
	s_cbranch_vccnz .LBB23_1613
; %bb.1611:
	s_load_dwordx2 s[8:9], s[6:7], 0x18
	s_load_dword s16, s[6:7], 0x20
	s_load_dword s17, s[6:7], 0xe0
	s_load_dwordx2 s[10:11], s[6:7], 0xd8
	s_waitcnt lgkmcnt(0)
	v_mul_hi_u32 v3, s9, v1
	v_add_u32_e32 v3, v1, v3
	v_lshrrev_b32_e32 v3, s16, v3
	v_mul_lo_u32 v3, v3, s8
	v_sub_u32_e32 v1, v1, v3
	v_mad_u64_u32 v[2:3], s[6:7], v1, s10, v[2:3]
	v_mad_u64_u32 v[14:15], s[6:7], v1, s11, v[14:15]
	;; [unrolled: 1-line block ×3, first 2 shown]
	s_cbranch_execz .LBB23_1614
	s_branch .LBB23_1616
.LBB23_1612:
                                        ; implicit-def: $vgpr12
                                        ; implicit-def: $vgpr14
                                        ; implicit-def: $vgpr2
	s_branch .LBB23_1614
.LBB23_1613:
	s_cbranch_execnz .LBB23_1616
.LBB23_1614:
	s_load_dwordx4 s[8:11], s[2:3], 0x4
	s_load_dwordx4 s[16:19], s[2:3], 0xc4
	s_cmp_lt_u32 s33, 2
	s_waitcnt lgkmcnt(0)
	v_mul_hi_u32 v1, s9, v0
	v_add_u32_e32 v1, v0, v1
	v_lshrrev_b32_e32 v1, s10, v1
	v_mul_lo_u32 v2, v1, s8
	v_sub_u32_e32 v0, v0, v2
	v_mul_lo_u32 v2, v0, s16
	v_mul_lo_u32 v12, v0, s18
	;; [unrolled: 1-line block ×3, first 2 shown]
	s_cbranch_scc1 .LBB23_1616
; %bb.1615:
	s_load_dwordx4 s[8:11], s[2:3], 0x10
	s_load_dwordx4 s[16:19], s[2:3], 0xd0
	s_waitcnt lgkmcnt(0)
	v_mul_hi_u32 v0, s9, v1
	v_add_u32_e32 v0, v1, v0
	v_lshrrev_b32_e32 v0, s10, v0
	v_mul_lo_u32 v0, v0, s8
	v_sub_u32_e32 v0, v1, v0
	v_mad_u64_u32 v[2:3], s[6:7], v0, s16, v[2:3]
	v_mad_u64_u32 v[14:15], s[6:7], v0, s17, v[14:15]
	;; [unrolled: 1-line block ×3, first 2 shown]
.LBB23_1616:
	s_and_b64 vcc, exec, s[0:1]
	s_cbranch_vccnz .LBB23_1622
; %bb.1617:
	s_cmp_lg_u32 s33, 0
	v_mov_b32_e32 v8, 0
	v_mov_b32_e32 v10, 0
	;; [unrolled: 1-line block ×3, first 2 shown]
	s_cbranch_scc0 .LBB23_1623
; %bb.1618:
	s_min_u32 s6, s68, 15
	s_add_i32 s0, s6, 1
	s_and_b32 s7, s0, 30
	s_add_u32 s0, s2, 0xffffffec
	s_addc_u32 s1, s3, -1
	v_mov_b32_e32 v0, 0
	v_mov_b32_e32 v1, v24
	;; [unrolled: 1-line block ×4, first 2 shown]
.LBB23_1619:                            ; =>This Inner Loop Header: Depth=1
	s_mov_b64 s[20:21], s[0:1]
	s_load_dwordx4 s[8:11], s[20:21], 0x18
	s_load_dwordx2 s[22:23], s[20:21], 0x28
	s_load_dwordx2 s[24:25], s[20:21], 0xe8
	s_load_dwordx4 s[16:19], s[20:21], 0xd8
	s_add_u32 s0, s20, 24
	s_waitcnt lgkmcnt(0)
	v_mul_hi_u32 v3, s9, v1
	v_add_u32_e32 v3, v1, v3
	v_lshrrev_b32_e32 v3, s10, v3
	v_mul_lo_u32 v5, v3, s8
	v_mul_hi_u32 v7, s22, v3
	v_sub_u32_e32 v1, v1, v5
	v_add_u32_e32 v5, v3, v7
	v_mul_lo_u32 v7, v1, s16
	v_mul_lo_u32 v9, v1, s17
	;; [unrolled: 1-line block ×3, first 2 shown]
	v_lshrrev_b32_e32 v1, s23, v5
	v_mul_lo_u32 v5, v1, s11
	v_sub_u32_e32 v3, v3, v5
	s_addc_u32 s1, s21, 0
	s_add_i32 s7, s7, -2
	v_mul_lo_u32 v5, v3, s19
	v_mul_lo_u32 v13, v3, s24
	v_mul_lo_u32 v3, v3, s25
	s_cmp_lg_u32 s7, 0
	v_add3_u32 v0, v7, v0, v5
	v_add3_u32 v8, v11, v8, v3
	;; [unrolled: 1-line block ×3, first 2 shown]
	s_cbranch_scc1 .LBB23_1619
; %bb.1620:
	s_bitcmp1_b32 s6, 0
	s_cselect_b64 s[6:7], -1, 0
	s_and_b64 vcc, exec, s[6:7]
	s_cbranch_vccnz .LBB23_1623
; %bb.1621:
	s_load_dwordx2 s[6:7], s[0:1], 0x18
	s_load_dword s10, s[0:1], 0x20
	s_load_dword s11, s[0:1], 0xe0
	s_load_dwordx2 s[8:9], s[0:1], 0xd8
	s_waitcnt lgkmcnt(0)
	v_mul_hi_u32 v3, s7, v1
	v_add_u32_e32 v3, v1, v3
	v_lshrrev_b32_e32 v3, s10, v3
	v_mul_lo_u32 v3, v3, s6
	v_sub_u32_e32 v3, v1, v3
	v_mad_u64_u32 v[0:1], s[0:1], v3, s8, v[0:1]
	v_mad_u64_u32 v[10:11], s[0:1], v3, s9, v[10:11]
	v_mad_u64_u32 v[8:9], s[0:1], v3, s11, v[8:9]
	s_cbranch_execz .LBB23_1624
	s_branch .LBB23_1626
.LBB23_1622:
                                        ; implicit-def: $vgpr8
                                        ; implicit-def: $vgpr10
                                        ; implicit-def: $vgpr0
	s_branch .LBB23_1624
.LBB23_1623:
	s_cbranch_execnz .LBB23_1626
.LBB23_1624:
	s_load_dwordx4 s[8:11], s[2:3], 0x4
	s_load_dwordx4 s[16:19], s[2:3], 0xc4
	s_cmp_lt_u32 s33, 2
	s_waitcnt lgkmcnt(0)
	v_mul_hi_u32 v0, s9, v24
	v_add_u32_e32 v0, v24, v0
	v_lshrrev_b32_e32 v1, s10, v0
	v_mul_lo_u32 v0, v1, s8
	v_sub_u32_e32 v3, v24, v0
	v_mul_lo_u32 v0, v3, s16
	v_mul_lo_u32 v8, v3, s18
	;; [unrolled: 1-line block ×3, first 2 shown]
	s_cbranch_scc1 .LBB23_1626
; %bb.1625:
	s_load_dwordx4 s[8:11], s[2:3], 0x10
	s_load_dwordx4 s[16:19], s[2:3], 0xd0
	s_waitcnt lgkmcnt(0)
	v_mul_hi_u32 v3, s9, v1
	v_add_u32_e32 v3, v1, v3
	v_lshrrev_b32_e32 v3, s10, v3
	v_mul_lo_u32 v3, v3, s8
	v_sub_u32_e32 v3, v1, v3
	v_mad_u64_u32 v[0:1], s[0:1], v3, s16, v[0:1]
	v_mad_u64_u32 v[10:11], s[0:1], v3, s17, v[10:11]
	;; [unrolled: 1-line block ×3, first 2 shown]
.LBB23_1626:
	s_load_dword s24, s[4:5], 0x1a8
	s_load_dwordx4 s[8:11], s[2:3], 0x188
	s_waitcnt lgkmcnt(0)
	s_lshr_b32 s25, s24, 16
	v_mov_b32_e32 v1, s11
	v_add_co_u32_e32 v22, vcc, s10, v22
	v_addc_co_u32_e32 v23, vcc, 0, v1, vcc
	v_mov_b32_e32 v1, 11
	v_cmp_lt_i16_sdwa s[0:1], s25, v1 src0_sel:BYTE_0 src1_sel:DWORD
	s_and_b64 vcc, exec, s[0:1]
	s_cbranch_vccnz .LBB23_1633
; %bb.1627:
	v_mov_b32_e32 v1, 25
	v_cmp_gt_i16_sdwa s[0:1], s25, v1 src0_sel:BYTE_0 src1_sel:DWORD
	s_mov_b64 s[6:7], 0
	s_and_b64 vcc, exec, s[0:1]
	s_cbranch_vccz .LBB23_1635
; %bb.1628:
	v_mov_b32_e32 v1, 28
	v_cmp_gt_i16_sdwa s[0:1], s25, v1 src0_sel:BYTE_0 src1_sel:DWORD
	s_and_b64 vcc, exec, s[0:1]
	s_cbranch_vccz .LBB23_1636
; %bb.1629:
	v_mov_b32_e32 v1, 43
	v_cmp_gt_i16_sdwa s[0:1], s25, v1 src0_sel:BYTE_0 src1_sel:DWORD
	;; [unrolled: 5-line block ×3, first 2 shown]
	s_and_b64 vcc, exec, s[0:1]
	s_cbranch_vccz .LBB23_1638
; %bb.1631:
	v_mov_b32_e32 v1, 46
	v_cmp_eq_u16_sdwa s[0:1], s25, v1 src0_sel:BYTE_0 src1_sel:DWORD
	s_mov_b64 s[4:5], 0
	s_and_b64 vcc, exec, s[0:1]
	s_cbranch_vccz .LBB23_1641
; %bb.1632:
	global_load_dword v1, v[22:23], off
	s_mov_b64 s[0:1], 0
	s_mov_b64 s[16:17], -1
	s_waitcnt vmcnt(0)
	v_lshlrev_b32_e32 v1, 16, v1
	v_cvt_f16_f32_e32 v1, v1
	s_branch .LBB23_1642
.LBB23_1633:
	s_mov_b64 s[16:17], 0
                                        ; implicit-def: $vgpr1
	s_mov_b64 s[4:5], s[12:13]
	s_cbranch_execnz .LBB23_1705
.LBB23_1634:
	s_andn2_b64 vcc, exec, s[16:17]
	s_cbranch_vccz .LBB23_1750
	s_branch .LBB23_3113
.LBB23_1635:
	s_mov_b64 s[16:17], 0
	s_mov_b64 s[0:1], 0
                                        ; implicit-def: $vgpr1
	s_cbranch_execnz .LBB23_1670
	s_branch .LBB23_1701
.LBB23_1636:
	s_mov_b64 s[4:5], -1
	s_mov_b64 s[16:17], 0
	s_mov_b64 s[0:1], 0
                                        ; implicit-def: $vgpr1
	s_branch .LBB23_1651
.LBB23_1637:
	s_mov_b64 s[16:17], 0
	s_mov_b64 s[0:1], 0
                                        ; implicit-def: $vgpr1
	s_cbranch_execnz .LBB23_1647
	s_branch .LBB23_1650
.LBB23_1638:
	s_mov_b64 s[4:5], -1
	s_mov_b64 s[16:17], 0
	s_mov_b64 s[0:1], 0
                                        ; implicit-def: $vgpr1
	s_branch .LBB23_1642
.LBB23_1639:
	s_or_saveexec_b64 s[16:17], s[16:17]
                                        ; implicit-def: $sgpr18
	s_xor_b64 exec, exec, s[16:17]
	s_cbranch_execz .LBB23_1498
.LBB23_1640:
	s_mov_b32 s18, 0x46000000
	v_add_f32_e64 v1, |v0|, s18
	v_and_b32_e32 v1, 0xff, v1
	v_cmp_ne_u32_e32 vcc, 0, v1
	s_andn2_b64 s[14:15], s[14:15], exec
	s_and_b64 s[24:25], vcc, exec
	s_mov_b32 s18, 0
	s_or_b64 s[14:15], s[14:15], s[24:25]
	s_or_b64 exec, exec, s[16:17]
	v_mov_b32_e32 v6, s18
	s_and_saveexec_b64 s[16:17], s[14:15]
	s_cbranch_execnz .LBB23_1499
	s_branch .LBB23_1500
.LBB23_1641:
	s_mov_b64 s[0:1], -1
                                        ; implicit-def: $vgpr1
	s_mov_b64 s[16:17], 0
.LBB23_1642:
	s_and_b64 vcc, exec, s[4:5]
	s_cbranch_vccz .LBB23_1645
; %bb.1643:
	v_mov_b32_e32 v1, 44
	v_cmp_eq_u16_sdwa s[0:1], s25, v1 src0_sel:BYTE_0 src1_sel:DWORD
	s_and_b64 vcc, exec, s[0:1]
	s_cbranch_vccz .LBB23_1646
; %bb.1644:
	global_load_ubyte v1, v[22:23], off
	s_movk_i32 s4, 0xff
	v_mov_b32_e32 v5, 0x7e00
	s_mov_b64 s[0:1], 0
	s_mov_b64 s[16:17], -1
	s_waitcnt vmcnt(0)
	v_lshlrev_b32_e32 v3, 23, v1
	v_cvt_f16_f32_e32 v3, v3
	v_cmp_ne_u32_e32 vcc, s4, v1
	v_cndmask_b32_e32 v3, v5, v3, vcc
	v_cmp_ne_u32_e32 vcc, 0, v1
	v_cndmask_b32_e32 v1, 0, v3, vcc
.LBB23_1645:
	s_branch .LBB23_1650
.LBB23_1646:
	s_mov_b64 s[0:1], -1
                                        ; implicit-def: $vgpr1
	s_branch .LBB23_1650
.LBB23_1647:
	v_mov_b32_e32 v1, 29
	v_cmp_eq_u16_sdwa s[0:1], s25, v1 src0_sel:BYTE_0 src1_sel:DWORD
	s_and_b64 vcc, exec, s[0:1]
	s_cbranch_vccz .LBB23_1649
; %bb.1648:
	global_load_dwordx2 v[24:25], v[22:23], off
	s_mov_b64 s[0:1], 0
	s_mov_b64 s[16:17], -1
	s_mov_b64 s[4:5], 0
	s_waitcnt vmcnt(0)
	v_ffbh_u32_e32 v1, v25
	v_min_u32_e32 v1, 32, v1
	v_lshlrev_b64 v[24:25], v1, v[24:25]
	v_min_u32_e32 v3, 1, v24
	v_or_b32_e32 v3, v25, v3
	v_cvt_f32_u32_e32 v3, v3
	v_sub_u32_e32 v1, 32, v1
	v_ldexp_f32 v1, v3, v1
	v_cvt_f16_f32_e32 v1, v1
	s_branch .LBB23_1651
.LBB23_1649:
	s_mov_b64 s[0:1], -1
                                        ; implicit-def: $vgpr1
.LBB23_1650:
	s_mov_b64 s[4:5], 0
.LBB23_1651:
	s_and_b64 vcc, exec, s[4:5]
	s_cbranch_vccz .LBB23_1669
; %bb.1652:
	v_mov_b32_e32 v1, 27
	v_cmp_lt_i16_sdwa s[4:5], s25, v1 src0_sel:BYTE_0 src1_sel:DWORD
	s_and_b64 vcc, exec, s[4:5]
	s_cbranch_vccnz .LBB23_1655
; %bb.1653:
	v_cmp_gt_i16_sdwa s[4:5], s25, v1 src0_sel:BYTE_0 src1_sel:DWORD
	s_and_b64 vcc, exec, s[4:5]
	s_cbranch_vccz .LBB23_1656
; %bb.1654:
	global_load_dword v1, v[22:23], off
	s_mov_b64 s[4:5], 0
	s_waitcnt vmcnt(0)
	v_cvt_f32_u32_e32 v1, v1
	v_cvt_f16_f32_e32 v1, v1
	s_branch .LBB23_1657
.LBB23_1655:
	s_mov_b64 s[4:5], -1
                                        ; implicit-def: $vgpr1
	s_branch .LBB23_1660
.LBB23_1656:
	s_mov_b64 s[4:5], -1
                                        ; implicit-def: $vgpr1
.LBB23_1657:
	s_andn2_b64 vcc, exec, s[4:5]
	s_cbranch_vccnz .LBB23_1659
; %bb.1658:
	global_load_ushort v1, v[22:23], off
	s_waitcnt vmcnt(0)
	v_cvt_f16_u16_e32 v1, v1
.LBB23_1659:
	s_mov_b64 s[4:5], 0
.LBB23_1660:
	s_andn2_b64 vcc, exec, s[4:5]
	s_cbranch_vccnz .LBB23_1668
; %bb.1661:
	global_load_ubyte v3, v[22:23], off
	s_movk_i32 s4, 0x7f
                                        ; implicit-def: $sgpr20
	s_waitcnt vmcnt(0)
	v_cmp_lt_i16_e32 vcc, s4, v3
	s_mov_b64 s[4:5], 0
	s_and_saveexec_b64 s[16:17], vcc
	s_xor_b64 s[16:17], exec, s[16:17]
	s_cbranch_execz .LBB23_1681
; %bb.1662:
	s_movk_i32 s4, 0x80
	v_cmp_eq_u16_e32 vcc, s4, v3
	s_mov_b64 s[4:5], -1
                                        ; implicit-def: $sgpr20
	s_and_saveexec_b64 s[18:19], vcc
; %bb.1663:
	s_movk_i32 s20, 0x7e00
	s_xor_b64 s[4:5], exec, -1
; %bb.1664:
	s_or_b64 exec, exec, s[18:19]
	s_and_b64 s[4:5], s[4:5], exec
	s_or_saveexec_b64 s[16:17], s[16:17]
	v_mov_b32_e32 v1, s20
	s_xor_b64 exec, exec, s[16:17]
	s_cbranch_execnz .LBB23_1682
.LBB23_1665:
	s_or_b64 exec, exec, s[16:17]
	s_and_saveexec_b64 s[16:17], s[4:5]
	s_cbranch_execz .LBB23_1667
.LBB23_1666:
	v_lshlrev_b32_e32 v1, 24, v3
	v_and_b32_e32 v3, 0xffff, v3
	v_and_b32_e32 v5, 7, v3
	v_ffbh_u32_e32 v9, v5
	v_min_u32_e32 v9, 32, v9
	v_subrev_u32_e32 v11, 28, v9
	v_bfe_u32 v7, v3, 3, 4
	v_lshlrev_b32_e32 v3, v11, v3
	v_sub_u32_e32 v9, 29, v9
	v_and_b32_e32 v3, 7, v3
	v_cmp_eq_u32_e32 vcc, 0, v7
	v_cndmask_b32_e32 v7, v7, v9, vcc
	v_cndmask_b32_e32 v3, v5, v3, vcc
	v_mov_b32_e32 v5, 0x3b800000
	v_lshlrev_b32_e32 v3, 20, v3
	v_and_b32_e32 v1, 0x80000000, v1
	v_lshl_add_u32 v5, v7, 23, v5
	v_or3_b32 v1, v1, v5, v3
	v_cvt_f16_f32_e32 v1, v1
.LBB23_1667:
	s_or_b64 exec, exec, s[16:17]
.LBB23_1668:
	s_mov_b64 s[16:17], -1
.LBB23_1669:
	s_branch .LBB23_1701
.LBB23_1670:
	v_mov_b32_e32 v1, 22
	v_cmp_gt_i16_sdwa s[4:5], s25, v1 src0_sel:BYTE_0 src1_sel:DWORD
	s_and_b64 vcc, exec, s[4:5]
	s_cbranch_vccz .LBB23_1680
; %bb.1671:
	v_mov_b32_e32 v1, 24
	v_cmp_lt_i16_sdwa s[4:5], s25, v1 src0_sel:BYTE_0 src1_sel:DWORD
	s_and_b64 vcc, exec, s[4:5]
	s_cbranch_vccnz .LBB23_1683
; %bb.1672:
	v_cmp_gt_i16_sdwa s[4:5], s25, v1 src0_sel:BYTE_0 src1_sel:DWORD
	s_and_b64 vcc, exec, s[4:5]
	s_cbranch_vccz .LBB23_1684
; %bb.1673:
	global_load_ubyte v3, v[22:23], off
	s_movk_i32 s4, 0x7f
                                        ; implicit-def: $sgpr18
	s_waitcnt vmcnt(0)
	v_cmp_lt_i16_e32 vcc, s4, v3
	s_mov_b64 s[4:5], 0
	s_and_saveexec_b64 s[6:7], vcc
	s_xor_b64 s[6:7], exec, s[6:7]
	s_cbranch_execz .LBB23_1695
; %bb.1674:
	s_movk_i32 s4, 0x80
	v_cmp_eq_u16_e32 vcc, s4, v3
	s_mov_b64 s[4:5], -1
                                        ; implicit-def: $sgpr18
	s_and_saveexec_b64 s[16:17], vcc
; %bb.1675:
	s_movk_i32 s18, 0x7e00
	s_xor_b64 s[4:5], exec, -1
; %bb.1676:
	s_or_b64 exec, exec, s[16:17]
	s_and_b64 s[4:5], s[4:5], exec
	s_or_saveexec_b64 s[6:7], s[6:7]
	v_mov_b32_e32 v1, s18
	s_xor_b64 exec, exec, s[6:7]
	s_cbranch_execnz .LBB23_1696
.LBB23_1677:
	s_or_b64 exec, exec, s[6:7]
	s_and_saveexec_b64 s[6:7], s[4:5]
	s_cbranch_execz .LBB23_1679
.LBB23_1678:
	v_lshlrev_b32_e32 v1, 24, v3
	v_and_b32_e32 v3, 0xffff, v3
	v_and_b32_e32 v5, 3, v3
	v_ffbh_u32_e32 v9, v5
	v_min_u32_e32 v9, 32, v9
	v_subrev_u32_e32 v11, 29, v9
	v_bfe_u32 v7, v3, 2, 5
	v_lshlrev_b32_e32 v3, v11, v3
	v_sub_u32_e32 v9, 30, v9
	v_and_b32_e32 v3, 3, v3
	v_cmp_eq_u32_e32 vcc, 0, v7
	v_cndmask_b32_e32 v7, v7, v9, vcc
	v_cndmask_b32_e32 v3, v5, v3, vcc
	v_mov_b32_e32 v5, 0x37800000
	v_lshlrev_b32_e32 v3, 21, v3
	v_and_b32_e32 v1, 0x80000000, v1
	v_lshl_add_u32 v5, v7, 23, v5
	v_or3_b32 v1, v1, v5, v3
	v_cvt_f16_f32_e32 v1, v1
.LBB23_1679:
	s_or_b64 exec, exec, s[6:7]
	s_mov_b64 s[4:5], 0
	s_branch .LBB23_1685
.LBB23_1680:
                                        ; implicit-def: $vgpr1
	s_mov_b64 s[6:7], 0
	s_branch .LBB23_1691
.LBB23_1681:
	s_or_saveexec_b64 s[16:17], s[16:17]
	v_mov_b32_e32 v1, s20
	s_xor_b64 exec, exec, s[16:17]
	s_cbranch_execz .LBB23_1665
.LBB23_1682:
	v_cmp_ne_u16_e32 vcc, 0, v3
	s_andn2_b64 s[4:5], s[4:5], exec
	s_and_b64 s[18:19], vcc, exec
	s_or_b64 s[4:5], s[4:5], s[18:19]
	v_mov_b32_e32 v1, v3
	s_or_b64 exec, exec, s[16:17]
	s_and_saveexec_b64 s[16:17], s[4:5]
	s_cbranch_execnz .LBB23_1666
	s_branch .LBB23_1667
.LBB23_1683:
	s_mov_b64 s[4:5], -1
                                        ; implicit-def: $vgpr1
	s_branch .LBB23_1688
.LBB23_1684:
	s_mov_b64 s[4:5], -1
                                        ; implicit-def: $vgpr1
.LBB23_1685:
	s_and_b64 vcc, exec, s[4:5]
	s_cbranch_vccz .LBB23_1687
; %bb.1686:
	global_load_ubyte v1, v[22:23], off
	s_mov_b32 s4, 0x7f800000
	s_waitcnt vmcnt(0)
	v_lshlrev_b32_e32 v1, 24, v1
	v_and_b32_e32 v3, 0x7f000000, v1
	v_ffbh_u32_e32 v5, v3
	v_min_u32_e32 v5, 32, v5
	v_sub_u32_e64 v5, v5, 4 clamp
	v_lshlrev_b32_e32 v9, v5, v3
	v_lshlrev_b32_e32 v5, 23, v5
	v_lshrrev_b32_e32 v9, 4, v9
	v_add_u32_e32 v7, 0x1000000, v3
	v_sub_u32_e32 v5, v9, v5
	v_ashrrev_i32_e32 v7, 8, v7
	v_add_u32_e32 v5, 0x3c000000, v5
	v_and_or_b32 v5, v7, s4, v5
	v_cmp_ne_u32_e32 vcc, 0, v3
	v_cndmask_b32_e32 v3, 0, v5, vcc
	s_brev_b32 s4, 1
	v_and_or_b32 v1, v1, s4, v3
	v_cvt_f16_f32_e32 v1, v1
.LBB23_1687:
	s_mov_b64 s[4:5], 0
.LBB23_1688:
	s_andn2_b64 vcc, exec, s[4:5]
	s_cbranch_vccnz .LBB23_1690
; %bb.1689:
	global_load_ubyte v1, v[22:23], off
	s_movk_i32 s4, 0x7f00
	s_brev_b32 s5, 16
	s_waitcnt vmcnt(0)
	v_lshlrev_b16_e32 v3, 8, v1
	v_lshlrev_b32_e32 v1, 25, v1
	v_lshrrev_b32_e32 v5, 4, v1
	v_and_or_b32 v7, v3, s4, 0.5
	v_or_b32_e32 v5, 0x70000000, v5
	v_add_f32_e32 v7, -0.5, v7
	v_mul_f32_e32 v5, 0x7800000, v5
	v_cmp_gt_u32_e32 vcc, s5, v1
	v_bfe_i32 v3, v3, 0, 16
	v_cndmask_b32_e32 v1, v5, v7, vcc
	s_brev_b32 s4, 1
	v_and_or_b32 v1, v3, s4, v1
	v_cvt_f16_f32_e32 v1, v1
.LBB23_1690:
	s_mov_b64 s[16:17], -1
	s_mov_b64 s[6:7], 0
	s_cbranch_execnz .LBB23_1701
.LBB23_1691:
	v_mov_b32_e32 v1, 14
	v_cmp_gt_i16_sdwa s[4:5], s25, v1 src0_sel:BYTE_0 src1_sel:DWORD
	s_and_b64 vcc, exec, s[4:5]
	s_cbranch_vccz .LBB23_1694
; %bb.1692:
	v_mov_b32_e32 v1, 15
	v_cmp_eq_u16_sdwa s[0:1], s25, v1 src0_sel:BYTE_0 src1_sel:DWORD
	s_and_b64 vcc, exec, s[0:1]
	s_cbranch_vccz .LBB23_1697
; %bb.1693:
	global_load_ushort v1, v[22:23], off
	s_mov_b64 s[0:1], 0
	s_mov_b64 s[16:17], -1
	s_waitcnt vmcnt(0)
	v_lshlrev_b32_e32 v1, 16, v1
	v_cvt_f16_f32_e32 v1, v1
	s_branch .LBB23_1698
.LBB23_1694:
	s_mov_b64 s[4:5], -1
                                        ; implicit-def: $vgpr1
	s_branch .LBB23_1699
.LBB23_1695:
	s_or_saveexec_b64 s[6:7], s[6:7]
	v_mov_b32_e32 v1, s18
	s_xor_b64 exec, exec, s[6:7]
	s_cbranch_execz .LBB23_1677
.LBB23_1696:
	v_cmp_ne_u16_e32 vcc, 0, v3
	s_andn2_b64 s[4:5], s[4:5], exec
	s_and_b64 s[16:17], vcc, exec
	s_or_b64 s[4:5], s[4:5], s[16:17]
	v_mov_b32_e32 v1, v3
	s_or_b64 exec, exec, s[6:7]
	s_and_saveexec_b64 s[6:7], s[4:5]
	s_cbranch_execnz .LBB23_1678
	s_branch .LBB23_1679
.LBB23_1697:
	s_mov_b64 s[0:1], -1
                                        ; implicit-def: $vgpr1
.LBB23_1698:
	s_mov_b64 s[4:5], 0
.LBB23_1699:
	s_and_b64 vcc, exec, s[4:5]
	s_cbranch_vccz .LBB23_1701
; %bb.1700:
	v_mov_b32_e32 v1, 11
	v_cmp_ne_u16_sdwa s[0:1], s25, v1 src0_sel:BYTE_0 src1_sel:DWORD
	s_mov_b64 s[6:7], -1
                                        ; implicit-def: $vgpr1
.LBB23_1701:
	s_and_b64 vcc, exec, s[0:1]
	s_mov_b64 s[4:5], s[12:13]
	s_cbranch_vccnz .LBB23_1762
; %bb.1702:
	s_andn2_b64 vcc, exec, s[6:7]
	s_cbranch_vccnz .LBB23_1704
.LBB23_1703:
	global_load_ubyte v1, v[22:23], off
	v_mov_b32_e32 v3, 0x3c00
	s_mov_b64 s[16:17], -1
	s_waitcnt vmcnt(0)
	v_cmp_ne_u16_e32 vcc, 0, v1
	v_cndmask_b32_e32 v1, 0, v3, vcc
.LBB23_1704:
	s_branch .LBB23_1634
.LBB23_1705:
	v_mov_b32_e32 v1, 5
	v_cmp_lt_i16_sdwa s[0:1], s25, v1 src0_sel:BYTE_0 src1_sel:DWORD
	s_and_b64 vcc, exec, s[0:1]
	s_cbranch_vccnz .LBB23_1710
; %bb.1706:
	v_mov_b32_e32 v1, 8
	v_cmp_lt_i16_sdwa s[0:1], s25, v1 src0_sel:BYTE_0 src1_sel:DWORD
	s_and_b64 vcc, exec, s[0:1]
	s_cbranch_vccnz .LBB23_1711
; %bb.1707:
	;; [unrolled: 5-line block ×3, first 2 shown]
	v_cmp_gt_i16_sdwa s[0:1], s25, v1 src0_sel:BYTE_0 src1_sel:DWORD
	s_and_b64 vcc, exec, s[0:1]
	s_cbranch_vccz .LBB23_1713
; %bb.1709:
	global_load_dwordx2 v[24:25], v[22:23], off
	s_mov_b64 s[0:1], 0
	s_waitcnt vmcnt(0)
	v_cvt_f32_f64_e32 v1, v[24:25]
	v_cvt_f16_f32_e32 v1, v1
	s_branch .LBB23_1714
.LBB23_1710:
                                        ; implicit-def: $vgpr1
	s_branch .LBB23_1731
.LBB23_1711:
                                        ; implicit-def: $vgpr1
	s_branch .LBB23_1720
.LBB23_1712:
	s_mov_b64 s[0:1], -1
                                        ; implicit-def: $vgpr1
	s_branch .LBB23_1717
.LBB23_1713:
	s_mov_b64 s[0:1], -1
                                        ; implicit-def: $vgpr1
.LBB23_1714:
	s_andn2_b64 vcc, exec, s[0:1]
	s_cbranch_vccnz .LBB23_1716
; %bb.1715:
	global_load_dword v1, v[22:23], off
	s_waitcnt vmcnt(0)
	v_cvt_f16_f32_e32 v1, v1
.LBB23_1716:
	s_mov_b64 s[0:1], 0
.LBB23_1717:
	s_andn2_b64 vcc, exec, s[0:1]
	s_cbranch_vccnz .LBB23_1719
; %bb.1718:
	global_load_dword v1, v[22:23], off
.LBB23_1719:
	s_cbranch_execnz .LBB23_1730
.LBB23_1720:
	s_waitcnt vmcnt(0)
	v_mov_b32_e32 v1, 6
	v_cmp_lt_i16_sdwa s[0:1], s25, v1 src0_sel:BYTE_0 src1_sel:DWORD
	s_and_b64 vcc, exec, s[0:1]
	s_cbranch_vccnz .LBB23_1723
; %bb.1721:
	v_cmp_gt_i16_sdwa s[0:1], s25, v1 src0_sel:BYTE_0 src1_sel:DWORD
	s_and_b64 vcc, exec, s[0:1]
	s_cbranch_vccz .LBB23_1724
; %bb.1722:
	global_load_dwordx2 v[24:25], v[22:23], off
	s_mov_b64 s[0:1], 0
	s_waitcnt vmcnt(0)
	v_cvt_f32_f64_e32 v1, v[24:25]
	v_cvt_f16_f32_e32 v1, v1
	s_branch .LBB23_1725
.LBB23_1723:
	s_mov_b64 s[0:1], -1
                                        ; implicit-def: $vgpr1
	s_branch .LBB23_1728
.LBB23_1724:
	s_mov_b64 s[0:1], -1
                                        ; implicit-def: $vgpr1
.LBB23_1725:
	s_andn2_b64 vcc, exec, s[0:1]
	s_cbranch_vccnz .LBB23_1727
; %bb.1726:
	global_load_dword v1, v[22:23], off
	s_waitcnt vmcnt(0)
	v_cvt_f16_f32_e32 v1, v1
.LBB23_1727:
	s_mov_b64 s[0:1], 0
.LBB23_1728:
	s_andn2_b64 vcc, exec, s[0:1]
	s_cbranch_vccnz .LBB23_1730
; %bb.1729:
	global_load_ushort v1, v[22:23], off
.LBB23_1730:
	s_cbranch_execnz .LBB23_1749
.LBB23_1731:
	s_waitcnt vmcnt(0)
	v_mov_b32_e32 v1, 2
	v_cmp_lt_i16_sdwa s[0:1], s25, v1 src0_sel:BYTE_0 src1_sel:DWORD
	s_and_b64 vcc, exec, s[0:1]
	s_cbranch_vccnz .LBB23_1735
; %bb.1732:
	v_mov_b32_e32 v1, 3
	v_cmp_lt_i16_sdwa s[0:1], s25, v1 src0_sel:BYTE_0 src1_sel:DWORD
	s_and_b64 vcc, exec, s[0:1]
	s_cbranch_vccnz .LBB23_1736
; %bb.1733:
	v_cmp_gt_i16_sdwa s[0:1], s25, v1 src0_sel:BYTE_0 src1_sel:DWORD
	s_and_b64 vcc, exec, s[0:1]
	s_cbranch_vccz .LBB23_1737
; %bb.1734:
	global_load_dwordx2 v[24:25], v[22:23], off
	s_mov_b64 s[0:1], 0
	s_waitcnt vmcnt(0)
	v_xor_b32_e32 v3, v24, v25
	v_ffbh_i32_e32 v1, v25
	v_ashrrev_i32_e32 v3, 31, v3
	v_add_u32_e32 v1, -1, v1
	v_add_u32_e32 v3, 32, v3
	v_min_u32_e32 v1, v1, v3
	v_lshlrev_b64 v[24:25], v1, v[24:25]
	v_min_u32_e32 v3, 1, v24
	v_or_b32_e32 v3, v25, v3
	v_cvt_f32_i32_e32 v3, v3
	v_sub_u32_e32 v1, 32, v1
	v_ldexp_f32 v1, v3, v1
	v_cvt_f16_f32_e32 v1, v1
	s_branch .LBB23_1738
.LBB23_1735:
                                        ; implicit-def: $vgpr1
	s_branch .LBB23_1744
.LBB23_1736:
	s_mov_b64 s[0:1], -1
                                        ; implicit-def: $vgpr1
	s_branch .LBB23_1741
.LBB23_1737:
	s_mov_b64 s[0:1], -1
                                        ; implicit-def: $vgpr1
.LBB23_1738:
	s_andn2_b64 vcc, exec, s[0:1]
	s_cbranch_vccnz .LBB23_1740
; %bb.1739:
	global_load_dword v1, v[22:23], off
	s_waitcnt vmcnt(0)
	v_cvt_f32_i32_e32 v1, v1
	v_cvt_f16_f32_e32 v1, v1
.LBB23_1740:
	s_mov_b64 s[0:1], 0
.LBB23_1741:
	s_andn2_b64 vcc, exec, s[0:1]
	s_cbranch_vccnz .LBB23_1743
; %bb.1742:
	global_load_ushort v1, v[22:23], off
	s_waitcnt vmcnt(0)
	v_cvt_f16_i16_e32 v1, v1
.LBB23_1743:
	s_cbranch_execnz .LBB23_1749
.LBB23_1744:
	v_mov_b32_e32 v1, 0
	v_cmp_gt_i16_sdwa s[0:1], s25, v1 src0_sel:BYTE_0 src1_sel:DWORD
	s_and_b64 vcc, exec, s[0:1]
	s_cbranch_vccz .LBB23_1746
; %bb.1745:
	global_load_sbyte v1, v[22:23], off
	s_mov_b64 s[0:1], 0
	s_waitcnt vmcnt(0)
	v_cvt_f16_i16_e32 v1, v1
	s_branch .LBB23_1747
.LBB23_1746:
	s_mov_b64 s[0:1], -1
                                        ; implicit-def: $vgpr1
.LBB23_1747:
	s_andn2_b64 vcc, exec, s[0:1]
	s_cbranch_vccnz .LBB23_1749
; %bb.1748:
	global_load_ubyte v1, v[22:23], off
	s_waitcnt vmcnt(0)
	v_cvt_f16_u16_e32 v1, v1
.LBB23_1749:
.LBB23_1750:
	s_load_dwordx2 s[0:1], s[2:3], 0x198
	s_lshr_b32 s26, s24, 24
	v_cmp_lt_i16_e64 s[2:3], s26, 11
	s_waitcnt lgkmcnt(0)
	v_mov_b32_e32 v3, s1
	v_add_co_u32_e32 v20, vcc, s0, v20
	v_addc_co_u32_e32 v21, vcc, 0, v3, vcc
	s_and_b64 vcc, exec, s[2:3]
	s_cbranch_vccnz .LBB23_1757
; %bb.1751:
	v_cmp_gt_i16_e64 s[6:7], s26, 25
	s_mov_b64 s[16:17], 0
	s_and_b64 vcc, exec, s[6:7]
	s_cbranch_vccz .LBB23_1759
; %bb.1752:
	v_cmp_gt_i16_e64 s[6:7], s26, 28
	s_and_b64 vcc, exec, s[6:7]
	s_cbranch_vccz .LBB23_1760
; %bb.1753:
	v_cmp_gt_i16_e64 s[6:7], s26, 43
	;; [unrolled: 4-line block ×3, first 2 shown]
	s_and_b64 vcc, exec, s[6:7]
	s_cbranch_vccz .LBB23_1763
; %bb.1755:
	v_cmp_eq_u16_e64 s[6:7], s26, 46
	s_mov_b64 s[20:21], 0
	s_and_b64 vcc, exec, s[6:7]
	s_cbranch_vccz .LBB23_1766
; %bb.1756:
	global_load_dword v3, v[20:21], off
	s_mov_b64 s[6:7], 0
	s_mov_b64 s[18:19], -1
	s_waitcnt vmcnt(0)
	v_lshlrev_b32_e32 v3, 16, v3
	v_cvt_f16_f32_e32 v3, v3
	s_branch .LBB23_1767
.LBB23_1757:
	s_mov_b64 s[18:19], 0
                                        ; implicit-def: $vgpr3
	s_cbranch_execnz .LBB23_1832
.LBB23_1758:
	s_andn2_b64 vcc, exec, s[18:19]
	s_cbranch_vccnz .LBB23_3113
	s_branch .LBB23_1879
.LBB23_1759:
	s_mov_b64 s[18:19], 0
	s_mov_b64 s[6:7], 0
                                        ; implicit-def: $vgpr3
	s_cbranch_execnz .LBB23_1796
	s_branch .LBB23_1828
.LBB23_1760:
	s_mov_b64 s[20:21], -1
	s_mov_b64 s[18:19], 0
	s_mov_b64 s[6:7], 0
                                        ; implicit-def: $vgpr3
	s_branch .LBB23_1777
.LBB23_1761:
	s_mov_b64 s[20:21], -1
	s_mov_b64 s[18:19], 0
	s_mov_b64 s[6:7], 0
                                        ; implicit-def: $vgpr3
	s_branch .LBB23_1772
.LBB23_1762:
	s_or_b64 s[4:5], s[12:13], exec
	s_trap 2
                                        ; implicit-def: $vgpr1
	s_cbranch_execz .LBB23_1703
	s_branch .LBB23_1704
.LBB23_1763:
	s_mov_b64 s[20:21], -1
	s_mov_b64 s[18:19], 0
	s_mov_b64 s[6:7], 0
                                        ; implicit-def: $vgpr3
	s_branch .LBB23_1767
.LBB23_1764:
	s_or_saveexec_b64 s[18:19], s[18:19]
                                        ; implicit-def: $sgpr24
	s_xor_b64 exec, exec, s[18:19]
	s_cbranch_execz .LBB23_1510
.LBB23_1765:
	s_mov_b32 s24, 0x42800000
	v_add_f32_e64 v1, |v0|, s24
	v_and_b32_e32 v1, 0xff, v1
	v_cmp_ne_u32_e32 vcc, 0, v1
	s_andn2_b64 s[16:17], s[16:17], exec
	s_and_b64 s[26:27], vcc, exec
	s_mov_b32 s24, 0
	s_or_b64 s[16:17], s[16:17], s[26:27]
	s_or_b64 exec, exec, s[18:19]
	v_mov_b32_e32 v6, s24
	s_and_saveexec_b64 s[18:19], s[16:17]
	s_cbranch_execnz .LBB23_1511
	s_branch .LBB23_1512
.LBB23_1766:
	s_mov_b64 s[6:7], -1
                                        ; implicit-def: $vgpr3
	s_mov_b64 s[18:19], 0
.LBB23_1767:
	s_and_b64 vcc, exec, s[20:21]
	s_cbranch_vccz .LBB23_1771
; %bb.1768:
	v_cmp_eq_u16_e64 s[6:7], s26, 44
	s_and_b64 vcc, exec, s[6:7]
	s_cbranch_vccz .LBB23_1770
; %bb.1769:
	global_load_ubyte v3, v[20:21], off
	s_movk_i32 s18, 0xff
	v_mov_b32_e32 v7, 0x7e00
	s_mov_b64 s[6:7], 0
	s_waitcnt vmcnt(0)
	v_lshlrev_b32_e32 v5, 23, v3
	v_cvt_f16_f32_e32 v5, v5
	v_cmp_ne_u32_e32 vcc, s18, v3
	s_mov_b64 s[18:19], -1
	v_cndmask_b32_e32 v5, v7, v5, vcc
	v_cmp_ne_u32_e32 vcc, 0, v3
	v_cndmask_b32_e32 v3, 0, v5, vcc
	s_branch .LBB23_1771
.LBB23_1770:
	s_mov_b64 s[6:7], -1
                                        ; implicit-def: $vgpr3
.LBB23_1771:
	s_mov_b64 s[20:21], 0
.LBB23_1772:
	s_and_b64 vcc, exec, s[20:21]
	s_cbranch_vccz .LBB23_1776
; %bb.1773:
	v_cmp_eq_u16_e64 s[6:7], s26, 29
	s_and_b64 vcc, exec, s[6:7]
	s_cbranch_vccz .LBB23_1775
; %bb.1774:
	global_load_dwordx2 v[22:23], v[20:21], off
	s_mov_b64 s[6:7], 0
	s_mov_b64 s[18:19], -1
	s_mov_b64 s[20:21], 0
	s_waitcnt vmcnt(0)
	v_ffbh_u32_e32 v3, v23
	v_min_u32_e32 v3, 32, v3
	v_lshlrev_b64 v[22:23], v3, v[22:23]
	v_min_u32_e32 v5, 1, v22
	v_or_b32_e32 v5, v23, v5
	v_cvt_f32_u32_e32 v5, v5
	v_sub_u32_e32 v3, 32, v3
	v_ldexp_f32 v3, v5, v3
	v_cvt_f16_f32_e32 v3, v3
	s_branch .LBB23_1777
.LBB23_1775:
	s_mov_b64 s[6:7], -1
                                        ; implicit-def: $vgpr3
.LBB23_1776:
	s_mov_b64 s[20:21], 0
.LBB23_1777:
	s_and_b64 vcc, exec, s[20:21]
	s_cbranch_vccz .LBB23_1795
; %bb.1778:
	v_cmp_lt_i16_e64 s[18:19], s26, 27
	s_and_b64 vcc, exec, s[18:19]
	s_cbranch_vccnz .LBB23_1781
; %bb.1779:
	v_cmp_gt_i16_e64 s[18:19], s26, 27
	s_and_b64 vcc, exec, s[18:19]
	s_cbranch_vccz .LBB23_1782
; %bb.1780:
	global_load_dword v3, v[20:21], off
	s_mov_b64 s[18:19], 0
	s_waitcnt vmcnt(0)
	v_cvt_f32_u32_e32 v3, v3
	v_cvt_f16_f32_e32 v3, v3
	s_branch .LBB23_1783
.LBB23_1781:
	s_mov_b64 s[18:19], -1
                                        ; implicit-def: $vgpr3
	s_branch .LBB23_1786
.LBB23_1782:
	s_mov_b64 s[18:19], -1
                                        ; implicit-def: $vgpr3
.LBB23_1783:
	s_andn2_b64 vcc, exec, s[18:19]
	s_cbranch_vccnz .LBB23_1785
; %bb.1784:
	global_load_ushort v3, v[20:21], off
	s_waitcnt vmcnt(0)
	v_cvt_f16_u16_e32 v3, v3
.LBB23_1785:
	s_mov_b64 s[18:19], 0
.LBB23_1786:
	s_andn2_b64 vcc, exec, s[18:19]
	s_cbranch_vccnz .LBB23_1794
; %bb.1787:
	global_load_ubyte v5, v[20:21], off
	s_movk_i32 s18, 0x7f
                                        ; implicit-def: $sgpr27
	s_waitcnt vmcnt(0)
	v_cmp_lt_i16_e32 vcc, s18, v5
	s_mov_b64 s[18:19], 0
	s_and_saveexec_b64 s[20:21], vcc
	s_xor_b64 s[20:21], exec, s[20:21]
	s_cbranch_execz .LBB23_1807
; %bb.1788:
	s_movk_i32 s18, 0x80
	v_cmp_eq_u16_e32 vcc, s18, v5
	s_mov_b64 s[18:19], -1
                                        ; implicit-def: $sgpr27
	s_and_saveexec_b64 s[22:23], vcc
; %bb.1789:
	s_movk_i32 s27, 0x7e00
	s_xor_b64 s[18:19], exec, -1
; %bb.1790:
	s_or_b64 exec, exec, s[22:23]
	s_and_b64 s[18:19], s[18:19], exec
	s_or_saveexec_b64 s[20:21], s[20:21]
	v_mov_b32_e32 v3, s27
	s_xor_b64 exec, exec, s[20:21]
	s_cbranch_execnz .LBB23_1808
.LBB23_1791:
	s_or_b64 exec, exec, s[20:21]
	s_and_saveexec_b64 s[20:21], s[18:19]
	s_cbranch_execz .LBB23_1793
.LBB23_1792:
	v_lshlrev_b32_e32 v3, 24, v5
	v_and_b32_e32 v5, 0xffff, v5
	v_and_b32_e32 v7, 7, v5
	v_ffbh_u32_e32 v11, v7
	v_min_u32_e32 v11, 32, v11
	v_subrev_u32_e32 v13, 28, v11
	v_bfe_u32 v9, v5, 3, 4
	v_lshlrev_b32_e32 v5, v13, v5
	v_sub_u32_e32 v11, 29, v11
	v_and_b32_e32 v5, 7, v5
	v_cmp_eq_u32_e32 vcc, 0, v9
	v_cndmask_b32_e32 v9, v9, v11, vcc
	v_cndmask_b32_e32 v5, v7, v5, vcc
	v_mov_b32_e32 v7, 0x3b800000
	v_lshlrev_b32_e32 v5, 20, v5
	v_and_b32_e32 v3, 0x80000000, v3
	v_lshl_add_u32 v7, v9, 23, v7
	v_or3_b32 v3, v3, v7, v5
	v_cvt_f16_f32_e32 v3, v3
.LBB23_1793:
	s_or_b64 exec, exec, s[20:21]
.LBB23_1794:
	s_mov_b64 s[18:19], -1
.LBB23_1795:
	s_branch .LBB23_1828
.LBB23_1796:
	v_cmp_gt_i16_e64 s[16:17], s26, 22
	s_and_b64 vcc, exec, s[16:17]
	s_cbranch_vccz .LBB23_1806
; %bb.1797:
	v_cmp_lt_i16_e64 s[16:17], s26, 24
	s_and_b64 vcc, exec, s[16:17]
	s_cbranch_vccnz .LBB23_1809
; %bb.1798:
	v_cmp_gt_i16_e64 s[16:17], s26, 24
	s_and_b64 vcc, exec, s[16:17]
	s_cbranch_vccz .LBB23_1810
; %bb.1799:
	global_load_ubyte v5, v[20:21], off
	s_movk_i32 s16, 0x7f
                                        ; implicit-def: $sgpr22
	s_waitcnt vmcnt(0)
	v_cmp_lt_i16_e32 vcc, s16, v5
	s_mov_b64 s[16:17], 0
	s_and_saveexec_b64 s[18:19], vcc
	s_xor_b64 s[18:19], exec, s[18:19]
	s_cbranch_execz .LBB23_1822
; %bb.1800:
	s_movk_i32 s16, 0x80
	v_cmp_eq_u16_e32 vcc, s16, v5
	s_mov_b64 s[16:17], -1
                                        ; implicit-def: $sgpr22
	s_and_saveexec_b64 s[20:21], vcc
; %bb.1801:
	s_movk_i32 s22, 0x7e00
	s_xor_b64 s[16:17], exec, -1
; %bb.1802:
	s_or_b64 exec, exec, s[20:21]
	s_and_b64 s[16:17], s[16:17], exec
	s_or_saveexec_b64 s[18:19], s[18:19]
	v_mov_b32_e32 v3, s22
	s_xor_b64 exec, exec, s[18:19]
	s_cbranch_execnz .LBB23_1823
.LBB23_1803:
	s_or_b64 exec, exec, s[18:19]
	s_and_saveexec_b64 s[18:19], s[16:17]
	s_cbranch_execz .LBB23_1805
.LBB23_1804:
	v_lshlrev_b32_e32 v3, 24, v5
	v_and_b32_e32 v5, 0xffff, v5
	v_and_b32_e32 v7, 3, v5
	v_ffbh_u32_e32 v11, v7
	v_min_u32_e32 v11, 32, v11
	v_subrev_u32_e32 v13, 29, v11
	v_bfe_u32 v9, v5, 2, 5
	v_lshlrev_b32_e32 v5, v13, v5
	v_sub_u32_e32 v11, 30, v11
	v_and_b32_e32 v5, 3, v5
	v_cmp_eq_u32_e32 vcc, 0, v9
	v_cndmask_b32_e32 v9, v9, v11, vcc
	v_cndmask_b32_e32 v5, v7, v5, vcc
	v_mov_b32_e32 v7, 0x37800000
	v_lshlrev_b32_e32 v5, 21, v5
	v_and_b32_e32 v3, 0x80000000, v3
	v_lshl_add_u32 v7, v9, 23, v7
	v_or3_b32 v3, v3, v7, v5
	v_cvt_f16_f32_e32 v3, v3
.LBB23_1805:
	s_or_b64 exec, exec, s[18:19]
	s_mov_b64 s[16:17], 0
	s_branch .LBB23_1811
.LBB23_1806:
	s_mov_b64 s[16:17], -1
                                        ; implicit-def: $vgpr3
	s_branch .LBB23_1817
.LBB23_1807:
	s_or_saveexec_b64 s[20:21], s[20:21]
	v_mov_b32_e32 v3, s27
	s_xor_b64 exec, exec, s[20:21]
	s_cbranch_execz .LBB23_1791
.LBB23_1808:
	v_cmp_ne_u16_e32 vcc, 0, v5
	s_andn2_b64 s[18:19], s[18:19], exec
	s_and_b64 s[22:23], vcc, exec
	s_or_b64 s[18:19], s[18:19], s[22:23]
	v_mov_b32_e32 v3, v5
	s_or_b64 exec, exec, s[20:21]
	s_and_saveexec_b64 s[20:21], s[18:19]
	s_cbranch_execnz .LBB23_1792
	s_branch .LBB23_1793
.LBB23_1809:
	s_mov_b64 s[16:17], -1
                                        ; implicit-def: $vgpr3
	s_branch .LBB23_1814
.LBB23_1810:
	s_mov_b64 s[16:17], -1
                                        ; implicit-def: $vgpr3
.LBB23_1811:
	s_and_b64 vcc, exec, s[16:17]
	s_cbranch_vccz .LBB23_1813
; %bb.1812:
	global_load_ubyte v3, v[20:21], off
	s_mov_b32 s16, 0x7f800000
	s_waitcnt vmcnt(0)
	v_lshlrev_b32_e32 v3, 24, v3
	v_and_b32_e32 v5, 0x7f000000, v3
	v_ffbh_u32_e32 v7, v5
	v_min_u32_e32 v7, 32, v7
	v_sub_u32_e64 v7, v7, 4 clamp
	v_lshlrev_b32_e32 v11, v7, v5
	v_lshlrev_b32_e32 v7, 23, v7
	v_lshrrev_b32_e32 v11, 4, v11
	v_add_u32_e32 v9, 0x1000000, v5
	v_sub_u32_e32 v7, v11, v7
	v_ashrrev_i32_e32 v9, 8, v9
	v_add_u32_e32 v7, 0x3c000000, v7
	v_and_or_b32 v7, v9, s16, v7
	v_cmp_ne_u32_e32 vcc, 0, v5
	v_cndmask_b32_e32 v5, 0, v7, vcc
	s_brev_b32 s16, 1
	v_and_or_b32 v3, v3, s16, v5
	v_cvt_f16_f32_e32 v3, v3
.LBB23_1813:
	s_mov_b64 s[16:17], 0
.LBB23_1814:
	s_andn2_b64 vcc, exec, s[16:17]
	s_cbranch_vccnz .LBB23_1816
; %bb.1815:
	global_load_ubyte v3, v[20:21], off
	s_movk_i32 s16, 0x7f00
	s_brev_b32 s17, 16
	s_waitcnt vmcnt(0)
	v_lshlrev_b16_e32 v5, 8, v3
	v_lshlrev_b32_e32 v3, 25, v3
	v_lshrrev_b32_e32 v7, 4, v3
	v_and_or_b32 v9, v5, s16, 0.5
	v_or_b32_e32 v7, 0x70000000, v7
	v_add_f32_e32 v9, -0.5, v9
	v_mul_f32_e32 v7, 0x7800000, v7
	v_cmp_gt_u32_e32 vcc, s17, v3
	v_bfe_i32 v5, v5, 0, 16
	v_cndmask_b32_e32 v3, v7, v9, vcc
	s_brev_b32 s16, 1
	v_and_or_b32 v3, v5, s16, v3
	v_cvt_f16_f32_e32 v3, v3
.LBB23_1816:
	s_mov_b64 s[16:17], 0
	s_mov_b64 s[18:19], -1
.LBB23_1817:
	s_andn2_b64 vcc, exec, s[16:17]
	s_mov_b64 s[16:17], 0
	s_cbranch_vccnz .LBB23_1828
; %bb.1818:
	v_cmp_gt_i16_e64 s[16:17], s26, 14
	s_and_b64 vcc, exec, s[16:17]
	s_cbranch_vccz .LBB23_1821
; %bb.1819:
	v_cmp_eq_u16_e64 s[6:7], s26, 15
	s_and_b64 vcc, exec, s[6:7]
	s_cbranch_vccz .LBB23_1824
; %bb.1820:
	global_load_ushort v3, v[20:21], off
	s_mov_b64 s[6:7], 0
	s_mov_b64 s[18:19], -1
	s_waitcnt vmcnt(0)
	v_lshlrev_b32_e32 v3, 16, v3
	v_cvt_f16_f32_e32 v3, v3
	s_branch .LBB23_1825
.LBB23_1821:
	s_mov_b64 s[20:21], -1
                                        ; implicit-def: $vgpr3
	s_branch .LBB23_1826
.LBB23_1822:
	s_or_saveexec_b64 s[18:19], s[18:19]
	v_mov_b32_e32 v3, s22
	s_xor_b64 exec, exec, s[18:19]
	s_cbranch_execz .LBB23_1803
.LBB23_1823:
	v_cmp_ne_u16_e32 vcc, 0, v5
	s_andn2_b64 s[16:17], s[16:17], exec
	s_and_b64 s[20:21], vcc, exec
	s_or_b64 s[16:17], s[16:17], s[20:21]
	v_mov_b32_e32 v3, v5
	s_or_b64 exec, exec, s[18:19]
	s_and_saveexec_b64 s[18:19], s[16:17]
	s_cbranch_execnz .LBB23_1804
	s_branch .LBB23_1805
.LBB23_1824:
	s_mov_b64 s[6:7], -1
                                        ; implicit-def: $vgpr3
.LBB23_1825:
	s_mov_b64 s[20:21], 0
.LBB23_1826:
	s_mov_b64 s[16:17], 0
	s_and_b64 vcc, exec, s[20:21]
	s_cbranch_vccz .LBB23_1828
; %bb.1827:
	v_cmp_ne_u16_e64 s[6:7], s26, 11
	s_mov_b64 s[16:17], -1
                                        ; implicit-def: $vgpr3
.LBB23_1828:
	s_and_b64 vcc, exec, s[6:7]
	s_cbranch_vccnz .LBB23_1891
; %bb.1829:
	s_andn2_b64 vcc, exec, s[16:17]
	s_cbranch_vccnz .LBB23_1831
.LBB23_1830:
	global_load_ubyte v3, v[20:21], off
	v_mov_b32_e32 v5, 0x3c00
	s_mov_b64 s[18:19], -1
	s_waitcnt vmcnt(0)
	v_cmp_ne_u16_e32 vcc, 0, v3
	v_cndmask_b32_e32 v3, 0, v5, vcc
.LBB23_1831:
	s_branch .LBB23_1758
.LBB23_1832:
	v_cmp_lt_i16_e64 s[6:7], s26, 5
	s_and_b64 vcc, exec, s[6:7]
	s_cbranch_vccnz .LBB23_1837
; %bb.1833:
	v_cmp_lt_i16_e64 s[6:7], s26, 8
	s_and_b64 vcc, exec, s[6:7]
	s_cbranch_vccnz .LBB23_1838
; %bb.1834:
	;; [unrolled: 4-line block ×3, first 2 shown]
	v_cmp_gt_i16_e64 s[6:7], s26, 9
	s_and_b64 vcc, exec, s[6:7]
	s_cbranch_vccz .LBB23_1840
; %bb.1836:
	global_load_dwordx2 v[22:23], v[20:21], off
	s_mov_b64 s[6:7], 0
	s_waitcnt vmcnt(0)
	v_cvt_f32_f64_e32 v3, v[22:23]
	v_cvt_f16_f32_e32 v3, v3
	s_branch .LBB23_1841
.LBB23_1837:
                                        ; implicit-def: $vgpr3
	s_branch .LBB23_1859
.LBB23_1838:
	s_mov_b64 s[6:7], -1
                                        ; implicit-def: $vgpr3
	s_branch .LBB23_1847
.LBB23_1839:
	s_mov_b64 s[6:7], -1
                                        ; implicit-def: $vgpr3
	s_branch .LBB23_1844
.LBB23_1840:
	s_mov_b64 s[6:7], -1
                                        ; implicit-def: $vgpr3
.LBB23_1841:
	s_andn2_b64 vcc, exec, s[6:7]
	s_cbranch_vccnz .LBB23_1843
; %bb.1842:
	global_load_dword v3, v[20:21], off
	s_waitcnt vmcnt(0)
	v_cvt_f16_f32_e32 v3, v3
.LBB23_1843:
	s_mov_b64 s[6:7], 0
.LBB23_1844:
	s_andn2_b64 vcc, exec, s[6:7]
	s_cbranch_vccnz .LBB23_1846
; %bb.1845:
	global_load_dword v3, v[20:21], off
.LBB23_1846:
	s_mov_b64 s[6:7], 0
.LBB23_1847:
	s_andn2_b64 vcc, exec, s[6:7]
	s_cbranch_vccnz .LBB23_1858
; %bb.1848:
	v_cmp_lt_i16_e64 s[6:7], s26, 6
	s_and_b64 vcc, exec, s[6:7]
	s_cbranch_vccnz .LBB23_1851
; %bb.1849:
	v_cmp_gt_i16_e64 s[6:7], s26, 6
	s_and_b64 vcc, exec, s[6:7]
	s_cbranch_vccz .LBB23_1852
; %bb.1850:
	global_load_dwordx2 v[22:23], v[20:21], off
	s_mov_b64 s[6:7], 0
	s_waitcnt vmcnt(0)
	v_cvt_f32_f64_e32 v3, v[22:23]
	v_cvt_f16_f32_e32 v3, v3
	s_branch .LBB23_1853
.LBB23_1851:
	s_mov_b64 s[6:7], -1
                                        ; implicit-def: $vgpr3
	s_branch .LBB23_1856
.LBB23_1852:
	s_mov_b64 s[6:7], -1
                                        ; implicit-def: $vgpr3
.LBB23_1853:
	s_andn2_b64 vcc, exec, s[6:7]
	s_cbranch_vccnz .LBB23_1855
; %bb.1854:
	global_load_dword v3, v[20:21], off
	s_waitcnt vmcnt(0)
	v_cvt_f16_f32_e32 v3, v3
.LBB23_1855:
	s_mov_b64 s[6:7], 0
.LBB23_1856:
	s_andn2_b64 vcc, exec, s[6:7]
	s_cbranch_vccnz .LBB23_1858
; %bb.1857:
	global_load_ushort v3, v[20:21], off
.LBB23_1858:
	s_cbranch_execnz .LBB23_1878
.LBB23_1859:
	v_cmp_lt_i16_e64 s[6:7], s26, 2
	s_and_b64 vcc, exec, s[6:7]
	s_cbranch_vccnz .LBB23_1863
; %bb.1860:
	v_cmp_lt_i16_e64 s[6:7], s26, 3
	s_and_b64 vcc, exec, s[6:7]
	s_cbranch_vccnz .LBB23_1864
; %bb.1861:
	v_cmp_gt_i16_e64 s[6:7], s26, 3
	s_and_b64 vcc, exec, s[6:7]
	s_cbranch_vccz .LBB23_1865
; %bb.1862:
	global_load_dwordx2 v[22:23], v[20:21], off
	s_mov_b64 s[6:7], 0
	s_waitcnt vmcnt(0)
	v_xor_b32_e32 v5, v22, v23
	v_ffbh_i32_e32 v3, v23
	v_ashrrev_i32_e32 v5, 31, v5
	v_add_u32_e32 v3, -1, v3
	v_add_u32_e32 v5, 32, v5
	v_min_u32_e32 v3, v3, v5
	v_lshlrev_b64 v[22:23], v3, v[22:23]
	v_min_u32_e32 v5, 1, v22
	v_or_b32_e32 v5, v23, v5
	v_cvt_f32_i32_e32 v5, v5
	v_sub_u32_e32 v3, 32, v3
	v_ldexp_f32 v3, v5, v3
	v_cvt_f16_f32_e32 v3, v3
	s_branch .LBB23_1866
.LBB23_1863:
	s_mov_b64 s[6:7], -1
                                        ; implicit-def: $vgpr3
	s_branch .LBB23_1872
.LBB23_1864:
	s_mov_b64 s[6:7], -1
                                        ; implicit-def: $vgpr3
	s_branch .LBB23_1869
.LBB23_1865:
	s_mov_b64 s[6:7], -1
                                        ; implicit-def: $vgpr3
.LBB23_1866:
	s_andn2_b64 vcc, exec, s[6:7]
	s_cbranch_vccnz .LBB23_1868
; %bb.1867:
	global_load_dword v3, v[20:21], off
	s_waitcnt vmcnt(0)
	v_cvt_f32_i32_e32 v3, v3
	v_cvt_f16_f32_e32 v3, v3
.LBB23_1868:
	s_mov_b64 s[6:7], 0
.LBB23_1869:
	s_andn2_b64 vcc, exec, s[6:7]
	s_cbranch_vccnz .LBB23_1871
; %bb.1870:
	global_load_ushort v3, v[20:21], off
	s_waitcnt vmcnt(0)
	v_cvt_f16_i16_e32 v3, v3
.LBB23_1871:
	s_mov_b64 s[6:7], 0
.LBB23_1872:
	s_andn2_b64 vcc, exec, s[6:7]
	s_cbranch_vccnz .LBB23_1878
; %bb.1873:
	v_cmp_gt_i16_e64 s[6:7], s26, 0
	s_and_b64 vcc, exec, s[6:7]
	s_cbranch_vccz .LBB23_1875
; %bb.1874:
	global_load_sbyte v3, v[20:21], off
	s_mov_b64 s[6:7], 0
	s_waitcnt vmcnt(0)
	v_cvt_f16_i16_e32 v3, v3
	s_branch .LBB23_1876
.LBB23_1875:
	s_mov_b64 s[6:7], -1
                                        ; implicit-def: $vgpr3
.LBB23_1876:
	s_andn2_b64 vcc, exec, s[6:7]
	s_cbranch_vccnz .LBB23_1878
; %bb.1877:
	global_load_ubyte v3, v[20:21], off
	s_waitcnt vmcnt(0)
	v_cvt_f16_u16_e32 v3, v3
.LBB23_1878:
.LBB23_1879:
	v_mov_b32_e32 v5, s11
	v_add_co_u32_e32 v18, vcc, s10, v18
	v_addc_co_u32_e32 v19, vcc, 0, v5, vcc
	v_mov_b32_e32 v5, 11
	v_cmp_lt_i16_sdwa s[6:7], s25, v5 src0_sel:BYTE_0 src1_sel:DWORD
	s_and_b64 vcc, exec, s[6:7]
	s_cbranch_vccnz .LBB23_1886
; %bb.1880:
	v_mov_b32_e32 v5, 25
	v_cmp_gt_i16_sdwa s[6:7], s25, v5 src0_sel:BYTE_0 src1_sel:DWORD
	s_mov_b64 s[16:17], 0
	s_and_b64 vcc, exec, s[6:7]
	s_cbranch_vccz .LBB23_1888
; %bb.1881:
	v_mov_b32_e32 v5, 28
	v_cmp_gt_i16_sdwa s[6:7], s25, v5 src0_sel:BYTE_0 src1_sel:DWORD
	s_and_b64 vcc, exec, s[6:7]
	s_cbranch_vccz .LBB23_1889
; %bb.1882:
	v_mov_b32_e32 v5, 43
	v_cmp_gt_i16_sdwa s[6:7], s25, v5 src0_sel:BYTE_0 src1_sel:DWORD
	;; [unrolled: 5-line block ×3, first 2 shown]
	s_and_b64 vcc, exec, s[6:7]
	s_cbranch_vccz .LBB23_1892
; %bb.1884:
	v_mov_b32_e32 v5, 46
	v_cmp_eq_u16_sdwa s[6:7], s25, v5 src0_sel:BYTE_0 src1_sel:DWORD
	s_mov_b64 s[20:21], 0
	s_and_b64 vcc, exec, s[6:7]
	s_cbranch_vccz .LBB23_1893
; %bb.1885:
	global_load_dword v5, v[18:19], off
	s_mov_b64 s[6:7], 0
	s_mov_b64 s[18:19], -1
	s_waitcnt vmcnt(0)
	v_lshlrev_b32_e32 v5, 16, v5
	v_cvt_f16_f32_e32 v5, v5
	s_branch .LBB23_1894
.LBB23_1886:
	s_mov_b64 s[18:19], 0
                                        ; implicit-def: $vgpr5
	s_cbranch_execnz .LBB23_1960
.LBB23_1887:
	s_andn2_b64 vcc, exec, s[18:19]
	s_cbranch_vccnz .LBB23_3113
	s_branch .LBB23_2008
.LBB23_1888:
	s_mov_b64 s[20:21], -1
	s_mov_b64 s[18:19], 0
	s_mov_b64 s[6:7], 0
                                        ; implicit-def: $vgpr5
	s_branch .LBB23_1923
.LBB23_1889:
	s_mov_b64 s[20:21], -1
	s_mov_b64 s[18:19], 0
	s_mov_b64 s[6:7], 0
                                        ; implicit-def: $vgpr5
	s_branch .LBB23_1904
.LBB23_1890:
	s_mov_b64 s[20:21], -1
	s_mov_b64 s[18:19], 0
	s_mov_b64 s[6:7], 0
                                        ; implicit-def: $vgpr5
	s_branch .LBB23_1899
.LBB23_1891:
	s_trap 2
	s_or_b64 s[4:5], s[4:5], exec
                                        ; implicit-def: $vgpr3
	s_cbranch_execz .LBB23_1830
	s_branch .LBB23_1831
.LBB23_1892:
	s_mov_b64 s[20:21], -1
	s_mov_b64 s[18:19], 0
	s_mov_b64 s[6:7], 0
                                        ; implicit-def: $vgpr5
	s_branch .LBB23_1894
.LBB23_1893:
	s_mov_b64 s[6:7], -1
                                        ; implicit-def: $vgpr5
	s_mov_b64 s[18:19], 0
.LBB23_1894:
	s_and_b64 vcc, exec, s[20:21]
	s_cbranch_vccz .LBB23_1898
; %bb.1895:
	v_mov_b32_e32 v5, 44
	v_cmp_eq_u16_sdwa s[6:7], s25, v5 src0_sel:BYTE_0 src1_sel:DWORD
	s_and_b64 vcc, exec, s[6:7]
	s_cbranch_vccz .LBB23_1897
; %bb.1896:
	global_load_ubyte v5, v[18:19], off
	s_movk_i32 s18, 0xff
	v_mov_b32_e32 v9, 0x7e00
	s_mov_b64 s[6:7], 0
	s_waitcnt vmcnt(0)
	v_lshlrev_b32_e32 v7, 23, v5
	v_cvt_f16_f32_e32 v7, v7
	v_cmp_ne_u32_e32 vcc, s18, v5
	s_mov_b64 s[18:19], -1
	v_cndmask_b32_e32 v7, v9, v7, vcc
	v_cmp_ne_u32_e32 vcc, 0, v5
	v_cndmask_b32_e32 v5, 0, v7, vcc
	s_branch .LBB23_1898
.LBB23_1897:
	s_mov_b64 s[6:7], -1
                                        ; implicit-def: $vgpr5
.LBB23_1898:
	s_mov_b64 s[20:21], 0
.LBB23_1899:
	s_and_b64 vcc, exec, s[20:21]
	s_cbranch_vccz .LBB23_1903
; %bb.1900:
	v_mov_b32_e32 v5, 29
	v_cmp_eq_u16_sdwa s[6:7], s25, v5 src0_sel:BYTE_0 src1_sel:DWORD
	s_and_b64 vcc, exec, s[6:7]
	s_cbranch_vccz .LBB23_1902
; %bb.1901:
	global_load_dwordx2 v[20:21], v[18:19], off
	s_mov_b64 s[6:7], 0
	s_mov_b64 s[18:19], -1
	s_mov_b64 s[20:21], 0
	s_waitcnt vmcnt(0)
	v_ffbh_u32_e32 v5, v21
	v_min_u32_e32 v5, 32, v5
	v_lshlrev_b64 v[20:21], v5, v[20:21]
	v_min_u32_e32 v7, 1, v20
	v_or_b32_e32 v7, v21, v7
	v_cvt_f32_u32_e32 v7, v7
	v_sub_u32_e32 v5, 32, v5
	v_ldexp_f32 v5, v7, v5
	v_cvt_f16_f32_e32 v5, v5
	s_branch .LBB23_1904
.LBB23_1902:
	s_mov_b64 s[6:7], -1
                                        ; implicit-def: $vgpr5
.LBB23_1903:
	s_mov_b64 s[20:21], 0
.LBB23_1904:
	s_and_b64 vcc, exec, s[20:21]
	s_cbranch_vccz .LBB23_1922
; %bb.1905:
	v_mov_b32_e32 v5, 27
	v_cmp_lt_i16_sdwa s[18:19], s25, v5 src0_sel:BYTE_0 src1_sel:DWORD
	s_and_b64 vcc, exec, s[18:19]
	s_cbranch_vccnz .LBB23_1908
; %bb.1906:
	v_cmp_gt_i16_sdwa s[18:19], s25, v5 src0_sel:BYTE_0 src1_sel:DWORD
	s_and_b64 vcc, exec, s[18:19]
	s_cbranch_vccz .LBB23_1909
; %bb.1907:
	global_load_dword v5, v[18:19], off
	s_mov_b64 s[18:19], 0
	s_waitcnt vmcnt(0)
	v_cvt_f32_u32_e32 v5, v5
	v_cvt_f16_f32_e32 v5, v5
	s_branch .LBB23_1910
.LBB23_1908:
	s_mov_b64 s[18:19], -1
                                        ; implicit-def: $vgpr5
	s_branch .LBB23_1913
.LBB23_1909:
	s_mov_b64 s[18:19], -1
                                        ; implicit-def: $vgpr5
.LBB23_1910:
	s_andn2_b64 vcc, exec, s[18:19]
	s_cbranch_vccnz .LBB23_1912
; %bb.1911:
	global_load_ushort v5, v[18:19], off
	s_waitcnt vmcnt(0)
	v_cvt_f16_u16_e32 v5, v5
.LBB23_1912:
	s_mov_b64 s[18:19], 0
.LBB23_1913:
	s_andn2_b64 vcc, exec, s[18:19]
	s_cbranch_vccnz .LBB23_1921
; %bb.1914:
	global_load_ubyte v7, v[18:19], off
	s_movk_i32 s18, 0x7f
                                        ; implicit-def: $sgpr27
	s_waitcnt vmcnt(0)
	v_cmp_lt_i16_e32 vcc, s18, v7
	s_mov_b64 s[18:19], 0
	s_and_saveexec_b64 s[20:21], vcc
	s_xor_b64 s[20:21], exec, s[20:21]
	s_cbranch_execz .LBB23_1935
; %bb.1915:
	s_movk_i32 s18, 0x80
	v_cmp_eq_u16_e32 vcc, s18, v7
	s_mov_b64 s[18:19], -1
                                        ; implicit-def: $sgpr27
	s_and_saveexec_b64 s[22:23], vcc
; %bb.1916:
	s_movk_i32 s27, 0x7e00
	s_xor_b64 s[18:19], exec, -1
; %bb.1917:
	s_or_b64 exec, exec, s[22:23]
	s_and_b64 s[18:19], s[18:19], exec
	s_or_saveexec_b64 s[20:21], s[20:21]
	v_mov_b32_e32 v5, s27
	s_xor_b64 exec, exec, s[20:21]
	s_cbranch_execnz .LBB23_1936
.LBB23_1918:
	s_or_b64 exec, exec, s[20:21]
	s_and_saveexec_b64 s[20:21], s[18:19]
	s_cbranch_execz .LBB23_1920
.LBB23_1919:
	v_lshlrev_b32_e32 v5, 24, v7
	v_and_b32_e32 v7, 0xffff, v7
	v_and_b32_e32 v9, 7, v7
	v_ffbh_u32_e32 v13, v9
	v_min_u32_e32 v13, 32, v13
	v_subrev_u32_e32 v15, 28, v13
	v_bfe_u32 v11, v7, 3, 4
	v_lshlrev_b32_e32 v7, v15, v7
	v_sub_u32_e32 v13, 29, v13
	v_and_b32_e32 v7, 7, v7
	v_cmp_eq_u32_e32 vcc, 0, v11
	v_cndmask_b32_e32 v11, v11, v13, vcc
	v_cndmask_b32_e32 v7, v9, v7, vcc
	v_mov_b32_e32 v9, 0x3b800000
	v_lshlrev_b32_e32 v7, 20, v7
	v_and_b32_e32 v5, 0x80000000, v5
	v_lshl_add_u32 v9, v11, 23, v9
	v_or3_b32 v5, v5, v9, v7
	v_cvt_f16_f32_e32 v5, v5
.LBB23_1920:
	s_or_b64 exec, exec, s[20:21]
.LBB23_1921:
	s_mov_b64 s[18:19], -1
.LBB23_1922:
	s_mov_b64 s[20:21], 0
.LBB23_1923:
	s_and_b64 vcc, exec, s[20:21]
	s_cbranch_vccz .LBB23_1956
; %bb.1924:
	v_mov_b32_e32 v5, 22
	v_cmp_gt_i16_sdwa s[16:17], s25, v5 src0_sel:BYTE_0 src1_sel:DWORD
	s_and_b64 vcc, exec, s[16:17]
	s_cbranch_vccz .LBB23_1934
; %bb.1925:
	v_mov_b32_e32 v5, 24
	v_cmp_lt_i16_sdwa s[16:17], s25, v5 src0_sel:BYTE_0 src1_sel:DWORD
	s_and_b64 vcc, exec, s[16:17]
	s_cbranch_vccnz .LBB23_1937
; %bb.1926:
	v_cmp_gt_i16_sdwa s[16:17], s25, v5 src0_sel:BYTE_0 src1_sel:DWORD
	s_and_b64 vcc, exec, s[16:17]
	s_cbranch_vccz .LBB23_1938
; %bb.1927:
	global_load_ubyte v7, v[18:19], off
	s_movk_i32 s16, 0x7f
                                        ; implicit-def: $sgpr22
	s_waitcnt vmcnt(0)
	v_cmp_lt_i16_e32 vcc, s16, v7
	s_mov_b64 s[16:17], 0
	s_and_saveexec_b64 s[18:19], vcc
	s_xor_b64 s[18:19], exec, s[18:19]
	s_cbranch_execz .LBB23_1950
; %bb.1928:
	s_movk_i32 s16, 0x80
	v_cmp_eq_u16_e32 vcc, s16, v7
	s_mov_b64 s[16:17], -1
                                        ; implicit-def: $sgpr22
	s_and_saveexec_b64 s[20:21], vcc
; %bb.1929:
	s_movk_i32 s22, 0x7e00
	s_xor_b64 s[16:17], exec, -1
; %bb.1930:
	s_or_b64 exec, exec, s[20:21]
	s_and_b64 s[16:17], s[16:17], exec
	s_or_saveexec_b64 s[18:19], s[18:19]
	v_mov_b32_e32 v5, s22
	s_xor_b64 exec, exec, s[18:19]
	s_cbranch_execnz .LBB23_1951
.LBB23_1931:
	s_or_b64 exec, exec, s[18:19]
	s_and_saveexec_b64 s[18:19], s[16:17]
	s_cbranch_execz .LBB23_1933
.LBB23_1932:
	v_lshlrev_b32_e32 v5, 24, v7
	v_and_b32_e32 v7, 0xffff, v7
	v_and_b32_e32 v9, 3, v7
	v_ffbh_u32_e32 v13, v9
	v_min_u32_e32 v13, 32, v13
	v_subrev_u32_e32 v15, 29, v13
	v_bfe_u32 v11, v7, 2, 5
	v_lshlrev_b32_e32 v7, v15, v7
	v_sub_u32_e32 v13, 30, v13
	v_and_b32_e32 v7, 3, v7
	v_cmp_eq_u32_e32 vcc, 0, v11
	v_cndmask_b32_e32 v11, v11, v13, vcc
	v_cndmask_b32_e32 v7, v9, v7, vcc
	v_mov_b32_e32 v9, 0x37800000
	v_lshlrev_b32_e32 v7, 21, v7
	v_and_b32_e32 v5, 0x80000000, v5
	v_lshl_add_u32 v9, v11, 23, v9
	v_or3_b32 v5, v5, v9, v7
	v_cvt_f16_f32_e32 v5, v5
.LBB23_1933:
	s_or_b64 exec, exec, s[18:19]
	s_mov_b64 s[16:17], 0
	s_branch .LBB23_1939
.LBB23_1934:
	s_mov_b64 s[16:17], -1
                                        ; implicit-def: $vgpr5
	s_branch .LBB23_1945
.LBB23_1935:
	s_or_saveexec_b64 s[20:21], s[20:21]
	v_mov_b32_e32 v5, s27
	s_xor_b64 exec, exec, s[20:21]
	s_cbranch_execz .LBB23_1918
.LBB23_1936:
	v_cmp_ne_u16_e32 vcc, 0, v7
	s_andn2_b64 s[18:19], s[18:19], exec
	s_and_b64 s[22:23], vcc, exec
	s_or_b64 s[18:19], s[18:19], s[22:23]
	v_mov_b32_e32 v5, v7
	s_or_b64 exec, exec, s[20:21]
	s_and_saveexec_b64 s[20:21], s[18:19]
	s_cbranch_execnz .LBB23_1919
	s_branch .LBB23_1920
.LBB23_1937:
	s_mov_b64 s[16:17], -1
                                        ; implicit-def: $vgpr5
	s_branch .LBB23_1942
.LBB23_1938:
	s_mov_b64 s[16:17], -1
                                        ; implicit-def: $vgpr5
.LBB23_1939:
	s_and_b64 vcc, exec, s[16:17]
	s_cbranch_vccz .LBB23_1941
; %bb.1940:
	global_load_ubyte v5, v[18:19], off
	s_mov_b32 s16, 0x7f800000
	s_waitcnt vmcnt(0)
	v_lshlrev_b32_e32 v5, 24, v5
	v_and_b32_e32 v7, 0x7f000000, v5
	v_ffbh_u32_e32 v9, v7
	v_min_u32_e32 v9, 32, v9
	v_sub_u32_e64 v9, v9, 4 clamp
	v_lshlrev_b32_e32 v13, v9, v7
	v_lshlrev_b32_e32 v9, 23, v9
	v_lshrrev_b32_e32 v13, 4, v13
	v_add_u32_e32 v11, 0x1000000, v7
	v_sub_u32_e32 v9, v13, v9
	v_ashrrev_i32_e32 v11, 8, v11
	v_add_u32_e32 v9, 0x3c000000, v9
	v_and_or_b32 v9, v11, s16, v9
	v_cmp_ne_u32_e32 vcc, 0, v7
	v_cndmask_b32_e32 v7, 0, v9, vcc
	s_brev_b32 s16, 1
	v_and_or_b32 v5, v5, s16, v7
	v_cvt_f16_f32_e32 v5, v5
.LBB23_1941:
	s_mov_b64 s[16:17], 0
.LBB23_1942:
	s_andn2_b64 vcc, exec, s[16:17]
	s_cbranch_vccnz .LBB23_1944
; %bb.1943:
	global_load_ubyte v5, v[18:19], off
	s_movk_i32 s16, 0x7f00
	s_brev_b32 s17, 16
	s_waitcnt vmcnt(0)
	v_lshlrev_b16_e32 v7, 8, v5
	v_lshlrev_b32_e32 v5, 25, v5
	v_lshrrev_b32_e32 v9, 4, v5
	v_and_or_b32 v11, v7, s16, 0.5
	v_or_b32_e32 v9, 0x70000000, v9
	v_add_f32_e32 v11, -0.5, v11
	v_mul_f32_e32 v9, 0x7800000, v9
	v_cmp_gt_u32_e32 vcc, s17, v5
	v_bfe_i32 v7, v7, 0, 16
	v_cndmask_b32_e32 v5, v9, v11, vcc
	s_brev_b32 s16, 1
	v_and_or_b32 v5, v7, s16, v5
	v_cvt_f16_f32_e32 v5, v5
.LBB23_1944:
	s_mov_b64 s[16:17], 0
	s_mov_b64 s[18:19], -1
.LBB23_1945:
	s_andn2_b64 vcc, exec, s[16:17]
	s_mov_b64 s[16:17], 0
	s_cbranch_vccnz .LBB23_1956
; %bb.1946:
	v_mov_b32_e32 v5, 14
	v_cmp_gt_i16_sdwa s[16:17], s25, v5 src0_sel:BYTE_0 src1_sel:DWORD
	s_and_b64 vcc, exec, s[16:17]
	s_cbranch_vccz .LBB23_1949
; %bb.1947:
	v_mov_b32_e32 v5, 15
	v_cmp_eq_u16_sdwa s[6:7], s25, v5 src0_sel:BYTE_0 src1_sel:DWORD
	s_and_b64 vcc, exec, s[6:7]
	s_cbranch_vccz .LBB23_1952
; %bb.1948:
	global_load_ushort v5, v[18:19], off
	s_mov_b64 s[6:7], 0
	s_mov_b64 s[18:19], -1
	s_waitcnt vmcnt(0)
	v_lshlrev_b32_e32 v5, 16, v5
	v_cvt_f16_f32_e32 v5, v5
	s_branch .LBB23_1953
.LBB23_1949:
	s_mov_b64 s[20:21], -1
                                        ; implicit-def: $vgpr5
	s_branch .LBB23_1954
.LBB23_1950:
	s_or_saveexec_b64 s[18:19], s[18:19]
	v_mov_b32_e32 v5, s22
	s_xor_b64 exec, exec, s[18:19]
	s_cbranch_execz .LBB23_1931
.LBB23_1951:
	v_cmp_ne_u16_e32 vcc, 0, v7
	s_andn2_b64 s[16:17], s[16:17], exec
	s_and_b64 s[20:21], vcc, exec
	s_or_b64 s[16:17], s[16:17], s[20:21]
	v_mov_b32_e32 v5, v7
	s_or_b64 exec, exec, s[18:19]
	s_and_saveexec_b64 s[18:19], s[16:17]
	s_cbranch_execnz .LBB23_1932
	s_branch .LBB23_1933
.LBB23_1952:
	s_mov_b64 s[6:7], -1
                                        ; implicit-def: $vgpr5
.LBB23_1953:
	s_mov_b64 s[20:21], 0
.LBB23_1954:
	s_mov_b64 s[16:17], 0
	s_and_b64 vcc, exec, s[20:21]
	s_cbranch_vccz .LBB23_1956
; %bb.1955:
	v_mov_b32_e32 v5, 11
	v_cmp_ne_u16_sdwa s[6:7], s25, v5 src0_sel:BYTE_0 src1_sel:DWORD
	s_mov_b64 s[16:17], -1
                                        ; implicit-def: $vgpr5
.LBB23_1956:
	s_and_b64 vcc, exec, s[6:7]
	s_cbranch_vccnz .LBB23_2019
; %bb.1957:
	s_andn2_b64 vcc, exec, s[16:17]
	s_cbranch_vccnz .LBB23_1959
.LBB23_1958:
	global_load_ubyte v5, v[18:19], off
	v_mov_b32_e32 v7, 0x3c00
	s_mov_b64 s[18:19], -1
	s_waitcnt vmcnt(0)
	v_cmp_ne_u16_e32 vcc, 0, v5
	v_cndmask_b32_e32 v5, 0, v7, vcc
.LBB23_1959:
	s_branch .LBB23_1887
.LBB23_1960:
	v_mov_b32_e32 v5, 5
	v_cmp_lt_i16_sdwa s[6:7], s25, v5 src0_sel:BYTE_0 src1_sel:DWORD
	s_and_b64 vcc, exec, s[6:7]
	s_cbranch_vccnz .LBB23_1965
; %bb.1961:
	v_mov_b32_e32 v5, 8
	v_cmp_lt_i16_sdwa s[6:7], s25, v5 src0_sel:BYTE_0 src1_sel:DWORD
	s_and_b64 vcc, exec, s[6:7]
	s_cbranch_vccnz .LBB23_1966
; %bb.1962:
	;; [unrolled: 5-line block ×3, first 2 shown]
	v_cmp_gt_i16_sdwa s[6:7], s25, v5 src0_sel:BYTE_0 src1_sel:DWORD
	s_and_b64 vcc, exec, s[6:7]
	s_cbranch_vccz .LBB23_1968
; %bb.1964:
	global_load_dwordx2 v[20:21], v[18:19], off
	s_mov_b64 s[6:7], 0
	s_waitcnt vmcnt(0)
	v_cvt_f32_f64_e32 v5, v[20:21]
	v_cvt_f16_f32_e32 v5, v5
	s_branch .LBB23_1969
.LBB23_1965:
	s_mov_b64 s[6:7], -1
                                        ; implicit-def: $vgpr5
	s_branch .LBB23_1987
.LBB23_1966:
	s_mov_b64 s[6:7], -1
                                        ; implicit-def: $vgpr5
	s_branch .LBB23_1975
.LBB23_1967:
	s_mov_b64 s[6:7], -1
                                        ; implicit-def: $vgpr5
	s_branch .LBB23_1972
.LBB23_1968:
	s_mov_b64 s[6:7], -1
                                        ; implicit-def: $vgpr5
.LBB23_1969:
	s_andn2_b64 vcc, exec, s[6:7]
	s_cbranch_vccnz .LBB23_1971
; %bb.1970:
	global_load_dword v5, v[18:19], off
	s_waitcnt vmcnt(0)
	v_cvt_f16_f32_e32 v5, v5
.LBB23_1971:
	s_mov_b64 s[6:7], 0
.LBB23_1972:
	s_andn2_b64 vcc, exec, s[6:7]
	s_cbranch_vccnz .LBB23_1974
; %bb.1973:
	global_load_dword v5, v[18:19], off
.LBB23_1974:
	s_mov_b64 s[6:7], 0
.LBB23_1975:
	s_andn2_b64 vcc, exec, s[6:7]
	s_cbranch_vccnz .LBB23_1986
; %bb.1976:
	s_waitcnt vmcnt(0)
	v_mov_b32_e32 v5, 6
	v_cmp_lt_i16_sdwa s[6:7], s25, v5 src0_sel:BYTE_0 src1_sel:DWORD
	s_and_b64 vcc, exec, s[6:7]
	s_cbranch_vccnz .LBB23_1979
; %bb.1977:
	v_cmp_gt_i16_sdwa s[6:7], s25, v5 src0_sel:BYTE_0 src1_sel:DWORD
	s_and_b64 vcc, exec, s[6:7]
	s_cbranch_vccz .LBB23_1980
; %bb.1978:
	global_load_dwordx2 v[20:21], v[18:19], off
	s_mov_b64 s[6:7], 0
	s_waitcnt vmcnt(0)
	v_cvt_f32_f64_e32 v5, v[20:21]
	v_cvt_f16_f32_e32 v5, v5
	s_branch .LBB23_1981
.LBB23_1979:
	s_mov_b64 s[6:7], -1
                                        ; implicit-def: $vgpr5
	s_branch .LBB23_1984
.LBB23_1980:
	s_mov_b64 s[6:7], -1
                                        ; implicit-def: $vgpr5
.LBB23_1981:
	s_andn2_b64 vcc, exec, s[6:7]
	s_cbranch_vccnz .LBB23_1983
; %bb.1982:
	global_load_dword v5, v[18:19], off
	s_waitcnt vmcnt(0)
	v_cvt_f16_f32_e32 v5, v5
.LBB23_1983:
	s_mov_b64 s[6:7], 0
.LBB23_1984:
	s_andn2_b64 vcc, exec, s[6:7]
	s_cbranch_vccnz .LBB23_1986
; %bb.1985:
	global_load_ushort v5, v[18:19], off
.LBB23_1986:
	s_mov_b64 s[6:7], 0
.LBB23_1987:
	s_andn2_b64 vcc, exec, s[6:7]
	s_cbranch_vccnz .LBB23_2007
; %bb.1988:
	s_waitcnt vmcnt(0)
	v_mov_b32_e32 v5, 2
	v_cmp_lt_i16_sdwa s[6:7], s25, v5 src0_sel:BYTE_0 src1_sel:DWORD
	s_and_b64 vcc, exec, s[6:7]
	s_cbranch_vccnz .LBB23_1992
; %bb.1989:
	v_mov_b32_e32 v5, 3
	v_cmp_lt_i16_sdwa s[6:7], s25, v5 src0_sel:BYTE_0 src1_sel:DWORD
	s_and_b64 vcc, exec, s[6:7]
	s_cbranch_vccnz .LBB23_1993
; %bb.1990:
	v_cmp_gt_i16_sdwa s[6:7], s25, v5 src0_sel:BYTE_0 src1_sel:DWORD
	s_and_b64 vcc, exec, s[6:7]
	s_cbranch_vccz .LBB23_1994
; %bb.1991:
	global_load_dwordx2 v[20:21], v[18:19], off
	s_mov_b64 s[6:7], 0
	s_waitcnt vmcnt(0)
	v_xor_b32_e32 v7, v20, v21
	v_ffbh_i32_e32 v5, v21
	v_ashrrev_i32_e32 v7, 31, v7
	v_add_u32_e32 v5, -1, v5
	v_add_u32_e32 v7, 32, v7
	v_min_u32_e32 v5, v5, v7
	v_lshlrev_b64 v[20:21], v5, v[20:21]
	v_min_u32_e32 v7, 1, v20
	v_or_b32_e32 v7, v21, v7
	v_cvt_f32_i32_e32 v7, v7
	v_sub_u32_e32 v5, 32, v5
	v_ldexp_f32 v5, v7, v5
	v_cvt_f16_f32_e32 v5, v5
	s_branch .LBB23_1995
.LBB23_1992:
	s_mov_b64 s[6:7], -1
                                        ; implicit-def: $vgpr5
	s_branch .LBB23_2001
.LBB23_1993:
	s_mov_b64 s[6:7], -1
                                        ; implicit-def: $vgpr5
	s_branch .LBB23_1998
.LBB23_1994:
	s_mov_b64 s[6:7], -1
                                        ; implicit-def: $vgpr5
.LBB23_1995:
	s_andn2_b64 vcc, exec, s[6:7]
	s_cbranch_vccnz .LBB23_1997
; %bb.1996:
	global_load_dword v5, v[18:19], off
	s_waitcnt vmcnt(0)
	v_cvt_f32_i32_e32 v5, v5
	v_cvt_f16_f32_e32 v5, v5
.LBB23_1997:
	s_mov_b64 s[6:7], 0
.LBB23_1998:
	s_andn2_b64 vcc, exec, s[6:7]
	s_cbranch_vccnz .LBB23_2000
; %bb.1999:
	global_load_ushort v5, v[18:19], off
	s_waitcnt vmcnt(0)
	v_cvt_f16_i16_e32 v5, v5
.LBB23_2000:
	s_mov_b64 s[6:7], 0
.LBB23_2001:
	s_andn2_b64 vcc, exec, s[6:7]
	s_cbranch_vccnz .LBB23_2007
; %bb.2002:
	v_mov_b32_e32 v5, 0
	v_cmp_gt_i16_sdwa s[6:7], s25, v5 src0_sel:BYTE_0 src1_sel:DWORD
	s_and_b64 vcc, exec, s[6:7]
	s_cbranch_vccz .LBB23_2004
; %bb.2003:
	global_load_sbyte v5, v[18:19], off
	s_mov_b64 s[6:7], 0
	s_waitcnt vmcnt(0)
	v_cvt_f16_i16_e32 v5, v5
	s_branch .LBB23_2005
.LBB23_2004:
	s_mov_b64 s[6:7], -1
                                        ; implicit-def: $vgpr5
.LBB23_2005:
	s_andn2_b64 vcc, exec, s[6:7]
	s_cbranch_vccnz .LBB23_2007
; %bb.2006:
	global_load_ubyte v5, v[18:19], off
	s_waitcnt vmcnt(0)
	v_cvt_f16_u16_e32 v5, v5
.LBB23_2007:
.LBB23_2008:
	v_mov_b32_e32 v7, s1
	v_add_co_u32_e32 v16, vcc, s0, v16
	v_addc_co_u32_e32 v17, vcc, 0, v7, vcc
	s_and_b64 vcc, exec, s[2:3]
	s_cbranch_vccnz .LBB23_2015
; %bb.2009:
	v_cmp_gt_i16_e64 s[6:7], s26, 25
	s_mov_b64 s[16:17], 0
	s_and_b64 vcc, exec, s[6:7]
	s_cbranch_vccz .LBB23_2016
; %bb.2010:
	v_cmp_gt_i16_e64 s[6:7], s26, 28
	s_and_b64 vcc, exec, s[6:7]
	s_cbranch_vccz .LBB23_2017
; %bb.2011:
	v_cmp_gt_i16_e64 s[6:7], s26, 43
	s_and_b64 vcc, exec, s[6:7]
	s_cbranch_vccz .LBB23_2018
; %bb.2012:
	v_cmp_gt_i16_e64 s[6:7], s26, 45
	s_and_b64 vcc, exec, s[6:7]
	s_cbranch_vccz .LBB23_2020
; %bb.2013:
	v_cmp_eq_u16_e64 s[6:7], s26, 46
	s_mov_b64 s[20:21], 0
	s_and_b64 vcc, exec, s[6:7]
	s_cbranch_vccz .LBB23_2021
; %bb.2014:
	global_load_dword v7, v[16:17], off
	s_mov_b64 s[6:7], 0
	s_mov_b64 s[18:19], -1
	s_waitcnt vmcnt(0)
	v_lshlrev_b32_e32 v7, 16, v7
	v_cvt_f16_f32_e32 v18, v7
	s_branch .LBB23_2022
.LBB23_2015:
	s_mov_b64 s[6:7], -1
	s_mov_b64 s[18:19], 0
                                        ; implicit-def: $vgpr18
	s_branch .LBB23_2088
.LBB23_2016:
	s_mov_b64 s[20:21], -1
	s_mov_b64 s[18:19], 0
	s_mov_b64 s[6:7], 0
                                        ; implicit-def: $vgpr18
	s_branch .LBB23_2051
.LBB23_2017:
	s_mov_b64 s[20:21], -1
	s_mov_b64 s[18:19], 0
	s_mov_b64 s[6:7], 0
                                        ; implicit-def: $vgpr18
	s_branch .LBB23_2032
.LBB23_2018:
	s_mov_b64 s[20:21], -1
	s_mov_b64 s[18:19], 0
	s_mov_b64 s[6:7], 0
                                        ; implicit-def: $vgpr18
	s_branch .LBB23_2027
.LBB23_2019:
	s_trap 2
	s_or_b64 s[4:5], s[4:5], exec
                                        ; implicit-def: $vgpr5
	s_cbranch_execz .LBB23_1958
	s_branch .LBB23_1959
.LBB23_2020:
	s_mov_b64 s[20:21], -1
	s_mov_b64 s[18:19], 0
	s_mov_b64 s[6:7], 0
                                        ; implicit-def: $vgpr18
	s_branch .LBB23_2022
.LBB23_2021:
	s_mov_b64 s[6:7], -1
                                        ; implicit-def: $vgpr18
	s_mov_b64 s[18:19], 0
.LBB23_2022:
	s_and_b64 vcc, exec, s[20:21]
	s_cbranch_vccz .LBB23_2026
; %bb.2023:
	v_cmp_eq_u16_e64 s[6:7], s26, 44
	s_and_b64 vcc, exec, s[6:7]
	s_cbranch_vccz .LBB23_2025
; %bb.2024:
	global_load_ubyte v7, v[16:17], off
	s_movk_i32 s18, 0xff
	v_mov_b32_e32 v11, 0x7e00
	s_mov_b64 s[6:7], 0
	s_waitcnt vmcnt(0)
	v_lshlrev_b32_e32 v9, 23, v7
	v_cvt_f16_f32_e32 v9, v9
	v_cmp_ne_u32_e32 vcc, s18, v7
	s_mov_b64 s[18:19], -1
	v_cndmask_b32_e32 v9, v11, v9, vcc
	v_cmp_ne_u32_e32 vcc, 0, v7
	v_cndmask_b32_e32 v18, 0, v9, vcc
	s_branch .LBB23_2026
.LBB23_2025:
	s_mov_b64 s[6:7], -1
                                        ; implicit-def: $vgpr18
.LBB23_2026:
	s_mov_b64 s[20:21], 0
.LBB23_2027:
	s_and_b64 vcc, exec, s[20:21]
	s_cbranch_vccz .LBB23_2031
; %bb.2028:
	v_cmp_eq_u16_e64 s[6:7], s26, 29
	s_and_b64 vcc, exec, s[6:7]
	s_cbranch_vccz .LBB23_2030
; %bb.2029:
	global_load_dwordx2 v[18:19], v[16:17], off
	s_mov_b64 s[6:7], 0
	s_mov_b64 s[18:19], -1
	s_mov_b64 s[20:21], 0
	s_waitcnt vmcnt(0)
	v_ffbh_u32_e32 v7, v19
	v_min_u32_e32 v7, 32, v7
	v_lshlrev_b64 v[18:19], v7, v[18:19]
	v_min_u32_e32 v9, 1, v18
	v_or_b32_e32 v9, v19, v9
	v_cvt_f32_u32_e32 v9, v9
	v_sub_u32_e32 v7, 32, v7
	v_ldexp_f32 v7, v9, v7
	v_cvt_f16_f32_e32 v18, v7
	s_branch .LBB23_2032
.LBB23_2030:
	s_mov_b64 s[6:7], -1
                                        ; implicit-def: $vgpr18
.LBB23_2031:
	s_mov_b64 s[20:21], 0
.LBB23_2032:
	s_and_b64 vcc, exec, s[20:21]
	s_cbranch_vccz .LBB23_2050
; %bb.2033:
	v_cmp_lt_i16_e64 s[18:19], s26, 27
	s_and_b64 vcc, exec, s[18:19]
	s_cbranch_vccnz .LBB23_2036
; %bb.2034:
	v_cmp_gt_i16_e64 s[18:19], s26, 27
	s_and_b64 vcc, exec, s[18:19]
	s_cbranch_vccz .LBB23_2037
; %bb.2035:
	global_load_dword v7, v[16:17], off
	s_mov_b64 s[18:19], 0
	s_waitcnt vmcnt(0)
	v_cvt_f32_u32_e32 v7, v7
	v_cvt_f16_f32_e32 v18, v7
	s_branch .LBB23_2038
.LBB23_2036:
	s_mov_b64 s[18:19], -1
                                        ; implicit-def: $vgpr18
	s_branch .LBB23_2041
.LBB23_2037:
	s_mov_b64 s[18:19], -1
                                        ; implicit-def: $vgpr18
.LBB23_2038:
	s_andn2_b64 vcc, exec, s[18:19]
	s_cbranch_vccnz .LBB23_2040
; %bb.2039:
	global_load_ushort v7, v[16:17], off
	s_waitcnt vmcnt(0)
	v_cvt_f16_u16_e32 v18, v7
.LBB23_2040:
	s_mov_b64 s[18:19], 0
.LBB23_2041:
	s_andn2_b64 vcc, exec, s[18:19]
	s_cbranch_vccnz .LBB23_2049
; %bb.2042:
	global_load_ubyte v7, v[16:17], off
	s_movk_i32 s18, 0x7f
                                        ; implicit-def: $sgpr27
	s_waitcnt vmcnt(0)
	v_cmp_lt_i16_e32 vcc, s18, v7
	s_mov_b64 s[18:19], 0
	s_and_saveexec_b64 s[20:21], vcc
	s_xor_b64 s[20:21], exec, s[20:21]
	s_cbranch_execz .LBB23_2063
; %bb.2043:
	s_movk_i32 s18, 0x80
	v_cmp_eq_u16_e32 vcc, s18, v7
	s_mov_b64 s[18:19], -1
                                        ; implicit-def: $sgpr27
	s_and_saveexec_b64 s[22:23], vcc
; %bb.2044:
	s_movk_i32 s27, 0x7e00
	s_xor_b64 s[18:19], exec, -1
; %bb.2045:
	s_or_b64 exec, exec, s[22:23]
	s_and_b64 s[18:19], s[18:19], exec
	s_or_saveexec_b64 s[20:21], s[20:21]
	v_mov_b32_e32 v18, s27
	s_xor_b64 exec, exec, s[20:21]
	s_cbranch_execnz .LBB23_2064
.LBB23_2046:
	s_or_b64 exec, exec, s[20:21]
	s_and_saveexec_b64 s[20:21], s[18:19]
	s_cbranch_execz .LBB23_2048
.LBB23_2047:
	v_lshlrev_b32_e32 v9, 24, v7
	v_and_b32_e32 v7, 0xffff, v7
	v_and_b32_e32 v11, 7, v7
	v_ffbh_u32_e32 v15, v11
	v_min_u32_e32 v15, 32, v15
	v_subrev_u32_e32 v18, 28, v15
	v_bfe_u32 v13, v7, 3, 4
	v_lshlrev_b32_e32 v7, v18, v7
	v_sub_u32_e32 v15, 29, v15
	v_and_b32_e32 v7, 7, v7
	v_cmp_eq_u32_e32 vcc, 0, v13
	v_cndmask_b32_e32 v13, v13, v15, vcc
	v_cndmask_b32_e32 v7, v11, v7, vcc
	v_mov_b32_e32 v11, 0x3b800000
	v_lshlrev_b32_e32 v7, 20, v7
	v_and_b32_e32 v9, 0x80000000, v9
	v_lshl_add_u32 v11, v13, 23, v11
	v_or3_b32 v7, v9, v11, v7
	v_cvt_f16_f32_e32 v18, v7
.LBB23_2048:
	s_or_b64 exec, exec, s[20:21]
.LBB23_2049:
	s_mov_b64 s[18:19], -1
.LBB23_2050:
	s_mov_b64 s[20:21], 0
.LBB23_2051:
	s_and_b64 vcc, exec, s[20:21]
	s_cbranch_vccz .LBB23_2084
; %bb.2052:
	v_cmp_gt_i16_e64 s[16:17], s26, 22
	s_and_b64 vcc, exec, s[16:17]
	s_cbranch_vccz .LBB23_2062
; %bb.2053:
	v_cmp_lt_i16_e64 s[16:17], s26, 24
	s_and_b64 vcc, exec, s[16:17]
	s_cbranch_vccnz .LBB23_2065
; %bb.2054:
	v_cmp_gt_i16_e64 s[16:17], s26, 24
	s_and_b64 vcc, exec, s[16:17]
	s_cbranch_vccz .LBB23_2066
; %bb.2055:
	global_load_ubyte v7, v[16:17], off
	s_movk_i32 s16, 0x7f
                                        ; implicit-def: $sgpr22
	s_waitcnt vmcnt(0)
	v_cmp_lt_i16_e32 vcc, s16, v7
	s_mov_b64 s[16:17], 0
	s_and_saveexec_b64 s[18:19], vcc
	s_xor_b64 s[18:19], exec, s[18:19]
	s_cbranch_execz .LBB23_2078
; %bb.2056:
	s_movk_i32 s16, 0x80
	v_cmp_eq_u16_e32 vcc, s16, v7
	s_mov_b64 s[16:17], -1
                                        ; implicit-def: $sgpr22
	s_and_saveexec_b64 s[20:21], vcc
; %bb.2057:
	s_movk_i32 s22, 0x7e00
	s_xor_b64 s[16:17], exec, -1
; %bb.2058:
	s_or_b64 exec, exec, s[20:21]
	s_and_b64 s[16:17], s[16:17], exec
	s_or_saveexec_b64 s[18:19], s[18:19]
	v_mov_b32_e32 v18, s22
	s_xor_b64 exec, exec, s[18:19]
	s_cbranch_execnz .LBB23_2079
.LBB23_2059:
	s_or_b64 exec, exec, s[18:19]
	s_and_saveexec_b64 s[18:19], s[16:17]
	s_cbranch_execz .LBB23_2061
.LBB23_2060:
	v_lshlrev_b32_e32 v9, 24, v7
	v_and_b32_e32 v7, 0xffff, v7
	v_and_b32_e32 v11, 3, v7
	v_ffbh_u32_e32 v15, v11
	v_min_u32_e32 v15, 32, v15
	v_subrev_u32_e32 v18, 29, v15
	v_bfe_u32 v13, v7, 2, 5
	v_lshlrev_b32_e32 v7, v18, v7
	v_sub_u32_e32 v15, 30, v15
	v_and_b32_e32 v7, 3, v7
	v_cmp_eq_u32_e32 vcc, 0, v13
	v_cndmask_b32_e32 v13, v13, v15, vcc
	v_cndmask_b32_e32 v7, v11, v7, vcc
	v_mov_b32_e32 v11, 0x37800000
	v_lshlrev_b32_e32 v7, 21, v7
	v_and_b32_e32 v9, 0x80000000, v9
	v_lshl_add_u32 v11, v13, 23, v11
	v_or3_b32 v7, v9, v11, v7
	v_cvt_f16_f32_e32 v18, v7
.LBB23_2061:
	s_or_b64 exec, exec, s[18:19]
	s_mov_b64 s[16:17], 0
	s_branch .LBB23_2067
.LBB23_2062:
	s_mov_b64 s[16:17], -1
                                        ; implicit-def: $vgpr18
	s_branch .LBB23_2073
.LBB23_2063:
	s_or_saveexec_b64 s[20:21], s[20:21]
	v_mov_b32_e32 v18, s27
	s_xor_b64 exec, exec, s[20:21]
	s_cbranch_execz .LBB23_2046
.LBB23_2064:
	v_cmp_ne_u16_e32 vcc, 0, v7
	s_andn2_b64 s[18:19], s[18:19], exec
	s_and_b64 s[22:23], vcc, exec
	s_or_b64 s[18:19], s[18:19], s[22:23]
	v_mov_b32_e32 v18, v7
	s_or_b64 exec, exec, s[20:21]
	s_and_saveexec_b64 s[20:21], s[18:19]
	s_cbranch_execnz .LBB23_2047
	s_branch .LBB23_2048
.LBB23_2065:
	s_mov_b64 s[16:17], -1
                                        ; implicit-def: $vgpr18
	s_branch .LBB23_2070
.LBB23_2066:
	s_mov_b64 s[16:17], -1
                                        ; implicit-def: $vgpr18
.LBB23_2067:
	s_and_b64 vcc, exec, s[16:17]
	s_cbranch_vccz .LBB23_2069
; %bb.2068:
	global_load_ubyte v7, v[16:17], off
	s_mov_b32 s16, 0x7f800000
	s_waitcnt vmcnt(0)
	v_lshlrev_b32_e32 v7, 24, v7
	v_and_b32_e32 v9, 0x7f000000, v7
	v_ffbh_u32_e32 v11, v9
	v_min_u32_e32 v11, 32, v11
	v_sub_u32_e64 v11, v11, 4 clamp
	v_lshlrev_b32_e32 v15, v11, v9
	v_lshlrev_b32_e32 v11, 23, v11
	v_lshrrev_b32_e32 v15, 4, v15
	v_add_u32_e32 v13, 0x1000000, v9
	v_sub_u32_e32 v11, v15, v11
	v_ashrrev_i32_e32 v13, 8, v13
	v_add_u32_e32 v11, 0x3c000000, v11
	v_and_or_b32 v11, v13, s16, v11
	v_cmp_ne_u32_e32 vcc, 0, v9
	v_cndmask_b32_e32 v9, 0, v11, vcc
	s_brev_b32 s16, 1
	v_and_or_b32 v7, v7, s16, v9
	v_cvt_f16_f32_e32 v18, v7
.LBB23_2069:
	s_mov_b64 s[16:17], 0
.LBB23_2070:
	s_andn2_b64 vcc, exec, s[16:17]
	s_cbranch_vccnz .LBB23_2072
; %bb.2071:
	global_load_ubyte v7, v[16:17], off
	s_movk_i32 s16, 0x7f00
	s_brev_b32 s17, 16
	s_waitcnt vmcnt(0)
	v_lshlrev_b16_e32 v9, 8, v7
	v_lshlrev_b32_e32 v7, 25, v7
	v_lshrrev_b32_e32 v11, 4, v7
	v_and_or_b32 v13, v9, s16, 0.5
	v_or_b32_e32 v11, 0x70000000, v11
	v_add_f32_e32 v13, -0.5, v13
	v_mul_f32_e32 v11, 0x7800000, v11
	v_cmp_gt_u32_e32 vcc, s17, v7
	v_bfe_i32 v9, v9, 0, 16
	v_cndmask_b32_e32 v7, v11, v13, vcc
	s_brev_b32 s16, 1
	v_and_or_b32 v7, v9, s16, v7
	v_cvt_f16_f32_e32 v18, v7
.LBB23_2072:
	s_mov_b64 s[16:17], 0
	s_mov_b64 s[18:19], -1
.LBB23_2073:
	s_andn2_b64 vcc, exec, s[16:17]
	s_mov_b64 s[16:17], 0
	s_cbranch_vccnz .LBB23_2084
; %bb.2074:
	v_cmp_gt_i16_e64 s[16:17], s26, 14
	s_and_b64 vcc, exec, s[16:17]
	s_cbranch_vccz .LBB23_2077
; %bb.2075:
	v_cmp_eq_u16_e64 s[6:7], s26, 15
	s_and_b64 vcc, exec, s[6:7]
	s_cbranch_vccz .LBB23_2080
; %bb.2076:
	global_load_ushort v7, v[16:17], off
	s_mov_b64 s[6:7], 0
	s_mov_b64 s[18:19], -1
	s_waitcnt vmcnt(0)
	v_lshlrev_b32_e32 v7, 16, v7
	v_cvt_f16_f32_e32 v18, v7
	s_branch .LBB23_2081
.LBB23_2077:
	s_mov_b64 s[20:21], -1
                                        ; implicit-def: $vgpr18
	s_branch .LBB23_2082
.LBB23_2078:
	s_or_saveexec_b64 s[18:19], s[18:19]
	v_mov_b32_e32 v18, s22
	s_xor_b64 exec, exec, s[18:19]
	s_cbranch_execz .LBB23_2059
.LBB23_2079:
	v_cmp_ne_u16_e32 vcc, 0, v7
	s_andn2_b64 s[16:17], s[16:17], exec
	s_and_b64 s[20:21], vcc, exec
	s_or_b64 s[16:17], s[16:17], s[20:21]
	v_mov_b32_e32 v18, v7
	s_or_b64 exec, exec, s[18:19]
	s_and_saveexec_b64 s[18:19], s[16:17]
	s_cbranch_execnz .LBB23_2060
	s_branch .LBB23_2061
.LBB23_2080:
	s_mov_b64 s[6:7], -1
                                        ; implicit-def: $vgpr18
.LBB23_2081:
	s_mov_b64 s[20:21], 0
.LBB23_2082:
	s_mov_b64 s[16:17], 0
	s_and_b64 vcc, exec, s[20:21]
	s_cbranch_vccz .LBB23_2084
; %bb.2083:
	v_cmp_ne_u16_e64 s[6:7], s26, 11
	s_mov_b64 s[16:17], -1
                                        ; implicit-def: $vgpr18
.LBB23_2084:
	s_and_b64 vcc, exec, s[6:7]
	s_cbranch_vccnz .LBB23_2149
; %bb.2085:
	s_andn2_b64 vcc, exec, s[16:17]
	s_cbranch_vccnz .LBB23_2087
.LBB23_2086:
	global_load_ubyte v7, v[16:17], off
	v_mov_b32_e32 v9, 0x3c00
	s_mov_b64 s[18:19], -1
	s_waitcnt vmcnt(0)
	v_cmp_ne_u16_e32 vcc, 0, v7
	v_cndmask_b32_e32 v18, 0, v9, vcc
.LBB23_2087:
	s_mov_b64 s[6:7], 0
.LBB23_2088:
	s_and_b64 vcc, exec, s[6:7]
	s_cbranch_vccz .LBB23_2137
; %bb.2089:
	v_cmp_lt_i16_e64 s[6:7], s26, 5
	s_and_b64 vcc, exec, s[6:7]
	s_cbranch_vccnz .LBB23_2094
; %bb.2090:
	v_cmp_lt_i16_e64 s[6:7], s26, 8
	s_and_b64 vcc, exec, s[6:7]
	s_cbranch_vccnz .LBB23_2095
	;; [unrolled: 4-line block ×3, first 2 shown]
; %bb.2092:
	v_cmp_gt_i16_e64 s[6:7], s26, 9
	s_and_b64 vcc, exec, s[6:7]
	s_cbranch_vccz .LBB23_2097
; %bb.2093:
	global_load_dwordx2 v[18:19], v[16:17], off
	s_mov_b64 s[6:7], 0
	s_waitcnt vmcnt(0)
	v_cvt_f32_f64_e32 v7, v[18:19]
	v_cvt_f16_f32_e32 v18, v7
	s_branch .LBB23_2098
.LBB23_2094:
	s_mov_b64 s[6:7], -1
                                        ; implicit-def: $vgpr18
	s_branch .LBB23_2116
.LBB23_2095:
	s_mov_b64 s[6:7], -1
                                        ; implicit-def: $vgpr18
	s_branch .LBB23_2104
.LBB23_2096:
	s_mov_b64 s[6:7], -1
                                        ; implicit-def: $vgpr18
	s_branch .LBB23_2101
.LBB23_2097:
	s_mov_b64 s[6:7], -1
                                        ; implicit-def: $vgpr18
.LBB23_2098:
	s_andn2_b64 vcc, exec, s[6:7]
	s_cbranch_vccnz .LBB23_2100
; %bb.2099:
	global_load_dword v7, v[16:17], off
	s_waitcnt vmcnt(0)
	v_cvt_f16_f32_e32 v18, v7
.LBB23_2100:
	s_mov_b64 s[6:7], 0
.LBB23_2101:
	s_andn2_b64 vcc, exec, s[6:7]
	s_cbranch_vccnz .LBB23_2103
; %bb.2102:
	global_load_dword v18, v[16:17], off
.LBB23_2103:
	s_mov_b64 s[6:7], 0
.LBB23_2104:
	s_andn2_b64 vcc, exec, s[6:7]
	s_cbranch_vccnz .LBB23_2115
; %bb.2105:
	v_cmp_lt_i16_e64 s[6:7], s26, 6
	s_and_b64 vcc, exec, s[6:7]
	s_cbranch_vccnz .LBB23_2108
; %bb.2106:
	v_cmp_gt_i16_e64 s[6:7], s26, 6
	s_and_b64 vcc, exec, s[6:7]
	s_cbranch_vccz .LBB23_2109
; %bb.2107:
	global_load_dwordx2 v[18:19], v[16:17], off
	s_mov_b64 s[6:7], 0
	s_waitcnt vmcnt(0)
	v_cvt_f32_f64_e32 v7, v[18:19]
	v_cvt_f16_f32_e32 v18, v7
	s_branch .LBB23_2110
.LBB23_2108:
	s_mov_b64 s[6:7], -1
                                        ; implicit-def: $vgpr18
	s_branch .LBB23_2113
.LBB23_2109:
	s_mov_b64 s[6:7], -1
                                        ; implicit-def: $vgpr18
.LBB23_2110:
	s_andn2_b64 vcc, exec, s[6:7]
	s_cbranch_vccnz .LBB23_2112
; %bb.2111:
	global_load_dword v7, v[16:17], off
	s_waitcnt vmcnt(0)
	v_cvt_f16_f32_e32 v18, v7
.LBB23_2112:
	s_mov_b64 s[6:7], 0
.LBB23_2113:
	s_andn2_b64 vcc, exec, s[6:7]
	s_cbranch_vccnz .LBB23_2115
; %bb.2114:
	global_load_ushort v18, v[16:17], off
.LBB23_2115:
	s_mov_b64 s[6:7], 0
.LBB23_2116:
	s_andn2_b64 vcc, exec, s[6:7]
	s_cbranch_vccnz .LBB23_2136
; %bb.2117:
	v_cmp_lt_i16_e64 s[6:7], s26, 2
	s_and_b64 vcc, exec, s[6:7]
	s_cbranch_vccnz .LBB23_2121
; %bb.2118:
	v_cmp_lt_i16_e64 s[6:7], s26, 3
	s_and_b64 vcc, exec, s[6:7]
	s_cbranch_vccnz .LBB23_2122
; %bb.2119:
	v_cmp_gt_i16_e64 s[6:7], s26, 3
	s_and_b64 vcc, exec, s[6:7]
	s_cbranch_vccz .LBB23_2123
; %bb.2120:
	global_load_dwordx2 v[18:19], v[16:17], off
	s_mov_b64 s[6:7], 0
	s_waitcnt vmcnt(0)
	v_xor_b32_e32 v9, v18, v19
	v_ffbh_i32_e32 v7, v19
	v_ashrrev_i32_e32 v9, 31, v9
	v_add_u32_e32 v7, -1, v7
	v_add_u32_e32 v9, 32, v9
	v_min_u32_e32 v7, v7, v9
	v_lshlrev_b64 v[18:19], v7, v[18:19]
	v_min_u32_e32 v9, 1, v18
	v_or_b32_e32 v9, v19, v9
	v_cvt_f32_i32_e32 v9, v9
	v_sub_u32_e32 v7, 32, v7
	v_ldexp_f32 v7, v9, v7
	v_cvt_f16_f32_e32 v18, v7
	s_branch .LBB23_2124
.LBB23_2121:
	s_mov_b64 s[6:7], -1
                                        ; implicit-def: $vgpr18
	s_branch .LBB23_2130
.LBB23_2122:
	s_mov_b64 s[6:7], -1
                                        ; implicit-def: $vgpr18
	s_branch .LBB23_2127
.LBB23_2123:
	s_mov_b64 s[6:7], -1
                                        ; implicit-def: $vgpr18
.LBB23_2124:
	s_andn2_b64 vcc, exec, s[6:7]
	s_cbranch_vccnz .LBB23_2126
; %bb.2125:
	global_load_dword v7, v[16:17], off
	s_waitcnt vmcnt(0)
	v_cvt_f32_i32_e32 v7, v7
	v_cvt_f16_f32_e32 v18, v7
.LBB23_2126:
	s_mov_b64 s[6:7], 0
.LBB23_2127:
	s_andn2_b64 vcc, exec, s[6:7]
	s_cbranch_vccnz .LBB23_2129
; %bb.2128:
	global_load_ushort v7, v[16:17], off
	s_waitcnt vmcnt(0)
	v_cvt_f16_i16_e32 v18, v7
.LBB23_2129:
	s_mov_b64 s[6:7], 0
.LBB23_2130:
	s_andn2_b64 vcc, exec, s[6:7]
	s_cbranch_vccnz .LBB23_2136
; %bb.2131:
	v_cmp_gt_i16_e64 s[6:7], s26, 0
	s_and_b64 vcc, exec, s[6:7]
	s_cbranch_vccz .LBB23_2133
; %bb.2132:
	global_load_sbyte v7, v[16:17], off
	s_mov_b64 s[6:7], 0
	s_waitcnt vmcnt(0)
	v_cvt_f16_i16_e32 v18, v7
	s_branch .LBB23_2134
.LBB23_2133:
	s_mov_b64 s[6:7], -1
                                        ; implicit-def: $vgpr18
.LBB23_2134:
	s_andn2_b64 vcc, exec, s[6:7]
	s_cbranch_vccnz .LBB23_2136
; %bb.2135:
	global_load_ubyte v7, v[16:17], off
	s_waitcnt vmcnt(0)
	v_cvt_f16_u16_e32 v18, v7
.LBB23_2136:
	s_mov_b64 s[18:19], -1
.LBB23_2137:
	s_andn2_b64 vcc, exec, s[18:19]
	s_cbranch_vccnz .LBB23_3113
; %bb.2138:
	v_mov_b32_e32 v7, s11
	v_add_co_u32_e32 v14, vcc, s10, v14
	v_addc_co_u32_e32 v15, vcc, 0, v7, vcc
	v_mov_b32_e32 v7, 11
	v_cmp_lt_i16_sdwa s[6:7], s25, v7 src0_sel:BYTE_0 src1_sel:DWORD
	s_and_b64 vcc, exec, s[6:7]
	s_cbranch_vccnz .LBB23_2145
; %bb.2139:
	v_mov_b32_e32 v7, 25
	v_cmp_gt_i16_sdwa s[6:7], s25, v7 src0_sel:BYTE_0 src1_sel:DWORD
	s_mov_b64 s[16:17], 0
	s_and_b64 vcc, exec, s[6:7]
	s_cbranch_vccz .LBB23_2146
; %bb.2140:
	v_mov_b32_e32 v7, 28
	v_cmp_gt_i16_sdwa s[6:7], s25, v7 src0_sel:BYTE_0 src1_sel:DWORD
	s_and_b64 vcc, exec, s[6:7]
	s_cbranch_vccz .LBB23_2147
; %bb.2141:
	v_mov_b32_e32 v7, 43
	v_cmp_gt_i16_sdwa s[6:7], s25, v7 src0_sel:BYTE_0 src1_sel:DWORD
	;; [unrolled: 5-line block ×3, first 2 shown]
	s_and_b64 vcc, exec, s[6:7]
	s_cbranch_vccz .LBB23_2150
; %bb.2143:
	v_mov_b32_e32 v7, 46
	v_cmp_eq_u16_sdwa s[6:7], s25, v7 src0_sel:BYTE_0 src1_sel:DWORD
	s_mov_b64 s[20:21], 0
	s_and_b64 vcc, exec, s[6:7]
	s_cbranch_vccz .LBB23_2151
; %bb.2144:
	global_load_dword v7, v[14:15], off
	s_mov_b64 s[6:7], 0
	s_mov_b64 s[18:19], -1
	s_waitcnt vmcnt(0)
	v_lshlrev_b32_e32 v7, 16, v7
	v_cvt_f16_f32_e32 v16, v7
	s_branch .LBB23_2152
.LBB23_2145:
	s_mov_b64 s[6:7], -1
	s_mov_b64 s[18:19], 0
                                        ; implicit-def: $vgpr16
	s_branch .LBB23_2218
.LBB23_2146:
	s_mov_b64 s[20:21], -1
	s_mov_b64 s[18:19], 0
	s_mov_b64 s[6:7], 0
                                        ; implicit-def: $vgpr16
	s_branch .LBB23_2181
.LBB23_2147:
	s_mov_b64 s[20:21], -1
	s_mov_b64 s[18:19], 0
	s_mov_b64 s[6:7], 0
                                        ; implicit-def: $vgpr16
	s_branch .LBB23_2162
.LBB23_2148:
	s_mov_b64 s[20:21], -1
	s_mov_b64 s[18:19], 0
	s_mov_b64 s[6:7], 0
                                        ; implicit-def: $vgpr16
	s_branch .LBB23_2157
.LBB23_2149:
	s_trap 2
	s_or_b64 s[4:5], s[4:5], exec
                                        ; implicit-def: $vgpr18
	s_cbranch_execz .LBB23_2086
	s_branch .LBB23_2087
.LBB23_2150:
	s_mov_b64 s[20:21], -1
	s_mov_b64 s[18:19], 0
	s_mov_b64 s[6:7], 0
                                        ; implicit-def: $vgpr16
	s_branch .LBB23_2152
.LBB23_2151:
	s_mov_b64 s[6:7], -1
                                        ; implicit-def: $vgpr16
	s_mov_b64 s[18:19], 0
.LBB23_2152:
	s_and_b64 vcc, exec, s[20:21]
	s_cbranch_vccz .LBB23_2156
; %bb.2153:
	v_mov_b32_e32 v7, 44
	v_cmp_eq_u16_sdwa s[6:7], s25, v7 src0_sel:BYTE_0 src1_sel:DWORD
	s_and_b64 vcc, exec, s[6:7]
	s_cbranch_vccz .LBB23_2155
; %bb.2154:
	global_load_ubyte v7, v[14:15], off
	s_movk_i32 s18, 0xff
	v_mov_b32_e32 v11, 0x7e00
	s_mov_b64 s[6:7], 0
	s_waitcnt vmcnt(0)
	v_lshlrev_b32_e32 v9, 23, v7
	v_cvt_f16_f32_e32 v9, v9
	v_cmp_ne_u32_e32 vcc, s18, v7
	s_mov_b64 s[18:19], -1
	v_cndmask_b32_e32 v9, v11, v9, vcc
	v_cmp_ne_u32_e32 vcc, 0, v7
	v_cndmask_b32_e32 v16, 0, v9, vcc
	s_branch .LBB23_2156
.LBB23_2155:
	s_mov_b64 s[6:7], -1
                                        ; implicit-def: $vgpr16
.LBB23_2156:
	s_mov_b64 s[20:21], 0
.LBB23_2157:
	s_and_b64 vcc, exec, s[20:21]
	s_cbranch_vccz .LBB23_2161
; %bb.2158:
	v_mov_b32_e32 v7, 29
	v_cmp_eq_u16_sdwa s[6:7], s25, v7 src0_sel:BYTE_0 src1_sel:DWORD
	s_and_b64 vcc, exec, s[6:7]
	s_cbranch_vccz .LBB23_2160
; %bb.2159:
	global_load_dwordx2 v[16:17], v[14:15], off
	s_mov_b64 s[6:7], 0
	s_mov_b64 s[18:19], -1
	s_mov_b64 s[20:21], 0
	s_waitcnt vmcnt(0)
	v_ffbh_u32_e32 v7, v17
	v_min_u32_e32 v7, 32, v7
	v_lshlrev_b64 v[16:17], v7, v[16:17]
	v_min_u32_e32 v9, 1, v16
	v_or_b32_e32 v9, v17, v9
	v_cvt_f32_u32_e32 v9, v9
	v_sub_u32_e32 v7, 32, v7
	v_ldexp_f32 v7, v9, v7
	v_cvt_f16_f32_e32 v16, v7
	s_branch .LBB23_2162
.LBB23_2160:
	s_mov_b64 s[6:7], -1
                                        ; implicit-def: $vgpr16
.LBB23_2161:
	s_mov_b64 s[20:21], 0
.LBB23_2162:
	s_and_b64 vcc, exec, s[20:21]
	s_cbranch_vccz .LBB23_2180
; %bb.2163:
	v_mov_b32_e32 v7, 27
	v_cmp_lt_i16_sdwa s[18:19], s25, v7 src0_sel:BYTE_0 src1_sel:DWORD
	s_and_b64 vcc, exec, s[18:19]
	s_cbranch_vccnz .LBB23_2166
; %bb.2164:
	v_cmp_gt_i16_sdwa s[18:19], s25, v7 src0_sel:BYTE_0 src1_sel:DWORD
	s_and_b64 vcc, exec, s[18:19]
	s_cbranch_vccz .LBB23_2167
; %bb.2165:
	global_load_dword v7, v[14:15], off
	s_mov_b64 s[18:19], 0
	s_waitcnt vmcnt(0)
	v_cvt_f32_u32_e32 v7, v7
	v_cvt_f16_f32_e32 v16, v7
	s_branch .LBB23_2168
.LBB23_2166:
	s_mov_b64 s[18:19], -1
                                        ; implicit-def: $vgpr16
	s_branch .LBB23_2171
.LBB23_2167:
	s_mov_b64 s[18:19], -1
                                        ; implicit-def: $vgpr16
.LBB23_2168:
	s_andn2_b64 vcc, exec, s[18:19]
	s_cbranch_vccnz .LBB23_2170
; %bb.2169:
	global_load_ushort v7, v[14:15], off
	s_waitcnt vmcnt(0)
	v_cvt_f16_u16_e32 v16, v7
.LBB23_2170:
	s_mov_b64 s[18:19], 0
.LBB23_2171:
	s_andn2_b64 vcc, exec, s[18:19]
	s_cbranch_vccnz .LBB23_2179
; %bb.2172:
	global_load_ubyte v7, v[14:15], off
	s_movk_i32 s18, 0x7f
                                        ; implicit-def: $sgpr27
	s_waitcnt vmcnt(0)
	v_cmp_lt_i16_e32 vcc, s18, v7
	s_mov_b64 s[18:19], 0
	s_and_saveexec_b64 s[20:21], vcc
	s_xor_b64 s[20:21], exec, s[20:21]
	s_cbranch_execz .LBB23_2193
; %bb.2173:
	s_movk_i32 s18, 0x80
	v_cmp_eq_u16_e32 vcc, s18, v7
	s_mov_b64 s[18:19], -1
                                        ; implicit-def: $sgpr27
	s_and_saveexec_b64 s[22:23], vcc
; %bb.2174:
	s_movk_i32 s27, 0x7e00
	s_xor_b64 s[18:19], exec, -1
; %bb.2175:
	s_or_b64 exec, exec, s[22:23]
	s_and_b64 s[18:19], s[18:19], exec
	s_or_saveexec_b64 s[20:21], s[20:21]
	v_mov_b32_e32 v16, s27
	s_xor_b64 exec, exec, s[20:21]
	s_cbranch_execnz .LBB23_2194
.LBB23_2176:
	s_or_b64 exec, exec, s[20:21]
	s_and_saveexec_b64 s[20:21], s[18:19]
	s_cbranch_execz .LBB23_2178
.LBB23_2177:
	v_lshlrev_b32_e32 v9, 24, v7
	v_and_b32_e32 v7, 0xffff, v7
	v_and_b32_e32 v11, 7, v7
	v_ffbh_u32_e32 v16, v11
	v_min_u32_e32 v16, 32, v16
	v_subrev_u32_e32 v17, 28, v16
	v_bfe_u32 v13, v7, 3, 4
	v_lshlrev_b32_e32 v7, v17, v7
	v_sub_u32_e32 v16, 29, v16
	v_and_b32_e32 v7, 7, v7
	v_cmp_eq_u32_e32 vcc, 0, v13
	v_cndmask_b32_e32 v13, v13, v16, vcc
	v_cndmask_b32_e32 v7, v11, v7, vcc
	v_mov_b32_e32 v11, 0x3b800000
	v_lshlrev_b32_e32 v7, 20, v7
	v_and_b32_e32 v9, 0x80000000, v9
	v_lshl_add_u32 v11, v13, 23, v11
	v_or3_b32 v7, v9, v11, v7
	v_cvt_f16_f32_e32 v16, v7
.LBB23_2178:
	s_or_b64 exec, exec, s[20:21]
.LBB23_2179:
	s_mov_b64 s[18:19], -1
.LBB23_2180:
	s_mov_b64 s[20:21], 0
.LBB23_2181:
	s_and_b64 vcc, exec, s[20:21]
	s_cbranch_vccz .LBB23_2214
; %bb.2182:
	v_mov_b32_e32 v7, 22
	v_cmp_gt_i16_sdwa s[16:17], s25, v7 src0_sel:BYTE_0 src1_sel:DWORD
	s_and_b64 vcc, exec, s[16:17]
	s_cbranch_vccz .LBB23_2192
; %bb.2183:
	v_mov_b32_e32 v7, 24
	v_cmp_lt_i16_sdwa s[16:17], s25, v7 src0_sel:BYTE_0 src1_sel:DWORD
	s_and_b64 vcc, exec, s[16:17]
	s_cbranch_vccnz .LBB23_2195
; %bb.2184:
	v_cmp_gt_i16_sdwa s[16:17], s25, v7 src0_sel:BYTE_0 src1_sel:DWORD
	s_and_b64 vcc, exec, s[16:17]
	s_cbranch_vccz .LBB23_2196
; %bb.2185:
	global_load_ubyte v7, v[14:15], off
	s_movk_i32 s16, 0x7f
                                        ; implicit-def: $sgpr22
	s_waitcnt vmcnt(0)
	v_cmp_lt_i16_e32 vcc, s16, v7
	s_mov_b64 s[16:17], 0
	s_and_saveexec_b64 s[18:19], vcc
	s_xor_b64 s[18:19], exec, s[18:19]
	s_cbranch_execz .LBB23_2208
; %bb.2186:
	s_movk_i32 s16, 0x80
	v_cmp_eq_u16_e32 vcc, s16, v7
	s_mov_b64 s[16:17], -1
                                        ; implicit-def: $sgpr22
	s_and_saveexec_b64 s[20:21], vcc
; %bb.2187:
	s_movk_i32 s22, 0x7e00
	s_xor_b64 s[16:17], exec, -1
; %bb.2188:
	s_or_b64 exec, exec, s[20:21]
	s_and_b64 s[16:17], s[16:17], exec
	s_or_saveexec_b64 s[18:19], s[18:19]
	v_mov_b32_e32 v16, s22
	s_xor_b64 exec, exec, s[18:19]
	s_cbranch_execnz .LBB23_2209
.LBB23_2189:
	s_or_b64 exec, exec, s[18:19]
	s_and_saveexec_b64 s[18:19], s[16:17]
	s_cbranch_execz .LBB23_2191
.LBB23_2190:
	v_lshlrev_b32_e32 v9, 24, v7
	v_and_b32_e32 v7, 0xffff, v7
	v_and_b32_e32 v11, 3, v7
	v_ffbh_u32_e32 v16, v11
	v_min_u32_e32 v16, 32, v16
	v_subrev_u32_e32 v17, 29, v16
	v_bfe_u32 v13, v7, 2, 5
	v_lshlrev_b32_e32 v7, v17, v7
	v_sub_u32_e32 v16, 30, v16
	v_and_b32_e32 v7, 3, v7
	v_cmp_eq_u32_e32 vcc, 0, v13
	v_cndmask_b32_e32 v13, v13, v16, vcc
	v_cndmask_b32_e32 v7, v11, v7, vcc
	v_mov_b32_e32 v11, 0x37800000
	v_lshlrev_b32_e32 v7, 21, v7
	v_and_b32_e32 v9, 0x80000000, v9
	v_lshl_add_u32 v11, v13, 23, v11
	v_or3_b32 v7, v9, v11, v7
	v_cvt_f16_f32_e32 v16, v7
.LBB23_2191:
	s_or_b64 exec, exec, s[18:19]
	s_mov_b64 s[16:17], 0
	s_branch .LBB23_2197
.LBB23_2192:
	s_mov_b64 s[16:17], -1
                                        ; implicit-def: $vgpr16
	s_branch .LBB23_2203
.LBB23_2193:
	s_or_saveexec_b64 s[20:21], s[20:21]
	v_mov_b32_e32 v16, s27
	s_xor_b64 exec, exec, s[20:21]
	s_cbranch_execz .LBB23_2176
.LBB23_2194:
	v_cmp_ne_u16_e32 vcc, 0, v7
	s_andn2_b64 s[18:19], s[18:19], exec
	s_and_b64 s[22:23], vcc, exec
	s_or_b64 s[18:19], s[18:19], s[22:23]
	v_mov_b32_e32 v16, v7
	s_or_b64 exec, exec, s[20:21]
	s_and_saveexec_b64 s[20:21], s[18:19]
	s_cbranch_execnz .LBB23_2177
	s_branch .LBB23_2178
.LBB23_2195:
	s_mov_b64 s[16:17], -1
                                        ; implicit-def: $vgpr16
	s_branch .LBB23_2200
.LBB23_2196:
	s_mov_b64 s[16:17], -1
                                        ; implicit-def: $vgpr16
.LBB23_2197:
	s_and_b64 vcc, exec, s[16:17]
	s_cbranch_vccz .LBB23_2199
; %bb.2198:
	global_load_ubyte v7, v[14:15], off
	s_mov_b32 s16, 0x7f800000
	s_waitcnt vmcnt(0)
	v_lshlrev_b32_e32 v7, 24, v7
	v_and_b32_e32 v9, 0x7f000000, v7
	v_ffbh_u32_e32 v11, v9
	v_min_u32_e32 v11, 32, v11
	v_sub_u32_e64 v11, v11, 4 clamp
	v_lshlrev_b32_e32 v16, v11, v9
	v_lshlrev_b32_e32 v11, 23, v11
	v_lshrrev_b32_e32 v16, 4, v16
	v_add_u32_e32 v13, 0x1000000, v9
	v_sub_u32_e32 v11, v16, v11
	v_ashrrev_i32_e32 v13, 8, v13
	v_add_u32_e32 v11, 0x3c000000, v11
	v_and_or_b32 v11, v13, s16, v11
	v_cmp_ne_u32_e32 vcc, 0, v9
	v_cndmask_b32_e32 v9, 0, v11, vcc
	s_brev_b32 s16, 1
	v_and_or_b32 v7, v7, s16, v9
	v_cvt_f16_f32_e32 v16, v7
.LBB23_2199:
	s_mov_b64 s[16:17], 0
.LBB23_2200:
	s_andn2_b64 vcc, exec, s[16:17]
	s_cbranch_vccnz .LBB23_2202
; %bb.2201:
	global_load_ubyte v7, v[14:15], off
	s_movk_i32 s16, 0x7f00
	s_brev_b32 s17, 16
	s_waitcnt vmcnt(0)
	v_lshlrev_b16_e32 v9, 8, v7
	v_lshlrev_b32_e32 v7, 25, v7
	v_lshrrev_b32_e32 v11, 4, v7
	v_and_or_b32 v13, v9, s16, 0.5
	v_or_b32_e32 v11, 0x70000000, v11
	v_add_f32_e32 v13, -0.5, v13
	v_mul_f32_e32 v11, 0x7800000, v11
	v_cmp_gt_u32_e32 vcc, s17, v7
	v_bfe_i32 v9, v9, 0, 16
	v_cndmask_b32_e32 v7, v11, v13, vcc
	s_brev_b32 s16, 1
	v_and_or_b32 v7, v9, s16, v7
	v_cvt_f16_f32_e32 v16, v7
.LBB23_2202:
	s_mov_b64 s[16:17], 0
	s_mov_b64 s[18:19], -1
.LBB23_2203:
	s_andn2_b64 vcc, exec, s[16:17]
	s_mov_b64 s[16:17], 0
	s_cbranch_vccnz .LBB23_2214
; %bb.2204:
	v_mov_b32_e32 v7, 14
	v_cmp_gt_i16_sdwa s[16:17], s25, v7 src0_sel:BYTE_0 src1_sel:DWORD
	s_and_b64 vcc, exec, s[16:17]
	s_cbranch_vccz .LBB23_2207
; %bb.2205:
	v_mov_b32_e32 v7, 15
	v_cmp_eq_u16_sdwa s[6:7], s25, v7 src0_sel:BYTE_0 src1_sel:DWORD
	s_and_b64 vcc, exec, s[6:7]
	s_cbranch_vccz .LBB23_2210
; %bb.2206:
	global_load_ushort v7, v[14:15], off
	s_mov_b64 s[6:7], 0
	s_mov_b64 s[18:19], -1
	s_waitcnt vmcnt(0)
	v_lshlrev_b32_e32 v7, 16, v7
	v_cvt_f16_f32_e32 v16, v7
	s_branch .LBB23_2211
.LBB23_2207:
	s_mov_b64 s[20:21], -1
                                        ; implicit-def: $vgpr16
	s_branch .LBB23_2212
.LBB23_2208:
	s_or_saveexec_b64 s[18:19], s[18:19]
	v_mov_b32_e32 v16, s22
	s_xor_b64 exec, exec, s[18:19]
	s_cbranch_execz .LBB23_2189
.LBB23_2209:
	v_cmp_ne_u16_e32 vcc, 0, v7
	s_andn2_b64 s[16:17], s[16:17], exec
	s_and_b64 s[20:21], vcc, exec
	s_or_b64 s[16:17], s[16:17], s[20:21]
	v_mov_b32_e32 v16, v7
	s_or_b64 exec, exec, s[18:19]
	s_and_saveexec_b64 s[18:19], s[16:17]
	s_cbranch_execnz .LBB23_2190
	s_branch .LBB23_2191
.LBB23_2210:
	s_mov_b64 s[6:7], -1
                                        ; implicit-def: $vgpr16
.LBB23_2211:
	s_mov_b64 s[20:21], 0
.LBB23_2212:
	s_mov_b64 s[16:17], 0
	s_and_b64 vcc, exec, s[20:21]
	s_cbranch_vccz .LBB23_2214
; %bb.2213:
	v_mov_b32_e32 v7, 11
	v_cmp_ne_u16_sdwa s[6:7], s25, v7 src0_sel:BYTE_0 src1_sel:DWORD
	s_mov_b64 s[16:17], -1
                                        ; implicit-def: $vgpr16
.LBB23_2214:
	s_and_b64 vcc, exec, s[6:7]
	s_cbranch_vccnz .LBB23_2279
; %bb.2215:
	s_andn2_b64 vcc, exec, s[16:17]
	s_cbranch_vccnz .LBB23_2217
.LBB23_2216:
	global_load_ubyte v7, v[14:15], off
	v_mov_b32_e32 v9, 0x3c00
	s_mov_b64 s[18:19], -1
	s_waitcnt vmcnt(0)
	v_cmp_ne_u16_e32 vcc, 0, v7
	v_cndmask_b32_e32 v16, 0, v9, vcc
.LBB23_2217:
	s_mov_b64 s[6:7], 0
.LBB23_2218:
	s_and_b64 vcc, exec, s[6:7]
	s_cbranch_vccz .LBB23_2267
; %bb.2219:
	v_mov_b32_e32 v7, 5
	v_cmp_lt_i16_sdwa s[6:7], s25, v7 src0_sel:BYTE_0 src1_sel:DWORD
	s_and_b64 vcc, exec, s[6:7]
	s_cbranch_vccnz .LBB23_2224
; %bb.2220:
	v_mov_b32_e32 v7, 8
	v_cmp_lt_i16_sdwa s[6:7], s25, v7 src0_sel:BYTE_0 src1_sel:DWORD
	s_and_b64 vcc, exec, s[6:7]
	s_cbranch_vccnz .LBB23_2225
; %bb.2221:
	v_mov_b32_e32 v7, 9
	v_cmp_lt_i16_sdwa s[6:7], s25, v7 src0_sel:BYTE_0 src1_sel:DWORD
	s_and_b64 vcc, exec, s[6:7]
	s_cbranch_vccnz .LBB23_2226
; %bb.2222:
	v_cmp_gt_i16_sdwa s[6:7], s25, v7 src0_sel:BYTE_0 src1_sel:DWORD
	s_and_b64 vcc, exec, s[6:7]
	s_cbranch_vccz .LBB23_2227
; %bb.2223:
	global_load_dwordx2 v[16:17], v[14:15], off
	s_mov_b64 s[6:7], 0
	s_waitcnt vmcnt(0)
	v_cvt_f32_f64_e32 v7, v[16:17]
	v_cvt_f16_f32_e32 v16, v7
	s_branch .LBB23_2228
.LBB23_2224:
	s_mov_b64 s[6:7], -1
                                        ; implicit-def: $vgpr16
	s_branch .LBB23_2246
.LBB23_2225:
	s_mov_b64 s[6:7], -1
                                        ; implicit-def: $vgpr16
	s_branch .LBB23_2234
.LBB23_2226:
	s_mov_b64 s[6:7], -1
                                        ; implicit-def: $vgpr16
	s_branch .LBB23_2231
.LBB23_2227:
	s_mov_b64 s[6:7], -1
                                        ; implicit-def: $vgpr16
.LBB23_2228:
	s_andn2_b64 vcc, exec, s[6:7]
	s_cbranch_vccnz .LBB23_2230
; %bb.2229:
	global_load_dword v7, v[14:15], off
	s_waitcnt vmcnt(0)
	v_cvt_f16_f32_e32 v16, v7
.LBB23_2230:
	s_mov_b64 s[6:7], 0
.LBB23_2231:
	s_andn2_b64 vcc, exec, s[6:7]
	s_cbranch_vccnz .LBB23_2233
; %bb.2232:
	global_load_dword v16, v[14:15], off
.LBB23_2233:
	s_mov_b64 s[6:7], 0
.LBB23_2234:
	s_andn2_b64 vcc, exec, s[6:7]
	s_cbranch_vccnz .LBB23_2245
; %bb.2235:
	v_mov_b32_e32 v7, 6
	v_cmp_lt_i16_sdwa s[6:7], s25, v7 src0_sel:BYTE_0 src1_sel:DWORD
	s_and_b64 vcc, exec, s[6:7]
	s_cbranch_vccnz .LBB23_2238
; %bb.2236:
	v_cmp_gt_i16_sdwa s[6:7], s25, v7 src0_sel:BYTE_0 src1_sel:DWORD
	s_and_b64 vcc, exec, s[6:7]
	s_cbranch_vccz .LBB23_2239
; %bb.2237:
	global_load_dwordx2 v[16:17], v[14:15], off
	s_mov_b64 s[6:7], 0
	s_waitcnt vmcnt(0)
	v_cvt_f32_f64_e32 v7, v[16:17]
	v_cvt_f16_f32_e32 v16, v7
	s_branch .LBB23_2240
.LBB23_2238:
	s_mov_b64 s[6:7], -1
                                        ; implicit-def: $vgpr16
	s_branch .LBB23_2243
.LBB23_2239:
	s_mov_b64 s[6:7], -1
                                        ; implicit-def: $vgpr16
.LBB23_2240:
	s_andn2_b64 vcc, exec, s[6:7]
	s_cbranch_vccnz .LBB23_2242
; %bb.2241:
	global_load_dword v7, v[14:15], off
	s_waitcnt vmcnt(0)
	v_cvt_f16_f32_e32 v16, v7
.LBB23_2242:
	s_mov_b64 s[6:7], 0
.LBB23_2243:
	s_andn2_b64 vcc, exec, s[6:7]
	s_cbranch_vccnz .LBB23_2245
; %bb.2244:
	global_load_ushort v16, v[14:15], off
.LBB23_2245:
	s_mov_b64 s[6:7], 0
.LBB23_2246:
	s_andn2_b64 vcc, exec, s[6:7]
	s_cbranch_vccnz .LBB23_2266
; %bb.2247:
	v_mov_b32_e32 v7, 2
	v_cmp_lt_i16_sdwa s[6:7], s25, v7 src0_sel:BYTE_0 src1_sel:DWORD
	s_and_b64 vcc, exec, s[6:7]
	s_cbranch_vccnz .LBB23_2251
; %bb.2248:
	v_mov_b32_e32 v7, 3
	v_cmp_lt_i16_sdwa s[6:7], s25, v7 src0_sel:BYTE_0 src1_sel:DWORD
	s_and_b64 vcc, exec, s[6:7]
	s_cbranch_vccnz .LBB23_2252
; %bb.2249:
	v_cmp_gt_i16_sdwa s[6:7], s25, v7 src0_sel:BYTE_0 src1_sel:DWORD
	s_and_b64 vcc, exec, s[6:7]
	s_cbranch_vccz .LBB23_2253
; %bb.2250:
	global_load_dwordx2 v[16:17], v[14:15], off
	s_mov_b64 s[6:7], 0
	s_waitcnt vmcnt(0)
	v_xor_b32_e32 v9, v16, v17
	v_ffbh_i32_e32 v7, v17
	v_ashrrev_i32_e32 v9, 31, v9
	v_add_u32_e32 v7, -1, v7
	v_add_u32_e32 v9, 32, v9
	v_min_u32_e32 v7, v7, v9
	v_lshlrev_b64 v[16:17], v7, v[16:17]
	v_min_u32_e32 v9, 1, v16
	v_or_b32_e32 v9, v17, v9
	v_cvt_f32_i32_e32 v9, v9
	v_sub_u32_e32 v7, 32, v7
	v_ldexp_f32 v7, v9, v7
	v_cvt_f16_f32_e32 v16, v7
	s_branch .LBB23_2254
.LBB23_2251:
	s_mov_b64 s[6:7], -1
                                        ; implicit-def: $vgpr16
	s_branch .LBB23_2260
.LBB23_2252:
	s_mov_b64 s[6:7], -1
                                        ; implicit-def: $vgpr16
	s_branch .LBB23_2257
.LBB23_2253:
	s_mov_b64 s[6:7], -1
                                        ; implicit-def: $vgpr16
.LBB23_2254:
	s_andn2_b64 vcc, exec, s[6:7]
	s_cbranch_vccnz .LBB23_2256
; %bb.2255:
	global_load_dword v7, v[14:15], off
	s_waitcnt vmcnt(0)
	v_cvt_f32_i32_e32 v7, v7
	v_cvt_f16_f32_e32 v16, v7
.LBB23_2256:
	s_mov_b64 s[6:7], 0
.LBB23_2257:
	s_andn2_b64 vcc, exec, s[6:7]
	s_cbranch_vccnz .LBB23_2259
; %bb.2258:
	global_load_ushort v7, v[14:15], off
	s_waitcnt vmcnt(0)
	v_cvt_f16_i16_e32 v16, v7
.LBB23_2259:
	s_mov_b64 s[6:7], 0
.LBB23_2260:
	s_andn2_b64 vcc, exec, s[6:7]
	s_cbranch_vccnz .LBB23_2266
; %bb.2261:
	v_mov_b32_e32 v7, 0
	v_cmp_gt_i16_sdwa s[6:7], s25, v7 src0_sel:BYTE_0 src1_sel:DWORD
	s_and_b64 vcc, exec, s[6:7]
	s_cbranch_vccz .LBB23_2263
; %bb.2262:
	global_load_sbyte v7, v[14:15], off
	s_mov_b64 s[6:7], 0
	s_waitcnt vmcnt(0)
	v_cvt_f16_i16_e32 v16, v7
	s_branch .LBB23_2264
.LBB23_2263:
	s_mov_b64 s[6:7], -1
                                        ; implicit-def: $vgpr16
.LBB23_2264:
	s_andn2_b64 vcc, exec, s[6:7]
	s_cbranch_vccnz .LBB23_2266
; %bb.2265:
	global_load_ubyte v7, v[14:15], off
	s_waitcnt vmcnt(0)
	v_cvt_f16_u16_e32 v16, v7
.LBB23_2266:
	s_mov_b64 s[18:19], -1
.LBB23_2267:
	s_andn2_b64 vcc, exec, s[18:19]
	s_cbranch_vccnz .LBB23_3113
; %bb.2268:
	v_mov_b32_e32 v7, s1
	v_add_co_u32_e32 v12, vcc, s0, v12
	v_addc_co_u32_e32 v13, vcc, 0, v7, vcc
	s_and_b64 vcc, exec, s[2:3]
	s_cbranch_vccnz .LBB23_2275
; %bb.2269:
	v_cmp_gt_i16_e64 s[6:7], s26, 25
	s_mov_b64 s[16:17], 0
	s_and_b64 vcc, exec, s[6:7]
	s_cbranch_vccz .LBB23_2276
; %bb.2270:
	v_cmp_gt_i16_e64 s[6:7], s26, 28
	s_and_b64 vcc, exec, s[6:7]
	s_cbranch_vccz .LBB23_2277
; %bb.2271:
	v_cmp_gt_i16_e64 s[6:7], s26, 43
	s_and_b64 vcc, exec, s[6:7]
	s_cbranch_vccz .LBB23_2278
; %bb.2272:
	v_cmp_gt_i16_e64 s[6:7], s26, 45
	s_and_b64 vcc, exec, s[6:7]
	s_cbranch_vccz .LBB23_2280
; %bb.2273:
	v_cmp_eq_u16_e64 s[6:7], s26, 46
	s_mov_b64 s[20:21], 0
	s_and_b64 vcc, exec, s[6:7]
	s_cbranch_vccz .LBB23_2283
; %bb.2274:
	global_load_dword v7, v[12:13], off
	s_mov_b64 s[6:7], 0
	s_mov_b64 s[18:19], -1
	s_waitcnt vmcnt(0)
	v_lshlrev_b32_e32 v7, 16, v7
	v_cvt_f16_f32_e32 v14, v7
	s_branch .LBB23_2284
.LBB23_2275:
	s_mov_b64 s[6:7], -1
	s_mov_b64 s[18:19], 0
                                        ; implicit-def: $vgpr14
	s_branch .LBB23_2350
.LBB23_2276:
	s_mov_b64 s[20:21], -1
	s_mov_b64 s[18:19], 0
	s_mov_b64 s[6:7], 0
                                        ; implicit-def: $vgpr14
	s_branch .LBB23_2313
.LBB23_2277:
	s_mov_b64 s[20:21], -1
	s_mov_b64 s[18:19], 0
	s_mov_b64 s[6:7], 0
                                        ; implicit-def: $vgpr14
	s_branch .LBB23_2294
.LBB23_2278:
	s_mov_b64 s[20:21], -1
	s_mov_b64 s[18:19], 0
	s_mov_b64 s[6:7], 0
                                        ; implicit-def: $vgpr14
	s_branch .LBB23_2289
.LBB23_2279:
	s_trap 2
	s_or_b64 s[4:5], s[4:5], exec
                                        ; implicit-def: $vgpr16
	s_cbranch_execz .LBB23_2216
	s_branch .LBB23_2217
.LBB23_2280:
	s_mov_b64 s[20:21], -1
	s_mov_b64 s[18:19], 0
	s_mov_b64 s[6:7], 0
                                        ; implicit-def: $vgpr14
	s_branch .LBB23_2284
.LBB23_2281:
	s_or_saveexec_b64 s[62:63], s[62:63]
                                        ; implicit-def: $sgpr64
	s_xor_b64 exec, exec, s[62:63]
	s_cbranch_execz .LBB23_1116
.LBB23_2282:
	s_mov_b32 s64, 0x42800000
	v_add_f32_e64 v5, |v4|, s64
	v_and_b32_e32 v5, 0xff, v5
	v_cmp_ne_u32_e32 vcc, 0, v5
	s_andn2_b64 s[60:61], s[60:61], exec
	s_and_b64 s[70:71], vcc, exec
	s_mov_b32 s64, 0
	s_or_b64 s[60:61], s[60:61], s[70:71]
	s_or_b64 exec, exec, s[62:63]
	v_mov_b32_e32 v10, s64
	s_and_saveexec_b64 s[62:63], s[60:61]
	s_cbranch_execnz .LBB23_1117
	s_branch .LBB23_1118
.LBB23_2283:
	s_mov_b64 s[6:7], -1
                                        ; implicit-def: $vgpr14
	s_mov_b64 s[18:19], 0
.LBB23_2284:
	s_and_b64 vcc, exec, s[20:21]
	s_cbranch_vccz .LBB23_2288
; %bb.2285:
	v_cmp_eq_u16_e64 s[6:7], s26, 44
	s_and_b64 vcc, exec, s[6:7]
	s_cbranch_vccz .LBB23_2287
; %bb.2286:
	global_load_ubyte v7, v[12:13], off
	s_movk_i32 s18, 0xff
	v_mov_b32_e32 v11, 0x7e00
	s_mov_b64 s[6:7], 0
	s_waitcnt vmcnt(0)
	v_lshlrev_b32_e32 v9, 23, v7
	v_cvt_f16_f32_e32 v9, v9
	v_cmp_ne_u32_e32 vcc, s18, v7
	s_mov_b64 s[18:19], -1
	v_cndmask_b32_e32 v9, v11, v9, vcc
	v_cmp_ne_u32_e32 vcc, 0, v7
	v_cndmask_b32_e32 v14, 0, v9, vcc
	s_branch .LBB23_2288
.LBB23_2287:
	s_mov_b64 s[6:7], -1
                                        ; implicit-def: $vgpr14
.LBB23_2288:
	s_mov_b64 s[20:21], 0
.LBB23_2289:
	s_and_b64 vcc, exec, s[20:21]
	s_cbranch_vccz .LBB23_2293
; %bb.2290:
	v_cmp_eq_u16_e64 s[6:7], s26, 29
	s_and_b64 vcc, exec, s[6:7]
	s_cbranch_vccz .LBB23_2292
; %bb.2291:
	global_load_dwordx2 v[14:15], v[12:13], off
	s_mov_b64 s[6:7], 0
	s_mov_b64 s[18:19], -1
	s_mov_b64 s[20:21], 0
	s_waitcnt vmcnt(0)
	v_ffbh_u32_e32 v7, v15
	v_min_u32_e32 v7, 32, v7
	v_lshlrev_b64 v[14:15], v7, v[14:15]
	v_min_u32_e32 v9, 1, v14
	v_or_b32_e32 v9, v15, v9
	v_cvt_f32_u32_e32 v9, v9
	v_sub_u32_e32 v7, 32, v7
	v_ldexp_f32 v7, v9, v7
	v_cvt_f16_f32_e32 v14, v7
	s_branch .LBB23_2294
.LBB23_2292:
	s_mov_b64 s[6:7], -1
                                        ; implicit-def: $vgpr14
.LBB23_2293:
	s_mov_b64 s[20:21], 0
.LBB23_2294:
	s_and_b64 vcc, exec, s[20:21]
	s_cbranch_vccz .LBB23_2312
; %bb.2295:
	v_cmp_lt_i16_e64 s[18:19], s26, 27
	s_and_b64 vcc, exec, s[18:19]
	s_cbranch_vccnz .LBB23_2298
; %bb.2296:
	v_cmp_gt_i16_e64 s[18:19], s26, 27
	s_and_b64 vcc, exec, s[18:19]
	s_cbranch_vccz .LBB23_2299
; %bb.2297:
	global_load_dword v7, v[12:13], off
	s_mov_b64 s[18:19], 0
	s_waitcnt vmcnt(0)
	v_cvt_f32_u32_e32 v7, v7
	v_cvt_f16_f32_e32 v14, v7
	s_branch .LBB23_2300
.LBB23_2298:
	s_mov_b64 s[18:19], -1
                                        ; implicit-def: $vgpr14
	s_branch .LBB23_2303
.LBB23_2299:
	s_mov_b64 s[18:19], -1
                                        ; implicit-def: $vgpr14
.LBB23_2300:
	s_andn2_b64 vcc, exec, s[18:19]
	s_cbranch_vccnz .LBB23_2302
; %bb.2301:
	global_load_ushort v7, v[12:13], off
	s_waitcnt vmcnt(0)
	v_cvt_f16_u16_e32 v14, v7
.LBB23_2302:
	s_mov_b64 s[18:19], 0
.LBB23_2303:
	s_andn2_b64 vcc, exec, s[18:19]
	s_cbranch_vccnz .LBB23_2311
; %bb.2304:
	global_load_ubyte v7, v[12:13], off
	s_movk_i32 s18, 0x7f
                                        ; implicit-def: $sgpr27
	s_waitcnt vmcnt(0)
	v_cmp_lt_i16_e32 vcc, s18, v7
	s_mov_b64 s[18:19], 0
	s_and_saveexec_b64 s[20:21], vcc
	s_xor_b64 s[20:21], exec, s[20:21]
	s_cbranch_execz .LBB23_2325
; %bb.2305:
	s_movk_i32 s18, 0x80
	v_cmp_eq_u16_e32 vcc, s18, v7
	s_mov_b64 s[18:19], -1
                                        ; implicit-def: $sgpr27
	s_and_saveexec_b64 s[22:23], vcc
; %bb.2306:
	s_movk_i32 s27, 0x7e00
	s_xor_b64 s[18:19], exec, -1
; %bb.2307:
	s_or_b64 exec, exec, s[22:23]
	s_and_b64 s[18:19], s[18:19], exec
	s_or_saveexec_b64 s[20:21], s[20:21]
	v_mov_b32_e32 v14, s27
	s_xor_b64 exec, exec, s[20:21]
	s_cbranch_execnz .LBB23_2326
.LBB23_2308:
	s_or_b64 exec, exec, s[20:21]
	s_and_saveexec_b64 s[20:21], s[18:19]
	s_cbranch_execz .LBB23_2310
.LBB23_2309:
	v_lshlrev_b32_e32 v9, 24, v7
	v_and_b32_e32 v7, 0xffff, v7
	v_and_b32_e32 v11, 7, v7
	v_ffbh_u32_e32 v15, v11
	v_min_u32_e32 v15, 32, v15
	v_subrev_u32_e32 v17, 28, v15
	v_bfe_u32 v14, v7, 3, 4
	v_lshlrev_b32_e32 v7, v17, v7
	v_sub_u32_e32 v15, 29, v15
	v_and_b32_e32 v7, 7, v7
	v_cmp_eq_u32_e32 vcc, 0, v14
	v_cndmask_b32_e32 v14, v14, v15, vcc
	v_cndmask_b32_e32 v7, v11, v7, vcc
	v_mov_b32_e32 v11, 0x3b800000
	v_lshlrev_b32_e32 v7, 20, v7
	v_and_b32_e32 v9, 0x80000000, v9
	v_lshl_add_u32 v11, v14, 23, v11
	v_or3_b32 v7, v9, v11, v7
	v_cvt_f16_f32_e32 v14, v7
.LBB23_2310:
	s_or_b64 exec, exec, s[20:21]
.LBB23_2311:
	s_mov_b64 s[18:19], -1
.LBB23_2312:
	s_mov_b64 s[20:21], 0
.LBB23_2313:
	s_and_b64 vcc, exec, s[20:21]
	s_cbranch_vccz .LBB23_2346
; %bb.2314:
	v_cmp_gt_i16_e64 s[16:17], s26, 22
	s_and_b64 vcc, exec, s[16:17]
	s_cbranch_vccz .LBB23_2324
; %bb.2315:
	v_cmp_lt_i16_e64 s[16:17], s26, 24
	s_and_b64 vcc, exec, s[16:17]
	s_cbranch_vccnz .LBB23_2327
; %bb.2316:
	v_cmp_gt_i16_e64 s[16:17], s26, 24
	s_and_b64 vcc, exec, s[16:17]
	s_cbranch_vccz .LBB23_2328
; %bb.2317:
	global_load_ubyte v7, v[12:13], off
	s_movk_i32 s16, 0x7f
                                        ; implicit-def: $sgpr22
	s_waitcnt vmcnt(0)
	v_cmp_lt_i16_e32 vcc, s16, v7
	s_mov_b64 s[16:17], 0
	s_and_saveexec_b64 s[18:19], vcc
	s_xor_b64 s[18:19], exec, s[18:19]
	s_cbranch_execz .LBB23_2340
; %bb.2318:
	s_movk_i32 s16, 0x80
	v_cmp_eq_u16_e32 vcc, s16, v7
	s_mov_b64 s[16:17], -1
                                        ; implicit-def: $sgpr22
	s_and_saveexec_b64 s[20:21], vcc
; %bb.2319:
	s_movk_i32 s22, 0x7e00
	s_xor_b64 s[16:17], exec, -1
; %bb.2320:
	s_or_b64 exec, exec, s[20:21]
	s_and_b64 s[16:17], s[16:17], exec
	s_or_saveexec_b64 s[18:19], s[18:19]
	v_mov_b32_e32 v14, s22
	s_xor_b64 exec, exec, s[18:19]
	s_cbranch_execnz .LBB23_2341
.LBB23_2321:
	s_or_b64 exec, exec, s[18:19]
	s_and_saveexec_b64 s[18:19], s[16:17]
	s_cbranch_execz .LBB23_2323
.LBB23_2322:
	v_lshlrev_b32_e32 v9, 24, v7
	v_and_b32_e32 v7, 0xffff, v7
	v_and_b32_e32 v11, 3, v7
	v_ffbh_u32_e32 v15, v11
	v_min_u32_e32 v15, 32, v15
	v_subrev_u32_e32 v17, 29, v15
	v_bfe_u32 v14, v7, 2, 5
	v_lshlrev_b32_e32 v7, v17, v7
	v_sub_u32_e32 v15, 30, v15
	v_and_b32_e32 v7, 3, v7
	v_cmp_eq_u32_e32 vcc, 0, v14
	v_cndmask_b32_e32 v14, v14, v15, vcc
	v_cndmask_b32_e32 v7, v11, v7, vcc
	v_mov_b32_e32 v11, 0x37800000
	v_lshlrev_b32_e32 v7, 21, v7
	v_and_b32_e32 v9, 0x80000000, v9
	v_lshl_add_u32 v11, v14, 23, v11
	v_or3_b32 v7, v9, v11, v7
	v_cvt_f16_f32_e32 v14, v7
.LBB23_2323:
	s_or_b64 exec, exec, s[18:19]
	s_mov_b64 s[16:17], 0
	s_branch .LBB23_2329
.LBB23_2324:
	s_mov_b64 s[16:17], -1
                                        ; implicit-def: $vgpr14
	s_branch .LBB23_2335
.LBB23_2325:
	s_or_saveexec_b64 s[20:21], s[20:21]
	v_mov_b32_e32 v14, s27
	s_xor_b64 exec, exec, s[20:21]
	s_cbranch_execz .LBB23_2308
.LBB23_2326:
	v_cmp_ne_u16_e32 vcc, 0, v7
	s_andn2_b64 s[18:19], s[18:19], exec
	s_and_b64 s[22:23], vcc, exec
	s_or_b64 s[18:19], s[18:19], s[22:23]
	v_mov_b32_e32 v14, v7
	s_or_b64 exec, exec, s[20:21]
	s_and_saveexec_b64 s[20:21], s[18:19]
	s_cbranch_execnz .LBB23_2309
	s_branch .LBB23_2310
.LBB23_2327:
	s_mov_b64 s[16:17], -1
                                        ; implicit-def: $vgpr14
	s_branch .LBB23_2332
.LBB23_2328:
	s_mov_b64 s[16:17], -1
                                        ; implicit-def: $vgpr14
.LBB23_2329:
	s_and_b64 vcc, exec, s[16:17]
	s_cbranch_vccz .LBB23_2331
; %bb.2330:
	global_load_ubyte v7, v[12:13], off
	s_mov_b32 s16, 0x7f800000
	s_waitcnt vmcnt(0)
	v_lshlrev_b32_e32 v7, 24, v7
	v_and_b32_e32 v9, 0x7f000000, v7
	v_ffbh_u32_e32 v11, v9
	v_min_u32_e32 v11, 32, v11
	v_sub_u32_e64 v11, v11, 4 clamp
	v_lshlrev_b32_e32 v15, v11, v9
	v_lshlrev_b32_e32 v11, 23, v11
	v_lshrrev_b32_e32 v15, 4, v15
	v_add_u32_e32 v14, 0x1000000, v9
	v_sub_u32_e32 v11, v15, v11
	v_ashrrev_i32_e32 v14, 8, v14
	v_add_u32_e32 v11, 0x3c000000, v11
	v_and_or_b32 v11, v14, s16, v11
	v_cmp_ne_u32_e32 vcc, 0, v9
	v_cndmask_b32_e32 v9, 0, v11, vcc
	s_brev_b32 s16, 1
	v_and_or_b32 v7, v7, s16, v9
	v_cvt_f16_f32_e32 v14, v7
.LBB23_2331:
	s_mov_b64 s[16:17], 0
.LBB23_2332:
	s_andn2_b64 vcc, exec, s[16:17]
	s_cbranch_vccnz .LBB23_2334
; %bb.2333:
	global_load_ubyte v7, v[12:13], off
	s_movk_i32 s16, 0x7f00
	s_brev_b32 s17, 16
	s_waitcnt vmcnt(0)
	v_lshlrev_b16_e32 v9, 8, v7
	v_lshlrev_b32_e32 v7, 25, v7
	v_lshrrev_b32_e32 v11, 4, v7
	v_and_or_b32 v14, v9, s16, 0.5
	v_or_b32_e32 v11, 0x70000000, v11
	v_add_f32_e32 v14, -0.5, v14
	v_mul_f32_e32 v11, 0x7800000, v11
	v_cmp_gt_u32_e32 vcc, s17, v7
	v_bfe_i32 v9, v9, 0, 16
	v_cndmask_b32_e32 v7, v11, v14, vcc
	s_brev_b32 s16, 1
	v_and_or_b32 v7, v9, s16, v7
	v_cvt_f16_f32_e32 v14, v7
.LBB23_2334:
	s_mov_b64 s[16:17], 0
	s_mov_b64 s[18:19], -1
.LBB23_2335:
	s_andn2_b64 vcc, exec, s[16:17]
	s_mov_b64 s[16:17], 0
	s_cbranch_vccnz .LBB23_2346
; %bb.2336:
	v_cmp_gt_i16_e64 s[16:17], s26, 14
	s_and_b64 vcc, exec, s[16:17]
	s_cbranch_vccz .LBB23_2339
; %bb.2337:
	v_cmp_eq_u16_e64 s[6:7], s26, 15
	s_and_b64 vcc, exec, s[6:7]
	s_cbranch_vccz .LBB23_2342
; %bb.2338:
	global_load_ushort v7, v[12:13], off
	s_mov_b64 s[6:7], 0
	s_mov_b64 s[18:19], -1
	s_waitcnt vmcnt(0)
	v_lshlrev_b32_e32 v7, 16, v7
	v_cvt_f16_f32_e32 v14, v7
	s_branch .LBB23_2343
.LBB23_2339:
	s_mov_b64 s[20:21], -1
                                        ; implicit-def: $vgpr14
	s_branch .LBB23_2344
.LBB23_2340:
	s_or_saveexec_b64 s[18:19], s[18:19]
	v_mov_b32_e32 v14, s22
	s_xor_b64 exec, exec, s[18:19]
	s_cbranch_execz .LBB23_2321
.LBB23_2341:
	v_cmp_ne_u16_e32 vcc, 0, v7
	s_andn2_b64 s[16:17], s[16:17], exec
	s_and_b64 s[20:21], vcc, exec
	s_or_b64 s[16:17], s[16:17], s[20:21]
	v_mov_b32_e32 v14, v7
	s_or_b64 exec, exec, s[18:19]
	s_and_saveexec_b64 s[18:19], s[16:17]
	s_cbranch_execnz .LBB23_2322
	s_branch .LBB23_2323
.LBB23_2342:
	s_mov_b64 s[6:7], -1
                                        ; implicit-def: $vgpr14
.LBB23_2343:
	s_mov_b64 s[20:21], 0
.LBB23_2344:
	s_mov_b64 s[16:17], 0
	s_and_b64 vcc, exec, s[20:21]
	s_cbranch_vccz .LBB23_2346
; %bb.2345:
	v_cmp_ne_u16_e64 s[6:7], s26, 11
	s_mov_b64 s[16:17], -1
                                        ; implicit-def: $vgpr14
.LBB23_2346:
	s_and_b64 vcc, exec, s[6:7]
	s_cbranch_vccnz .LBB23_2411
; %bb.2347:
	s_andn2_b64 vcc, exec, s[16:17]
	s_cbranch_vccnz .LBB23_2349
.LBB23_2348:
	global_load_ubyte v7, v[12:13], off
	v_mov_b32_e32 v9, 0x3c00
	s_mov_b64 s[18:19], -1
	s_waitcnt vmcnt(0)
	v_cmp_ne_u16_e32 vcc, 0, v7
	v_cndmask_b32_e32 v14, 0, v9, vcc
.LBB23_2349:
	s_mov_b64 s[6:7], 0
.LBB23_2350:
	s_and_b64 vcc, exec, s[6:7]
	s_cbranch_vccz .LBB23_2399
; %bb.2351:
	v_cmp_lt_i16_e64 s[6:7], s26, 5
	s_and_b64 vcc, exec, s[6:7]
	s_cbranch_vccnz .LBB23_2356
; %bb.2352:
	v_cmp_lt_i16_e64 s[6:7], s26, 8
	s_and_b64 vcc, exec, s[6:7]
	s_cbranch_vccnz .LBB23_2357
	;; [unrolled: 4-line block ×3, first 2 shown]
; %bb.2354:
	v_cmp_gt_i16_e64 s[6:7], s26, 9
	s_and_b64 vcc, exec, s[6:7]
	s_cbranch_vccz .LBB23_2359
; %bb.2355:
	global_load_dwordx2 v[14:15], v[12:13], off
	s_mov_b64 s[6:7], 0
	s_waitcnt vmcnt(0)
	v_cvt_f32_f64_e32 v7, v[14:15]
	v_cvt_f16_f32_e32 v14, v7
	s_branch .LBB23_2360
.LBB23_2356:
	s_mov_b64 s[6:7], -1
                                        ; implicit-def: $vgpr14
	s_branch .LBB23_2378
.LBB23_2357:
	s_mov_b64 s[6:7], -1
                                        ; implicit-def: $vgpr14
	s_branch .LBB23_2366
.LBB23_2358:
	s_mov_b64 s[6:7], -1
                                        ; implicit-def: $vgpr14
	s_branch .LBB23_2363
.LBB23_2359:
	s_mov_b64 s[6:7], -1
                                        ; implicit-def: $vgpr14
.LBB23_2360:
	s_andn2_b64 vcc, exec, s[6:7]
	s_cbranch_vccnz .LBB23_2362
; %bb.2361:
	global_load_dword v7, v[12:13], off
	s_waitcnt vmcnt(0)
	v_cvt_f16_f32_e32 v14, v7
.LBB23_2362:
	s_mov_b64 s[6:7], 0
.LBB23_2363:
	s_andn2_b64 vcc, exec, s[6:7]
	s_cbranch_vccnz .LBB23_2365
; %bb.2364:
	global_load_dword v14, v[12:13], off
.LBB23_2365:
	s_mov_b64 s[6:7], 0
.LBB23_2366:
	s_andn2_b64 vcc, exec, s[6:7]
	s_cbranch_vccnz .LBB23_2377
; %bb.2367:
	v_cmp_lt_i16_e64 s[6:7], s26, 6
	s_and_b64 vcc, exec, s[6:7]
	s_cbranch_vccnz .LBB23_2370
; %bb.2368:
	v_cmp_gt_i16_e64 s[6:7], s26, 6
	s_and_b64 vcc, exec, s[6:7]
	s_cbranch_vccz .LBB23_2371
; %bb.2369:
	global_load_dwordx2 v[14:15], v[12:13], off
	s_mov_b64 s[6:7], 0
	s_waitcnt vmcnt(0)
	v_cvt_f32_f64_e32 v7, v[14:15]
	v_cvt_f16_f32_e32 v14, v7
	s_branch .LBB23_2372
.LBB23_2370:
	s_mov_b64 s[6:7], -1
                                        ; implicit-def: $vgpr14
	s_branch .LBB23_2375
.LBB23_2371:
	s_mov_b64 s[6:7], -1
                                        ; implicit-def: $vgpr14
.LBB23_2372:
	s_andn2_b64 vcc, exec, s[6:7]
	s_cbranch_vccnz .LBB23_2374
; %bb.2373:
	global_load_dword v7, v[12:13], off
	s_waitcnt vmcnt(0)
	v_cvt_f16_f32_e32 v14, v7
.LBB23_2374:
	s_mov_b64 s[6:7], 0
.LBB23_2375:
	s_andn2_b64 vcc, exec, s[6:7]
	s_cbranch_vccnz .LBB23_2377
; %bb.2376:
	global_load_ushort v14, v[12:13], off
.LBB23_2377:
	s_mov_b64 s[6:7], 0
.LBB23_2378:
	s_andn2_b64 vcc, exec, s[6:7]
	s_cbranch_vccnz .LBB23_2398
; %bb.2379:
	v_cmp_lt_i16_e64 s[6:7], s26, 2
	s_and_b64 vcc, exec, s[6:7]
	s_cbranch_vccnz .LBB23_2383
; %bb.2380:
	v_cmp_lt_i16_e64 s[6:7], s26, 3
	s_and_b64 vcc, exec, s[6:7]
	s_cbranch_vccnz .LBB23_2384
; %bb.2381:
	v_cmp_gt_i16_e64 s[6:7], s26, 3
	s_and_b64 vcc, exec, s[6:7]
	s_cbranch_vccz .LBB23_2385
; %bb.2382:
	global_load_dwordx2 v[14:15], v[12:13], off
	s_mov_b64 s[6:7], 0
	s_waitcnt vmcnt(0)
	v_xor_b32_e32 v9, v14, v15
	v_ffbh_i32_e32 v7, v15
	v_ashrrev_i32_e32 v9, 31, v9
	v_add_u32_e32 v7, -1, v7
	v_add_u32_e32 v9, 32, v9
	v_min_u32_e32 v7, v7, v9
	v_lshlrev_b64 v[14:15], v7, v[14:15]
	v_min_u32_e32 v9, 1, v14
	v_or_b32_e32 v9, v15, v9
	v_cvt_f32_i32_e32 v9, v9
	v_sub_u32_e32 v7, 32, v7
	v_ldexp_f32 v7, v9, v7
	v_cvt_f16_f32_e32 v14, v7
	s_branch .LBB23_2386
.LBB23_2383:
	s_mov_b64 s[6:7], -1
                                        ; implicit-def: $vgpr14
	s_branch .LBB23_2392
.LBB23_2384:
	s_mov_b64 s[6:7], -1
                                        ; implicit-def: $vgpr14
	s_branch .LBB23_2389
.LBB23_2385:
	s_mov_b64 s[6:7], -1
                                        ; implicit-def: $vgpr14
.LBB23_2386:
	s_andn2_b64 vcc, exec, s[6:7]
	s_cbranch_vccnz .LBB23_2388
; %bb.2387:
	global_load_dword v7, v[12:13], off
	s_waitcnt vmcnt(0)
	v_cvt_f32_i32_e32 v7, v7
	v_cvt_f16_f32_e32 v14, v7
.LBB23_2388:
	s_mov_b64 s[6:7], 0
.LBB23_2389:
	s_andn2_b64 vcc, exec, s[6:7]
	s_cbranch_vccnz .LBB23_2391
; %bb.2390:
	global_load_ushort v7, v[12:13], off
	s_waitcnt vmcnt(0)
	v_cvt_f16_i16_e32 v14, v7
.LBB23_2391:
	s_mov_b64 s[6:7], 0
.LBB23_2392:
	s_andn2_b64 vcc, exec, s[6:7]
	s_cbranch_vccnz .LBB23_2398
; %bb.2393:
	v_cmp_gt_i16_e64 s[6:7], s26, 0
	s_and_b64 vcc, exec, s[6:7]
	s_cbranch_vccz .LBB23_2395
; %bb.2394:
	global_load_sbyte v7, v[12:13], off
	s_mov_b64 s[6:7], 0
	s_waitcnt vmcnt(0)
	v_cvt_f16_i16_e32 v14, v7
	s_branch .LBB23_2396
.LBB23_2395:
	s_mov_b64 s[6:7], -1
                                        ; implicit-def: $vgpr14
.LBB23_2396:
	s_andn2_b64 vcc, exec, s[6:7]
	s_cbranch_vccnz .LBB23_2398
; %bb.2397:
	global_load_ubyte v7, v[12:13], off
	s_waitcnt vmcnt(0)
	v_cvt_f16_u16_e32 v14, v7
.LBB23_2398:
	s_mov_b64 s[18:19], -1
.LBB23_2399:
	s_andn2_b64 vcc, exec, s[18:19]
	s_cbranch_vccnz .LBB23_3113
; %bb.2400:
	v_mov_b32_e32 v7, s11
	v_add_co_u32_e32 v10, vcc, s10, v10
	v_addc_co_u32_e32 v11, vcc, 0, v7, vcc
	v_mov_b32_e32 v7, 11
	v_cmp_lt_i16_sdwa s[6:7], s25, v7 src0_sel:BYTE_0 src1_sel:DWORD
	s_and_b64 vcc, exec, s[6:7]
	s_cbranch_vccnz .LBB23_2407
; %bb.2401:
	v_mov_b32_e32 v7, 25
	v_cmp_gt_i16_sdwa s[6:7], s25, v7 src0_sel:BYTE_0 src1_sel:DWORD
	s_mov_b64 s[10:11], 0
	s_and_b64 vcc, exec, s[6:7]
	s_cbranch_vccz .LBB23_2408
; %bb.2402:
	v_mov_b32_e32 v7, 28
	v_cmp_gt_i16_sdwa s[6:7], s25, v7 src0_sel:BYTE_0 src1_sel:DWORD
	s_and_b64 vcc, exec, s[6:7]
	s_cbranch_vccz .LBB23_2409
; %bb.2403:
	v_mov_b32_e32 v7, 43
	v_cmp_gt_i16_sdwa s[6:7], s25, v7 src0_sel:BYTE_0 src1_sel:DWORD
	s_and_b64 vcc, exec, s[6:7]
	s_cbranch_vccz .LBB23_2410
; %bb.2404:
	v_mov_b32_e32 v7, 45
	v_cmp_gt_i16_sdwa s[6:7], s25, v7 src0_sel:BYTE_0 src1_sel:DWORD
	s_and_b64 vcc, exec, s[6:7]
	s_cbranch_vccz .LBB23_2412
; %bb.2405:
	v_mov_b32_e32 v7, 46
	v_cmp_eq_u16_sdwa s[6:7], s25, v7 src0_sel:BYTE_0 src1_sel:DWORD
	s_mov_b64 s[18:19], 0
	s_and_b64 vcc, exec, s[6:7]
	s_cbranch_vccz .LBB23_2413
; %bb.2406:
	global_load_dword v7, v[10:11], off
	s_mov_b64 s[6:7], 0
	s_mov_b64 s[16:17], -1
	s_waitcnt vmcnt(0)
	v_lshlrev_b32_e32 v7, 16, v7
	v_cvt_f16_f32_e32 v12, v7
	s_branch .LBB23_2414
.LBB23_2407:
	s_mov_b64 s[6:7], -1
	s_mov_b64 s[16:17], 0
                                        ; implicit-def: $vgpr12
	s_branch .LBB23_2480
.LBB23_2408:
	s_mov_b64 s[18:19], -1
	s_mov_b64 s[16:17], 0
	s_mov_b64 s[6:7], 0
                                        ; implicit-def: $vgpr12
	s_branch .LBB23_2443
.LBB23_2409:
	s_mov_b64 s[18:19], -1
	s_mov_b64 s[16:17], 0
	s_mov_b64 s[6:7], 0
                                        ; implicit-def: $vgpr12
	s_branch .LBB23_2424
.LBB23_2410:
	s_mov_b64 s[18:19], -1
	s_mov_b64 s[16:17], 0
	s_mov_b64 s[6:7], 0
                                        ; implicit-def: $vgpr12
	s_branch .LBB23_2419
.LBB23_2411:
	s_trap 2
	s_or_b64 s[4:5], s[4:5], exec
                                        ; implicit-def: $vgpr14
	s_cbranch_execz .LBB23_2348
	s_branch .LBB23_2349
.LBB23_2412:
	s_mov_b64 s[18:19], -1
	s_mov_b64 s[16:17], 0
	s_mov_b64 s[6:7], 0
                                        ; implicit-def: $vgpr12
	s_branch .LBB23_2414
.LBB23_2413:
	s_mov_b64 s[6:7], -1
                                        ; implicit-def: $vgpr12
	s_mov_b64 s[16:17], 0
.LBB23_2414:
	s_and_b64 vcc, exec, s[18:19]
	s_cbranch_vccz .LBB23_2418
; %bb.2415:
	v_mov_b32_e32 v7, 44
	v_cmp_eq_u16_sdwa s[6:7], s25, v7 src0_sel:BYTE_0 src1_sel:DWORD
	s_and_b64 vcc, exec, s[6:7]
	s_cbranch_vccz .LBB23_2417
; %bb.2416:
	global_load_ubyte v7, v[10:11], off
	s_movk_i32 s16, 0xff
	v_mov_b32_e32 v12, 0x7e00
	s_mov_b64 s[6:7], 0
	s_waitcnt vmcnt(0)
	v_lshlrev_b32_e32 v9, 23, v7
	v_cvt_f16_f32_e32 v9, v9
	v_cmp_ne_u32_e32 vcc, s16, v7
	s_mov_b64 s[16:17], -1
	v_cndmask_b32_e32 v9, v12, v9, vcc
	v_cmp_ne_u32_e32 vcc, 0, v7
	v_cndmask_b32_e32 v12, 0, v9, vcc
	s_branch .LBB23_2418
.LBB23_2417:
	s_mov_b64 s[6:7], -1
                                        ; implicit-def: $vgpr12
.LBB23_2418:
	s_mov_b64 s[18:19], 0
.LBB23_2419:
	s_and_b64 vcc, exec, s[18:19]
	s_cbranch_vccz .LBB23_2423
; %bb.2420:
	v_mov_b32_e32 v7, 29
	v_cmp_eq_u16_sdwa s[6:7], s25, v7 src0_sel:BYTE_0 src1_sel:DWORD
	s_and_b64 vcc, exec, s[6:7]
	s_cbranch_vccz .LBB23_2422
; %bb.2421:
	global_load_dwordx2 v[12:13], v[10:11], off
	s_mov_b64 s[6:7], 0
	s_mov_b64 s[16:17], -1
	s_mov_b64 s[18:19], 0
	s_waitcnt vmcnt(0)
	v_ffbh_u32_e32 v7, v13
	v_min_u32_e32 v7, 32, v7
	v_lshlrev_b64 v[12:13], v7, v[12:13]
	v_min_u32_e32 v9, 1, v12
	v_or_b32_e32 v9, v13, v9
	v_cvt_f32_u32_e32 v9, v9
	v_sub_u32_e32 v7, 32, v7
	v_ldexp_f32 v7, v9, v7
	v_cvt_f16_f32_e32 v12, v7
	s_branch .LBB23_2424
.LBB23_2422:
	s_mov_b64 s[6:7], -1
                                        ; implicit-def: $vgpr12
.LBB23_2423:
	s_mov_b64 s[18:19], 0
.LBB23_2424:
	s_and_b64 vcc, exec, s[18:19]
	s_cbranch_vccz .LBB23_2442
; %bb.2425:
	v_mov_b32_e32 v7, 27
	v_cmp_lt_i16_sdwa s[16:17], s25, v7 src0_sel:BYTE_0 src1_sel:DWORD
	s_and_b64 vcc, exec, s[16:17]
	s_cbranch_vccnz .LBB23_2428
; %bb.2426:
	v_cmp_gt_i16_sdwa s[16:17], s25, v7 src0_sel:BYTE_0 src1_sel:DWORD
	s_and_b64 vcc, exec, s[16:17]
	s_cbranch_vccz .LBB23_2429
; %bb.2427:
	global_load_dword v7, v[10:11], off
	s_mov_b64 s[16:17], 0
	s_waitcnt vmcnt(0)
	v_cvt_f32_u32_e32 v7, v7
	v_cvt_f16_f32_e32 v12, v7
	s_branch .LBB23_2430
.LBB23_2428:
	s_mov_b64 s[16:17], -1
                                        ; implicit-def: $vgpr12
	s_branch .LBB23_2433
.LBB23_2429:
	s_mov_b64 s[16:17], -1
                                        ; implicit-def: $vgpr12
.LBB23_2430:
	s_andn2_b64 vcc, exec, s[16:17]
	s_cbranch_vccnz .LBB23_2432
; %bb.2431:
	global_load_ushort v7, v[10:11], off
	s_waitcnt vmcnt(0)
	v_cvt_f16_u16_e32 v12, v7
.LBB23_2432:
	s_mov_b64 s[16:17], 0
.LBB23_2433:
	s_andn2_b64 vcc, exec, s[16:17]
	s_cbranch_vccnz .LBB23_2441
; %bb.2434:
	global_load_ubyte v7, v[10:11], off
	s_movk_i32 s16, 0x7f
                                        ; implicit-def: $sgpr22
	s_waitcnt vmcnt(0)
	v_cmp_lt_i16_e32 vcc, s16, v7
	s_mov_b64 s[16:17], 0
	s_and_saveexec_b64 s[18:19], vcc
	s_xor_b64 s[18:19], exec, s[18:19]
	s_cbranch_execz .LBB23_2455
; %bb.2435:
	s_movk_i32 s16, 0x80
	v_cmp_eq_u16_e32 vcc, s16, v7
	s_mov_b64 s[16:17], -1
                                        ; implicit-def: $sgpr22
	s_and_saveexec_b64 s[20:21], vcc
; %bb.2436:
	s_movk_i32 s22, 0x7e00
	s_xor_b64 s[16:17], exec, -1
; %bb.2437:
	s_or_b64 exec, exec, s[20:21]
	s_and_b64 s[16:17], s[16:17], exec
	s_or_saveexec_b64 s[18:19], s[18:19]
	v_mov_b32_e32 v12, s22
	s_xor_b64 exec, exec, s[18:19]
	s_cbranch_execnz .LBB23_2456
.LBB23_2438:
	s_or_b64 exec, exec, s[18:19]
	s_and_saveexec_b64 s[18:19], s[16:17]
	s_cbranch_execz .LBB23_2440
.LBB23_2439:
	v_lshlrev_b32_e32 v9, 24, v7
	v_and_b32_e32 v7, 0xffff, v7
	v_and_b32_e32 v12, 7, v7
	v_ffbh_u32_e32 v15, v12
	v_min_u32_e32 v15, 32, v15
	v_subrev_u32_e32 v17, 28, v15
	v_bfe_u32 v13, v7, 3, 4
	v_lshlrev_b32_e32 v7, v17, v7
	v_sub_u32_e32 v15, 29, v15
	v_and_b32_e32 v7, 7, v7
	v_cmp_eq_u32_e32 vcc, 0, v13
	v_cndmask_b32_e32 v13, v13, v15, vcc
	v_cndmask_b32_e32 v7, v12, v7, vcc
	v_mov_b32_e32 v12, 0x3b800000
	v_lshlrev_b32_e32 v7, 20, v7
	v_and_b32_e32 v9, 0x80000000, v9
	v_lshl_add_u32 v12, v13, 23, v12
	v_or3_b32 v7, v9, v12, v7
	v_cvt_f16_f32_e32 v12, v7
.LBB23_2440:
	s_or_b64 exec, exec, s[18:19]
.LBB23_2441:
	s_mov_b64 s[16:17], -1
.LBB23_2442:
	s_mov_b64 s[18:19], 0
.LBB23_2443:
	s_and_b64 vcc, exec, s[18:19]
	s_cbranch_vccz .LBB23_2476
; %bb.2444:
	v_mov_b32_e32 v7, 22
	v_cmp_gt_i16_sdwa s[10:11], s25, v7 src0_sel:BYTE_0 src1_sel:DWORD
	s_and_b64 vcc, exec, s[10:11]
	s_cbranch_vccz .LBB23_2454
; %bb.2445:
	v_mov_b32_e32 v7, 24
	v_cmp_lt_i16_sdwa s[10:11], s25, v7 src0_sel:BYTE_0 src1_sel:DWORD
	s_and_b64 vcc, exec, s[10:11]
	s_cbranch_vccnz .LBB23_2457
; %bb.2446:
	v_cmp_gt_i16_sdwa s[10:11], s25, v7 src0_sel:BYTE_0 src1_sel:DWORD
	s_and_b64 vcc, exec, s[10:11]
	s_cbranch_vccz .LBB23_2458
; %bb.2447:
	global_load_ubyte v7, v[10:11], off
	s_movk_i32 s10, 0x7f
                                        ; implicit-def: $sgpr20
	s_waitcnt vmcnt(0)
	v_cmp_lt_i16_e32 vcc, s10, v7
	s_mov_b64 s[10:11], 0
	s_and_saveexec_b64 s[16:17], vcc
	s_xor_b64 s[16:17], exec, s[16:17]
	s_cbranch_execz .LBB23_2470
; %bb.2448:
	s_movk_i32 s10, 0x80
	v_cmp_eq_u16_e32 vcc, s10, v7
	s_mov_b64 s[10:11], -1
                                        ; implicit-def: $sgpr20
	s_and_saveexec_b64 s[18:19], vcc
; %bb.2449:
	s_movk_i32 s20, 0x7e00
	s_xor_b64 s[10:11], exec, -1
; %bb.2450:
	s_or_b64 exec, exec, s[18:19]
	s_and_b64 s[10:11], s[10:11], exec
	s_or_saveexec_b64 s[16:17], s[16:17]
	v_mov_b32_e32 v12, s20
	s_xor_b64 exec, exec, s[16:17]
	s_cbranch_execnz .LBB23_2471
.LBB23_2451:
	s_or_b64 exec, exec, s[16:17]
	s_and_saveexec_b64 s[16:17], s[10:11]
	s_cbranch_execz .LBB23_2453
.LBB23_2452:
	v_lshlrev_b32_e32 v9, 24, v7
	v_and_b32_e32 v7, 0xffff, v7
	v_and_b32_e32 v12, 3, v7
	v_ffbh_u32_e32 v15, v12
	v_min_u32_e32 v15, 32, v15
	v_subrev_u32_e32 v17, 29, v15
	v_bfe_u32 v13, v7, 2, 5
	v_lshlrev_b32_e32 v7, v17, v7
	v_sub_u32_e32 v15, 30, v15
	v_and_b32_e32 v7, 3, v7
	v_cmp_eq_u32_e32 vcc, 0, v13
	v_cndmask_b32_e32 v13, v13, v15, vcc
	v_cndmask_b32_e32 v7, v12, v7, vcc
	v_mov_b32_e32 v12, 0x37800000
	v_lshlrev_b32_e32 v7, 21, v7
	v_and_b32_e32 v9, 0x80000000, v9
	v_lshl_add_u32 v12, v13, 23, v12
	v_or3_b32 v7, v9, v12, v7
	v_cvt_f16_f32_e32 v12, v7
.LBB23_2453:
	s_or_b64 exec, exec, s[16:17]
	s_mov_b64 s[10:11], 0
	s_branch .LBB23_2459
.LBB23_2454:
	s_mov_b64 s[10:11], -1
                                        ; implicit-def: $vgpr12
	s_branch .LBB23_2465
.LBB23_2455:
	s_or_saveexec_b64 s[18:19], s[18:19]
	v_mov_b32_e32 v12, s22
	s_xor_b64 exec, exec, s[18:19]
	s_cbranch_execz .LBB23_2438
.LBB23_2456:
	v_cmp_ne_u16_e32 vcc, 0, v7
	s_andn2_b64 s[16:17], s[16:17], exec
	s_and_b64 s[20:21], vcc, exec
	s_or_b64 s[16:17], s[16:17], s[20:21]
	v_mov_b32_e32 v12, v7
	s_or_b64 exec, exec, s[18:19]
	s_and_saveexec_b64 s[18:19], s[16:17]
	s_cbranch_execnz .LBB23_2439
	s_branch .LBB23_2440
.LBB23_2457:
	s_mov_b64 s[10:11], -1
                                        ; implicit-def: $vgpr12
	s_branch .LBB23_2462
.LBB23_2458:
	s_mov_b64 s[10:11], -1
                                        ; implicit-def: $vgpr12
.LBB23_2459:
	s_and_b64 vcc, exec, s[10:11]
	s_cbranch_vccz .LBB23_2461
; %bb.2460:
	global_load_ubyte v7, v[10:11], off
	s_mov_b32 s10, 0x7f800000
	s_waitcnt vmcnt(0)
	v_lshlrev_b32_e32 v7, 24, v7
	v_and_b32_e32 v9, 0x7f000000, v7
	v_ffbh_u32_e32 v12, v9
	v_min_u32_e32 v12, 32, v12
	v_sub_u32_e64 v12, v12, 4 clamp
	v_lshlrev_b32_e32 v15, v12, v9
	v_lshlrev_b32_e32 v12, 23, v12
	v_lshrrev_b32_e32 v15, 4, v15
	v_add_u32_e32 v13, 0x1000000, v9
	v_sub_u32_e32 v12, v15, v12
	v_ashrrev_i32_e32 v13, 8, v13
	v_add_u32_e32 v12, 0x3c000000, v12
	v_and_or_b32 v12, v13, s10, v12
	v_cmp_ne_u32_e32 vcc, 0, v9
	v_cndmask_b32_e32 v9, 0, v12, vcc
	s_brev_b32 s10, 1
	v_and_or_b32 v7, v7, s10, v9
	v_cvt_f16_f32_e32 v12, v7
.LBB23_2461:
	s_mov_b64 s[10:11], 0
.LBB23_2462:
	s_andn2_b64 vcc, exec, s[10:11]
	s_cbranch_vccnz .LBB23_2464
; %bb.2463:
	global_load_ubyte v7, v[10:11], off
	s_movk_i32 s10, 0x7f00
	s_brev_b32 s11, 16
	s_waitcnt vmcnt(0)
	v_lshlrev_b16_e32 v9, 8, v7
	v_lshlrev_b32_e32 v7, 25, v7
	v_lshrrev_b32_e32 v12, 4, v7
	v_and_or_b32 v13, v9, s10, 0.5
	v_or_b32_e32 v12, 0x70000000, v12
	v_add_f32_e32 v13, -0.5, v13
	v_mul_f32_e32 v12, 0x7800000, v12
	v_cmp_gt_u32_e32 vcc, s11, v7
	v_bfe_i32 v9, v9, 0, 16
	v_cndmask_b32_e32 v7, v12, v13, vcc
	s_brev_b32 s10, 1
	v_and_or_b32 v7, v9, s10, v7
	v_cvt_f16_f32_e32 v12, v7
.LBB23_2464:
	s_mov_b64 s[10:11], 0
	s_mov_b64 s[16:17], -1
.LBB23_2465:
	s_andn2_b64 vcc, exec, s[10:11]
	s_mov_b64 s[10:11], 0
	s_cbranch_vccnz .LBB23_2476
; %bb.2466:
	v_mov_b32_e32 v7, 14
	v_cmp_gt_i16_sdwa s[10:11], s25, v7 src0_sel:BYTE_0 src1_sel:DWORD
	s_and_b64 vcc, exec, s[10:11]
	s_cbranch_vccz .LBB23_2469
; %bb.2467:
	v_mov_b32_e32 v7, 15
	v_cmp_eq_u16_sdwa s[6:7], s25, v7 src0_sel:BYTE_0 src1_sel:DWORD
	s_and_b64 vcc, exec, s[6:7]
	s_cbranch_vccz .LBB23_2472
; %bb.2468:
	global_load_ushort v7, v[10:11], off
	s_mov_b64 s[6:7], 0
	s_mov_b64 s[16:17], -1
	s_waitcnt vmcnt(0)
	v_lshlrev_b32_e32 v7, 16, v7
	v_cvt_f16_f32_e32 v12, v7
	s_branch .LBB23_2473
.LBB23_2469:
	s_mov_b64 s[18:19], -1
                                        ; implicit-def: $vgpr12
	s_branch .LBB23_2474
.LBB23_2470:
	s_or_saveexec_b64 s[16:17], s[16:17]
	v_mov_b32_e32 v12, s20
	s_xor_b64 exec, exec, s[16:17]
	s_cbranch_execz .LBB23_2451
.LBB23_2471:
	v_cmp_ne_u16_e32 vcc, 0, v7
	s_andn2_b64 s[10:11], s[10:11], exec
	s_and_b64 s[18:19], vcc, exec
	s_or_b64 s[10:11], s[10:11], s[18:19]
	v_mov_b32_e32 v12, v7
	s_or_b64 exec, exec, s[16:17]
	s_and_saveexec_b64 s[16:17], s[10:11]
	s_cbranch_execnz .LBB23_2452
	s_branch .LBB23_2453
.LBB23_2472:
	s_mov_b64 s[6:7], -1
                                        ; implicit-def: $vgpr12
.LBB23_2473:
	s_mov_b64 s[18:19], 0
.LBB23_2474:
	s_mov_b64 s[10:11], 0
	s_and_b64 vcc, exec, s[18:19]
	s_cbranch_vccz .LBB23_2476
; %bb.2475:
	v_mov_b32_e32 v7, 11
	v_cmp_ne_u16_sdwa s[6:7], s25, v7 src0_sel:BYTE_0 src1_sel:DWORD
	s_mov_b64 s[10:11], -1
                                        ; implicit-def: $vgpr12
.LBB23_2476:
	s_and_b64 vcc, exec, s[6:7]
	s_cbranch_vccnz .LBB23_2541
; %bb.2477:
	s_andn2_b64 vcc, exec, s[10:11]
	s_cbranch_vccnz .LBB23_2479
.LBB23_2478:
	global_load_ubyte v7, v[10:11], off
	v_mov_b32_e32 v9, 0x3c00
	s_mov_b64 s[16:17], -1
	s_waitcnt vmcnt(0)
	v_cmp_ne_u16_e32 vcc, 0, v7
	v_cndmask_b32_e32 v12, 0, v9, vcc
.LBB23_2479:
	s_mov_b64 s[6:7], 0
.LBB23_2480:
	s_and_b64 vcc, exec, s[6:7]
	s_cbranch_vccz .LBB23_2529
; %bb.2481:
	v_mov_b32_e32 v7, 5
	v_cmp_lt_i16_sdwa s[6:7], s25, v7 src0_sel:BYTE_0 src1_sel:DWORD
	s_and_b64 vcc, exec, s[6:7]
	s_cbranch_vccnz .LBB23_2486
; %bb.2482:
	v_mov_b32_e32 v7, 8
	v_cmp_lt_i16_sdwa s[6:7], s25, v7 src0_sel:BYTE_0 src1_sel:DWORD
	s_and_b64 vcc, exec, s[6:7]
	s_cbranch_vccnz .LBB23_2487
	;; [unrolled: 5-line block ×3, first 2 shown]
; %bb.2484:
	v_cmp_gt_i16_sdwa s[6:7], s25, v7 src0_sel:BYTE_0 src1_sel:DWORD
	s_and_b64 vcc, exec, s[6:7]
	s_cbranch_vccz .LBB23_2489
; %bb.2485:
	global_load_dwordx2 v[12:13], v[10:11], off
	s_mov_b64 s[6:7], 0
	s_waitcnt vmcnt(0)
	v_cvt_f32_f64_e32 v7, v[12:13]
	v_cvt_f16_f32_e32 v12, v7
	s_branch .LBB23_2490
.LBB23_2486:
	s_mov_b64 s[6:7], -1
                                        ; implicit-def: $vgpr12
	s_branch .LBB23_2508
.LBB23_2487:
	s_mov_b64 s[6:7], -1
                                        ; implicit-def: $vgpr12
	s_branch .LBB23_2496
.LBB23_2488:
	s_mov_b64 s[6:7], -1
                                        ; implicit-def: $vgpr12
	s_branch .LBB23_2493
.LBB23_2489:
	s_mov_b64 s[6:7], -1
                                        ; implicit-def: $vgpr12
.LBB23_2490:
	s_andn2_b64 vcc, exec, s[6:7]
	s_cbranch_vccnz .LBB23_2492
; %bb.2491:
	global_load_dword v7, v[10:11], off
	s_waitcnt vmcnt(0)
	v_cvt_f16_f32_e32 v12, v7
.LBB23_2492:
	s_mov_b64 s[6:7], 0
.LBB23_2493:
	s_andn2_b64 vcc, exec, s[6:7]
	s_cbranch_vccnz .LBB23_2495
; %bb.2494:
	global_load_dword v12, v[10:11], off
.LBB23_2495:
	s_mov_b64 s[6:7], 0
.LBB23_2496:
	s_andn2_b64 vcc, exec, s[6:7]
	s_cbranch_vccnz .LBB23_2507
; %bb.2497:
	v_mov_b32_e32 v7, 6
	v_cmp_lt_i16_sdwa s[6:7], s25, v7 src0_sel:BYTE_0 src1_sel:DWORD
	s_and_b64 vcc, exec, s[6:7]
	s_cbranch_vccnz .LBB23_2500
; %bb.2498:
	v_cmp_gt_i16_sdwa s[6:7], s25, v7 src0_sel:BYTE_0 src1_sel:DWORD
	s_and_b64 vcc, exec, s[6:7]
	s_cbranch_vccz .LBB23_2501
; %bb.2499:
	global_load_dwordx2 v[12:13], v[10:11], off
	s_mov_b64 s[6:7], 0
	s_waitcnt vmcnt(0)
	v_cvt_f32_f64_e32 v7, v[12:13]
	v_cvt_f16_f32_e32 v12, v7
	s_branch .LBB23_2502
.LBB23_2500:
	s_mov_b64 s[6:7], -1
                                        ; implicit-def: $vgpr12
	s_branch .LBB23_2505
.LBB23_2501:
	s_mov_b64 s[6:7], -1
                                        ; implicit-def: $vgpr12
.LBB23_2502:
	s_andn2_b64 vcc, exec, s[6:7]
	s_cbranch_vccnz .LBB23_2504
; %bb.2503:
	global_load_dword v7, v[10:11], off
	s_waitcnt vmcnt(0)
	v_cvt_f16_f32_e32 v12, v7
.LBB23_2504:
	s_mov_b64 s[6:7], 0
.LBB23_2505:
	s_andn2_b64 vcc, exec, s[6:7]
	s_cbranch_vccnz .LBB23_2507
; %bb.2506:
	global_load_ushort v12, v[10:11], off
.LBB23_2507:
	s_mov_b64 s[6:7], 0
.LBB23_2508:
	s_andn2_b64 vcc, exec, s[6:7]
	s_cbranch_vccnz .LBB23_2528
; %bb.2509:
	v_mov_b32_e32 v7, 2
	v_cmp_lt_i16_sdwa s[6:7], s25, v7 src0_sel:BYTE_0 src1_sel:DWORD
	s_and_b64 vcc, exec, s[6:7]
	s_cbranch_vccnz .LBB23_2513
; %bb.2510:
	v_mov_b32_e32 v7, 3
	v_cmp_lt_i16_sdwa s[6:7], s25, v7 src0_sel:BYTE_0 src1_sel:DWORD
	s_and_b64 vcc, exec, s[6:7]
	s_cbranch_vccnz .LBB23_2514
; %bb.2511:
	v_cmp_gt_i16_sdwa s[6:7], s25, v7 src0_sel:BYTE_0 src1_sel:DWORD
	s_and_b64 vcc, exec, s[6:7]
	s_cbranch_vccz .LBB23_2515
; %bb.2512:
	global_load_dwordx2 v[12:13], v[10:11], off
	s_mov_b64 s[6:7], 0
	s_waitcnt vmcnt(0)
	v_xor_b32_e32 v9, v12, v13
	v_ffbh_i32_e32 v7, v13
	v_ashrrev_i32_e32 v9, 31, v9
	v_add_u32_e32 v7, -1, v7
	v_add_u32_e32 v9, 32, v9
	v_min_u32_e32 v7, v7, v9
	v_lshlrev_b64 v[12:13], v7, v[12:13]
	v_min_u32_e32 v9, 1, v12
	v_or_b32_e32 v9, v13, v9
	v_cvt_f32_i32_e32 v9, v9
	v_sub_u32_e32 v7, 32, v7
	v_ldexp_f32 v7, v9, v7
	v_cvt_f16_f32_e32 v12, v7
	s_branch .LBB23_2516
.LBB23_2513:
	s_mov_b64 s[6:7], -1
                                        ; implicit-def: $vgpr12
	s_branch .LBB23_2522
.LBB23_2514:
	s_mov_b64 s[6:7], -1
                                        ; implicit-def: $vgpr12
	s_branch .LBB23_2519
.LBB23_2515:
	s_mov_b64 s[6:7], -1
                                        ; implicit-def: $vgpr12
.LBB23_2516:
	s_andn2_b64 vcc, exec, s[6:7]
	s_cbranch_vccnz .LBB23_2518
; %bb.2517:
	global_load_dword v7, v[10:11], off
	s_waitcnt vmcnt(0)
	v_cvt_f32_i32_e32 v7, v7
	v_cvt_f16_f32_e32 v12, v7
.LBB23_2518:
	s_mov_b64 s[6:7], 0
.LBB23_2519:
	s_andn2_b64 vcc, exec, s[6:7]
	s_cbranch_vccnz .LBB23_2521
; %bb.2520:
	global_load_ushort v7, v[10:11], off
	s_waitcnt vmcnt(0)
	v_cvt_f16_i16_e32 v12, v7
.LBB23_2521:
	s_mov_b64 s[6:7], 0
.LBB23_2522:
	s_andn2_b64 vcc, exec, s[6:7]
	s_cbranch_vccnz .LBB23_2528
; %bb.2523:
	v_mov_b32_e32 v7, 0
	v_cmp_gt_i16_sdwa s[6:7], s25, v7 src0_sel:BYTE_0 src1_sel:DWORD
	s_and_b64 vcc, exec, s[6:7]
	s_cbranch_vccz .LBB23_2525
; %bb.2524:
	global_load_sbyte v7, v[10:11], off
	s_mov_b64 s[6:7], 0
	s_waitcnt vmcnt(0)
	v_cvt_f16_i16_e32 v12, v7
	s_branch .LBB23_2526
.LBB23_2525:
	s_mov_b64 s[6:7], -1
                                        ; implicit-def: $vgpr12
.LBB23_2526:
	s_andn2_b64 vcc, exec, s[6:7]
	s_cbranch_vccnz .LBB23_2528
; %bb.2527:
	global_load_ubyte v7, v[10:11], off
	s_waitcnt vmcnt(0)
	v_cvt_f16_u16_e32 v12, v7
.LBB23_2528:
	s_mov_b64 s[16:17], -1
.LBB23_2529:
	s_andn2_b64 vcc, exec, s[16:17]
	s_cbranch_vccnz .LBB23_3113
; %bb.2530:
	v_mov_b32_e32 v7, s1
	v_add_co_u32_e32 v8, vcc, s0, v8
	v_addc_co_u32_e32 v9, vcc, 0, v7, vcc
	s_and_b64 vcc, exec, s[2:3]
	s_cbranch_vccnz .LBB23_2537
; %bb.2531:
	v_cmp_gt_i16_e64 s[0:1], s26, 25
	s_mov_b64 s[2:3], 0
	s_and_b64 vcc, exec, s[0:1]
	s_cbranch_vccz .LBB23_2538
; %bb.2532:
	v_cmp_gt_i16_e64 s[0:1], s26, 28
	s_and_b64 vcc, exec, s[0:1]
	s_cbranch_vccz .LBB23_2539
; %bb.2533:
	v_cmp_gt_i16_e64 s[0:1], s26, 43
	;; [unrolled: 4-line block ×3, first 2 shown]
	s_and_b64 vcc, exec, s[0:1]
	s_cbranch_vccz .LBB23_2542
; %bb.2535:
	v_cmp_eq_u16_e64 s[0:1], s26, 46
	s_mov_b64 s[10:11], 0
	s_and_b64 vcc, exec, s[0:1]
	s_cbranch_vccz .LBB23_2543
; %bb.2536:
	global_load_dword v7, v[8:9], off
	s_mov_b64 s[0:1], 0
	s_mov_b64 s[6:7], -1
	s_waitcnt vmcnt(0)
	v_lshlrev_b32_e32 v7, 16, v7
	v_cvt_f16_f32_e32 v10, v7
	s_branch .LBB23_2544
.LBB23_2537:
	s_mov_b64 s[0:1], -1
	s_mov_b64 s[6:7], 0
                                        ; implicit-def: $vgpr10
	s_branch .LBB23_2610
.LBB23_2538:
	s_mov_b64 s[10:11], -1
	s_mov_b64 s[6:7], 0
	s_mov_b64 s[0:1], 0
                                        ; implicit-def: $vgpr10
	s_branch .LBB23_2573
.LBB23_2539:
	s_mov_b64 s[10:11], -1
	s_mov_b64 s[6:7], 0
	s_mov_b64 s[0:1], 0
                                        ; implicit-def: $vgpr10
	s_branch .LBB23_2554
.LBB23_2540:
	s_mov_b64 s[10:11], -1
	s_mov_b64 s[6:7], 0
	s_mov_b64 s[0:1], 0
                                        ; implicit-def: $vgpr10
	s_branch .LBB23_2549
.LBB23_2541:
	s_trap 2
	s_or_b64 s[4:5], s[4:5], exec
                                        ; implicit-def: $vgpr12
	s_cbranch_execz .LBB23_2478
	s_branch .LBB23_2479
.LBB23_2542:
	s_mov_b64 s[10:11], -1
	s_mov_b64 s[6:7], 0
	s_mov_b64 s[0:1], 0
                                        ; implicit-def: $vgpr10
	s_branch .LBB23_2544
.LBB23_2543:
	s_mov_b64 s[0:1], -1
                                        ; implicit-def: $vgpr10
	s_mov_b64 s[6:7], 0
.LBB23_2544:
	s_and_b64 vcc, exec, s[10:11]
	s_cbranch_vccz .LBB23_2548
; %bb.2545:
	v_cmp_eq_u16_e64 s[0:1], s26, 44
	s_and_b64 vcc, exec, s[0:1]
	s_cbranch_vccz .LBB23_2547
; %bb.2546:
	global_load_ubyte v7, v[8:9], off
	s_movk_i32 s6, 0xff
	v_mov_b32_e32 v11, 0x7e00
	s_mov_b64 s[0:1], 0
	s_waitcnt vmcnt(0)
	v_lshlrev_b32_e32 v10, 23, v7
	v_cvt_f16_f32_e32 v10, v10
	v_cmp_ne_u32_e32 vcc, s6, v7
	s_mov_b64 s[6:7], -1
	v_cndmask_b32_e32 v10, v11, v10, vcc
	v_cmp_ne_u32_e32 vcc, 0, v7
	v_cndmask_b32_e32 v10, 0, v10, vcc
	s_branch .LBB23_2548
.LBB23_2547:
	s_mov_b64 s[0:1], -1
                                        ; implicit-def: $vgpr10
.LBB23_2548:
	s_mov_b64 s[10:11], 0
.LBB23_2549:
	s_and_b64 vcc, exec, s[10:11]
	s_cbranch_vccz .LBB23_2553
; %bb.2550:
	v_cmp_eq_u16_e64 s[0:1], s26, 29
	s_and_b64 vcc, exec, s[0:1]
	s_cbranch_vccz .LBB23_2552
; %bb.2551:
	global_load_dwordx2 v[10:11], v[8:9], off
	s_mov_b64 s[0:1], 0
	s_mov_b64 s[6:7], -1
	s_mov_b64 s[10:11], 0
	s_waitcnt vmcnt(0)
	v_ffbh_u32_e32 v7, v11
	v_min_u32_e32 v7, 32, v7
	v_lshlrev_b64 v[10:11], v7, v[10:11]
	v_min_u32_e32 v10, 1, v10
	v_or_b32_e32 v10, v11, v10
	v_cvt_f32_u32_e32 v10, v10
	v_sub_u32_e32 v7, 32, v7
	v_ldexp_f32 v7, v10, v7
	v_cvt_f16_f32_e32 v10, v7
	s_branch .LBB23_2554
.LBB23_2552:
	s_mov_b64 s[0:1], -1
                                        ; implicit-def: $vgpr10
.LBB23_2553:
	s_mov_b64 s[10:11], 0
.LBB23_2554:
	s_and_b64 vcc, exec, s[10:11]
	s_cbranch_vccz .LBB23_2572
; %bb.2555:
	v_cmp_lt_i16_e64 s[6:7], s26, 27
	s_and_b64 vcc, exec, s[6:7]
	s_cbranch_vccnz .LBB23_2558
; %bb.2556:
	v_cmp_gt_i16_e64 s[6:7], s26, 27
	s_and_b64 vcc, exec, s[6:7]
	s_cbranch_vccz .LBB23_2559
; %bb.2557:
	global_load_dword v7, v[8:9], off
	s_mov_b64 s[6:7], 0
	s_waitcnt vmcnt(0)
	v_cvt_f32_u32_e32 v7, v7
	v_cvt_f16_f32_e32 v10, v7
	s_branch .LBB23_2560
.LBB23_2558:
	s_mov_b64 s[6:7], -1
                                        ; implicit-def: $vgpr10
	s_branch .LBB23_2563
.LBB23_2559:
	s_mov_b64 s[6:7], -1
                                        ; implicit-def: $vgpr10
.LBB23_2560:
	s_andn2_b64 vcc, exec, s[6:7]
	s_cbranch_vccnz .LBB23_2562
; %bb.2561:
	global_load_ushort v7, v[8:9], off
	s_waitcnt vmcnt(0)
	v_cvt_f16_u16_e32 v10, v7
.LBB23_2562:
	s_mov_b64 s[6:7], 0
.LBB23_2563:
	s_andn2_b64 vcc, exec, s[6:7]
	s_cbranch_vccnz .LBB23_2571
; %bb.2564:
	global_load_ubyte v7, v[8:9], off
	s_movk_i32 s6, 0x7f
                                        ; implicit-def: $sgpr18
	s_waitcnt vmcnt(0)
	v_cmp_lt_i16_e32 vcc, s6, v7
	s_mov_b64 s[6:7], 0
	s_and_saveexec_b64 s[10:11], vcc
	s_xor_b64 s[10:11], exec, s[10:11]
	s_cbranch_execz .LBB23_2585
; %bb.2565:
	s_movk_i32 s6, 0x80
	v_cmp_eq_u16_e32 vcc, s6, v7
	s_mov_b64 s[6:7], -1
                                        ; implicit-def: $sgpr18
	s_and_saveexec_b64 s[16:17], vcc
; %bb.2566:
	s_movk_i32 s18, 0x7e00
	s_xor_b64 s[6:7], exec, -1
; %bb.2567:
	s_or_b64 exec, exec, s[16:17]
	s_and_b64 s[6:7], s[6:7], exec
	s_or_saveexec_b64 s[10:11], s[10:11]
	v_mov_b32_e32 v10, s18
	s_xor_b64 exec, exec, s[10:11]
	s_cbranch_execnz .LBB23_2586
.LBB23_2568:
	s_or_b64 exec, exec, s[10:11]
	s_and_saveexec_b64 s[10:11], s[6:7]
	s_cbranch_execz .LBB23_2570
.LBB23_2569:
	v_lshlrev_b32_e32 v10, 24, v7
	v_and_b32_e32 v7, 0xffff, v7
	v_and_b32_e32 v11, 7, v7
	v_ffbh_u32_e32 v15, v11
	v_min_u32_e32 v15, 32, v15
	v_subrev_u32_e32 v17, 28, v15
	v_bfe_u32 v13, v7, 3, 4
	v_lshlrev_b32_e32 v7, v17, v7
	v_sub_u32_e32 v15, 29, v15
	v_and_b32_e32 v7, 7, v7
	v_cmp_eq_u32_e32 vcc, 0, v13
	v_cndmask_b32_e32 v13, v13, v15, vcc
	v_cndmask_b32_e32 v7, v11, v7, vcc
	v_mov_b32_e32 v11, 0x3b800000
	v_lshlrev_b32_e32 v7, 20, v7
	v_and_b32_e32 v10, 0x80000000, v10
	v_lshl_add_u32 v11, v13, 23, v11
	v_or3_b32 v7, v10, v11, v7
	v_cvt_f16_f32_e32 v10, v7
.LBB23_2570:
	s_or_b64 exec, exec, s[10:11]
.LBB23_2571:
	s_mov_b64 s[6:7], -1
.LBB23_2572:
	s_mov_b64 s[10:11], 0
.LBB23_2573:
	s_and_b64 vcc, exec, s[10:11]
	s_cbranch_vccz .LBB23_2606
; %bb.2574:
	v_cmp_gt_i16_e64 s[2:3], s26, 22
	s_and_b64 vcc, exec, s[2:3]
	s_cbranch_vccz .LBB23_2584
; %bb.2575:
	v_cmp_lt_i16_e64 s[2:3], s26, 24
	s_and_b64 vcc, exec, s[2:3]
	s_cbranch_vccnz .LBB23_2587
; %bb.2576:
	v_cmp_gt_i16_e64 s[2:3], s26, 24
	s_and_b64 vcc, exec, s[2:3]
	s_cbranch_vccz .LBB23_2588
; %bb.2577:
	global_load_ubyte v7, v[8:9], off
	s_movk_i32 s2, 0x7f
                                        ; implicit-def: $sgpr16
	s_waitcnt vmcnt(0)
	v_cmp_lt_i16_e32 vcc, s2, v7
	s_mov_b64 s[2:3], 0
	s_and_saveexec_b64 s[6:7], vcc
	s_xor_b64 s[6:7], exec, s[6:7]
	s_cbranch_execz .LBB23_2600
; %bb.2578:
	s_movk_i32 s2, 0x80
	v_cmp_eq_u16_e32 vcc, s2, v7
	s_mov_b64 s[2:3], -1
                                        ; implicit-def: $sgpr16
	s_and_saveexec_b64 s[10:11], vcc
; %bb.2579:
	s_movk_i32 s16, 0x7e00
	s_xor_b64 s[2:3], exec, -1
; %bb.2580:
	s_or_b64 exec, exec, s[10:11]
	s_and_b64 s[2:3], s[2:3], exec
	s_or_saveexec_b64 s[6:7], s[6:7]
	v_mov_b32_e32 v10, s16
	s_xor_b64 exec, exec, s[6:7]
	s_cbranch_execnz .LBB23_2601
.LBB23_2581:
	s_or_b64 exec, exec, s[6:7]
	s_and_saveexec_b64 s[6:7], s[2:3]
	s_cbranch_execz .LBB23_2583
.LBB23_2582:
	v_lshlrev_b32_e32 v10, 24, v7
	v_and_b32_e32 v7, 0xffff, v7
	v_and_b32_e32 v11, 3, v7
	v_ffbh_u32_e32 v15, v11
	v_min_u32_e32 v15, 32, v15
	v_subrev_u32_e32 v17, 29, v15
	v_bfe_u32 v13, v7, 2, 5
	v_lshlrev_b32_e32 v7, v17, v7
	v_sub_u32_e32 v15, 30, v15
	v_and_b32_e32 v7, 3, v7
	v_cmp_eq_u32_e32 vcc, 0, v13
	v_cndmask_b32_e32 v13, v13, v15, vcc
	v_cndmask_b32_e32 v7, v11, v7, vcc
	v_mov_b32_e32 v11, 0x37800000
	v_lshlrev_b32_e32 v7, 21, v7
	v_and_b32_e32 v10, 0x80000000, v10
	v_lshl_add_u32 v11, v13, 23, v11
	v_or3_b32 v7, v10, v11, v7
	v_cvt_f16_f32_e32 v10, v7
.LBB23_2583:
	s_or_b64 exec, exec, s[6:7]
	s_mov_b64 s[2:3], 0
	s_branch .LBB23_2589
.LBB23_2584:
	s_mov_b64 s[2:3], -1
                                        ; implicit-def: $vgpr10
	s_branch .LBB23_2595
.LBB23_2585:
	s_or_saveexec_b64 s[10:11], s[10:11]
	v_mov_b32_e32 v10, s18
	s_xor_b64 exec, exec, s[10:11]
	s_cbranch_execz .LBB23_2568
.LBB23_2586:
	v_cmp_ne_u16_e32 vcc, 0, v7
	s_andn2_b64 s[6:7], s[6:7], exec
	s_and_b64 s[16:17], vcc, exec
	s_or_b64 s[6:7], s[6:7], s[16:17]
	v_mov_b32_e32 v10, v7
	s_or_b64 exec, exec, s[10:11]
	s_and_saveexec_b64 s[10:11], s[6:7]
	s_cbranch_execnz .LBB23_2569
	s_branch .LBB23_2570
.LBB23_2587:
	s_mov_b64 s[2:3], -1
                                        ; implicit-def: $vgpr10
	s_branch .LBB23_2592
.LBB23_2588:
	s_mov_b64 s[2:3], -1
                                        ; implicit-def: $vgpr10
.LBB23_2589:
	s_and_b64 vcc, exec, s[2:3]
	s_cbranch_vccz .LBB23_2591
; %bb.2590:
	global_load_ubyte v7, v[8:9], off
	s_mov_b32 s2, 0x7f800000
	s_waitcnt vmcnt(0)
	v_lshlrev_b32_e32 v7, 24, v7
	v_and_b32_e32 v10, 0x7f000000, v7
	v_ffbh_u32_e32 v11, v10
	v_min_u32_e32 v11, 32, v11
	v_sub_u32_e64 v11, v11, 4 clamp
	v_lshlrev_b32_e32 v15, v11, v10
	v_lshlrev_b32_e32 v11, 23, v11
	v_lshrrev_b32_e32 v15, 4, v15
	v_add_u32_e32 v13, 0x1000000, v10
	v_sub_u32_e32 v11, v15, v11
	v_ashrrev_i32_e32 v13, 8, v13
	v_add_u32_e32 v11, 0x3c000000, v11
	v_and_or_b32 v11, v13, s2, v11
	v_cmp_ne_u32_e32 vcc, 0, v10
	v_cndmask_b32_e32 v10, 0, v11, vcc
	s_brev_b32 s2, 1
	v_and_or_b32 v7, v7, s2, v10
	v_cvt_f16_f32_e32 v10, v7
.LBB23_2591:
	s_mov_b64 s[2:3], 0
.LBB23_2592:
	s_andn2_b64 vcc, exec, s[2:3]
	s_cbranch_vccnz .LBB23_2594
; %bb.2593:
	global_load_ubyte v7, v[8:9], off
	s_movk_i32 s2, 0x7f00
	s_brev_b32 s3, 16
	s_waitcnt vmcnt(0)
	v_lshlrev_b16_e32 v10, 8, v7
	v_lshlrev_b32_e32 v7, 25, v7
	v_lshrrev_b32_e32 v11, 4, v7
	v_and_or_b32 v13, v10, s2, 0.5
	v_or_b32_e32 v11, 0x70000000, v11
	v_add_f32_e32 v13, -0.5, v13
	v_mul_f32_e32 v11, 0x7800000, v11
	v_cmp_gt_u32_e32 vcc, s3, v7
	v_bfe_i32 v10, v10, 0, 16
	v_cndmask_b32_e32 v7, v11, v13, vcc
	s_brev_b32 s2, 1
	v_and_or_b32 v7, v10, s2, v7
	v_cvt_f16_f32_e32 v10, v7
.LBB23_2594:
	s_mov_b64 s[2:3], 0
	s_mov_b64 s[6:7], -1
.LBB23_2595:
	s_andn2_b64 vcc, exec, s[2:3]
	s_mov_b64 s[2:3], 0
	s_cbranch_vccnz .LBB23_2606
; %bb.2596:
	v_cmp_gt_i16_e64 s[2:3], s26, 14
	s_and_b64 vcc, exec, s[2:3]
	s_cbranch_vccz .LBB23_2599
; %bb.2597:
	v_cmp_eq_u16_e64 s[0:1], s26, 15
	s_and_b64 vcc, exec, s[0:1]
	s_cbranch_vccz .LBB23_2602
; %bb.2598:
	global_load_ushort v7, v[8:9], off
	s_mov_b64 s[0:1], 0
	s_mov_b64 s[6:7], -1
	s_waitcnt vmcnt(0)
	v_lshlrev_b32_e32 v7, 16, v7
	v_cvt_f16_f32_e32 v10, v7
	s_branch .LBB23_2603
.LBB23_2599:
	s_mov_b64 s[10:11], -1
                                        ; implicit-def: $vgpr10
	s_branch .LBB23_2604
.LBB23_2600:
	s_or_saveexec_b64 s[6:7], s[6:7]
	v_mov_b32_e32 v10, s16
	s_xor_b64 exec, exec, s[6:7]
	s_cbranch_execz .LBB23_2581
.LBB23_2601:
	v_cmp_ne_u16_e32 vcc, 0, v7
	s_andn2_b64 s[2:3], s[2:3], exec
	s_and_b64 s[10:11], vcc, exec
	s_or_b64 s[2:3], s[2:3], s[10:11]
	v_mov_b32_e32 v10, v7
	s_or_b64 exec, exec, s[6:7]
	s_and_saveexec_b64 s[6:7], s[2:3]
	s_cbranch_execnz .LBB23_2582
	s_branch .LBB23_2583
.LBB23_2602:
	s_mov_b64 s[0:1], -1
                                        ; implicit-def: $vgpr10
.LBB23_2603:
	s_mov_b64 s[10:11], 0
.LBB23_2604:
	s_mov_b64 s[2:3], 0
	s_and_b64 vcc, exec, s[10:11]
	s_cbranch_vccz .LBB23_2606
; %bb.2605:
	v_cmp_ne_u16_e64 s[0:1], s26, 11
	s_mov_b64 s[2:3], -1
                                        ; implicit-def: $vgpr10
.LBB23_2606:
	s_and_b64 vcc, exec, s[0:1]
	s_cbranch_vccnz .LBB23_2670
; %bb.2607:
	s_andn2_b64 vcc, exec, s[2:3]
	s_cbranch_vccnz .LBB23_2609
.LBB23_2608:
	global_load_ubyte v7, v[8:9], off
	v_mov_b32_e32 v10, 0x3c00
	s_mov_b64 s[6:7], -1
	s_waitcnt vmcnt(0)
	v_cmp_ne_u16_e32 vcc, 0, v7
	v_cndmask_b32_e32 v10, 0, v10, vcc
.LBB23_2609:
	s_mov_b64 s[0:1], 0
.LBB23_2610:
	s_and_b64 vcc, exec, s[0:1]
	s_cbranch_vccz .LBB23_2659
; %bb.2611:
	v_cmp_lt_i16_e64 s[0:1], s26, 5
	s_and_b64 vcc, exec, s[0:1]
	s_cbranch_vccnz .LBB23_2616
; %bb.2612:
	v_cmp_lt_i16_e64 s[0:1], s26, 8
	s_and_b64 vcc, exec, s[0:1]
	s_cbranch_vccnz .LBB23_2617
	;; [unrolled: 4-line block ×3, first 2 shown]
; %bb.2614:
	v_cmp_gt_i16_e64 s[0:1], s26, 9
	s_and_b64 vcc, exec, s[0:1]
	s_cbranch_vccz .LBB23_2619
; %bb.2615:
	global_load_dwordx2 v[10:11], v[8:9], off
	s_mov_b64 s[0:1], 0
	s_waitcnt vmcnt(0)
	v_cvt_f32_f64_e32 v7, v[10:11]
	v_cvt_f16_f32_e32 v10, v7
	s_branch .LBB23_2620
.LBB23_2616:
	s_mov_b64 s[0:1], -1
                                        ; implicit-def: $vgpr10
	s_branch .LBB23_2638
.LBB23_2617:
	s_mov_b64 s[0:1], -1
                                        ; implicit-def: $vgpr10
	s_branch .LBB23_2626
.LBB23_2618:
	s_mov_b64 s[0:1], -1
                                        ; implicit-def: $vgpr10
	s_branch .LBB23_2623
.LBB23_2619:
	s_mov_b64 s[0:1], -1
                                        ; implicit-def: $vgpr10
.LBB23_2620:
	s_andn2_b64 vcc, exec, s[0:1]
	s_cbranch_vccnz .LBB23_2622
; %bb.2621:
	global_load_dword v7, v[8:9], off
	s_waitcnt vmcnt(0)
	v_cvt_f16_f32_e32 v10, v7
.LBB23_2622:
	s_mov_b64 s[0:1], 0
.LBB23_2623:
	s_andn2_b64 vcc, exec, s[0:1]
	s_cbranch_vccnz .LBB23_2625
; %bb.2624:
	global_load_dword v10, v[8:9], off
.LBB23_2625:
	s_mov_b64 s[0:1], 0
.LBB23_2626:
	s_andn2_b64 vcc, exec, s[0:1]
	s_cbranch_vccnz .LBB23_2637
; %bb.2627:
	v_cmp_lt_i16_e64 s[0:1], s26, 6
	s_and_b64 vcc, exec, s[0:1]
	s_cbranch_vccnz .LBB23_2630
; %bb.2628:
	v_cmp_gt_i16_e64 s[0:1], s26, 6
	s_and_b64 vcc, exec, s[0:1]
	s_cbranch_vccz .LBB23_2631
; %bb.2629:
	global_load_dwordx2 v[10:11], v[8:9], off
	s_mov_b64 s[0:1], 0
	s_waitcnt vmcnt(0)
	v_cvt_f32_f64_e32 v7, v[10:11]
	v_cvt_f16_f32_e32 v10, v7
	s_branch .LBB23_2632
.LBB23_2630:
	s_mov_b64 s[0:1], -1
                                        ; implicit-def: $vgpr10
	s_branch .LBB23_2635
.LBB23_2631:
	s_mov_b64 s[0:1], -1
                                        ; implicit-def: $vgpr10
.LBB23_2632:
	s_andn2_b64 vcc, exec, s[0:1]
	s_cbranch_vccnz .LBB23_2634
; %bb.2633:
	global_load_dword v7, v[8:9], off
	s_waitcnt vmcnt(0)
	v_cvt_f16_f32_e32 v10, v7
.LBB23_2634:
	s_mov_b64 s[0:1], 0
.LBB23_2635:
	s_andn2_b64 vcc, exec, s[0:1]
	s_cbranch_vccnz .LBB23_2637
; %bb.2636:
	global_load_ushort v10, v[8:9], off
.LBB23_2637:
	s_mov_b64 s[0:1], 0
.LBB23_2638:
	s_andn2_b64 vcc, exec, s[0:1]
	s_cbranch_vccnz .LBB23_2658
; %bb.2639:
	v_cmp_lt_i16_e64 s[0:1], s26, 2
	s_and_b64 vcc, exec, s[0:1]
	s_cbranch_vccnz .LBB23_2643
; %bb.2640:
	v_cmp_lt_i16_e64 s[0:1], s26, 3
	s_and_b64 vcc, exec, s[0:1]
	s_cbranch_vccnz .LBB23_2644
; %bb.2641:
	v_cmp_gt_i16_e64 s[0:1], s26, 3
	s_and_b64 vcc, exec, s[0:1]
	s_cbranch_vccz .LBB23_2645
; %bb.2642:
	global_load_dwordx2 v[10:11], v[8:9], off
	s_mov_b64 s[0:1], 0
	s_waitcnt vmcnt(0)
	v_xor_b32_e32 v13, v10, v11
	v_ffbh_i32_e32 v7, v11
	v_ashrrev_i32_e32 v13, 31, v13
	v_add_u32_e32 v7, -1, v7
	v_add_u32_e32 v13, 32, v13
	v_min_u32_e32 v7, v7, v13
	v_lshlrev_b64 v[10:11], v7, v[10:11]
	v_min_u32_e32 v10, 1, v10
	v_or_b32_e32 v10, v11, v10
	v_cvt_f32_i32_e32 v10, v10
	v_sub_u32_e32 v7, 32, v7
	v_ldexp_f32 v7, v10, v7
	v_cvt_f16_f32_e32 v10, v7
	s_branch .LBB23_2646
.LBB23_2643:
	s_mov_b64 s[0:1], -1
                                        ; implicit-def: $vgpr10
	s_branch .LBB23_2652
.LBB23_2644:
	s_mov_b64 s[0:1], -1
                                        ; implicit-def: $vgpr10
	s_branch .LBB23_2649
.LBB23_2645:
	s_mov_b64 s[0:1], -1
                                        ; implicit-def: $vgpr10
.LBB23_2646:
	s_andn2_b64 vcc, exec, s[0:1]
	s_cbranch_vccnz .LBB23_2648
; %bb.2647:
	global_load_dword v7, v[8:9], off
	s_waitcnt vmcnt(0)
	v_cvt_f32_i32_e32 v7, v7
	v_cvt_f16_f32_e32 v10, v7
.LBB23_2648:
	s_mov_b64 s[0:1], 0
.LBB23_2649:
	s_andn2_b64 vcc, exec, s[0:1]
	s_cbranch_vccnz .LBB23_2651
; %bb.2650:
	global_load_ushort v7, v[8:9], off
	s_waitcnt vmcnt(0)
	v_cvt_f16_i16_e32 v10, v7
.LBB23_2651:
	s_mov_b64 s[0:1], 0
.LBB23_2652:
	s_andn2_b64 vcc, exec, s[0:1]
	s_cbranch_vccnz .LBB23_2658
; %bb.2653:
	v_cmp_gt_i16_e64 s[0:1], s26, 0
	s_and_b64 vcc, exec, s[0:1]
	s_cbranch_vccz .LBB23_2655
; %bb.2654:
	global_load_sbyte v7, v[8:9], off
	s_mov_b64 s[0:1], 0
	s_waitcnt vmcnt(0)
	v_cvt_f16_i16_e32 v10, v7
	s_branch .LBB23_2656
.LBB23_2655:
	s_mov_b64 s[0:1], -1
                                        ; implicit-def: $vgpr10
.LBB23_2656:
	s_andn2_b64 vcc, exec, s[0:1]
	s_cbranch_vccnz .LBB23_2658
; %bb.2657:
	global_load_ubyte v7, v[8:9], off
	s_waitcnt vmcnt(0)
	v_cvt_f16_u16_e32 v10, v7
.LBB23_2658:
	s_mov_b64 s[6:7], -1
.LBB23_2659:
	s_andn2_b64 vcc, exec, s[6:7]
	s_cbranch_vccnz .LBB23_3113
; %bb.2660:
	s_waitcnt vmcnt(0)
	v_and_b32_e32 v8, 0x7fff, v1
	v_and_b32_e32 v1, 0xffff8000, v3
	v_mov_b32_e32 v3, s9
	v_add_co_u32_e32 v6, vcc, s8, v6
	s_lshr_b32 s18, s24, 8
	v_addc_co_u32_e32 v7, vcc, 0, v3, vcc
	v_mov_b32_e32 v3, 11
	v_cmp_lt_i16_sdwa s[0:1], s18, v3 src0_sel:BYTE_0 src1_sel:DWORD
	v_or_b32_e32 v1, v1, v8
	s_and_b64 vcc, exec, s[0:1]
	s_cbranch_vccnz .LBB23_2667
; %bb.2661:
	v_mov_b32_e32 v3, 25
	v_cmp_gt_i16_sdwa s[0:1], s18, v3 src0_sel:BYTE_0 src1_sel:DWORD
	s_mov_b64 s[10:11], -1
	s_mov_b64 s[2:3], 0
	s_and_b64 vcc, exec, s[0:1]
	s_mov_b64 s[6:7], 0
	s_mov_b64 s[0:1], 0
	s_cbranch_vccz .LBB23_2699
; %bb.2662:
	v_mov_b32_e32 v3, 28
	v_cmp_gt_i16_sdwa s[0:1], s18, v3 src0_sel:BYTE_0 src1_sel:DWORD
	s_and_b64 vcc, exec, s[0:1]
	s_cbranch_vccz .LBB23_2668
; %bb.2663:
	v_mov_b32_e32 v3, 43
	v_cmp_gt_i16_sdwa s[0:1], s18, v3 src0_sel:BYTE_0 src1_sel:DWORD
	s_and_b64 vcc, exec, s[0:1]
	s_cbranch_vccz .LBB23_2669
; %bb.2664:
	v_mov_b32_e32 v3, 45
	v_cmp_gt_i16_sdwa s[0:1], s18, v3 src0_sel:BYTE_0 src1_sel:DWORD
	s_and_b64 vcc, exec, s[0:1]
	s_cbranch_vccz .LBB23_2671
; %bb.2665:
	v_mov_b32_e32 v3, 46
	v_cmp_eq_u16_sdwa s[6:7], s18, v3 src0_sel:BYTE_0 src1_sel:DWORD
	s_mov_b64 s[0:1], -1
	s_mov_b64 s[10:11], 0
	s_and_b64 vcc, exec, s[6:7]
	s_mov_b64 s[6:7], 0
	s_cbranch_vccz .LBB23_2672
; %bb.2666:
	v_cvt_f32_f16_e32 v3, v1
	s_movk_i32 s0, 0x7fff
	v_mov_b32_e32 v9, 0x7fc0
	v_cmp_o_f16_e32 vcc, v1, v1
	v_bfe_u32 v11, v3, 16, 1
	v_add3_u32 v3, v3, v11, s0
	v_lshrrev_b32_e32 v3, 16, v3
	v_cndmask_b32_e32 v3, v9, v3, vcc
	global_store_dword v[6:7], v3, off
	s_mov_b64 s[0:1], 0
	s_mov_b64 s[6:7], -1
	s_branch .LBB23_2672
.LBB23_2667:
	s_mov_b64 s[0:1], -1
	s_mov_b64 s[6:7], 0
	s_branch .LBB23_2743
.LBB23_2668:
	s_mov_b64 s[0:1], 0
	s_branch .LBB23_2682
.LBB23_2669:
	s_mov_b64 s[0:1], 0
	s_branch .LBB23_2678
.LBB23_2670:
	s_trap 2
	s_or_b64 s[4:5], s[4:5], exec
                                        ; implicit-def: $vgpr10
	s_cbranch_execz .LBB23_2608
	s_branch .LBB23_2609
.LBB23_2671:
	s_mov_b64 s[0:1], 0
.LBB23_2672:
	s_and_b64 vcc, exec, s[10:11]
	s_cbranch_vccz .LBB23_2677
; %bb.2673:
	v_mov_b32_e32 v3, 44
	v_cmp_eq_u16_sdwa s[10:11], s18, v3 src0_sel:BYTE_0 src1_sel:DWORD
	s_mov_b64 s[0:1], -1
	s_and_b64 vcc, exec, s[10:11]
	s_cbranch_vccz .LBB23_2677
; %bb.2674:
	v_cvt_f32_f16_e32 v3, v1
	s_movk_i32 s0, 0xff
	v_mov_b32_e32 v11, 0xff
	v_bfe_u32 v9, v3, 23, 8
	v_cmp_ne_u32_e32 vcc, s0, v9
	s_and_saveexec_b64 s[6:7], vcc
; %bb.2675:
	s_mov_b32 s0, 0x3fffff
	v_lshrrev_b32_e32 v11, 23, v3
	v_and_b32_e32 v13, 0x400000, v3
	v_and_or_b32 v3, v3, s0, v9
	v_cmp_ne_u32_e32 vcc, 0, v13
	v_cmp_ne_u32_e64 s[0:1], 0, v3
	s_and_b64 s[0:1], vcc, s[0:1]
	v_cndmask_b32_e64 v3, 0, 1, s[0:1]
	v_add_u32_e32 v11, v11, v3
; %bb.2676:
	s_or_b64 exec, exec, s[6:7]
	s_mov_b64 s[0:1], 0
	s_mov_b64 s[6:7], -1
	global_store_byte v[6:7], v11, off
.LBB23_2677:
	s_mov_b64 s[10:11], 0
.LBB23_2678:
	s_and_b64 vcc, exec, s[10:11]
	s_cbranch_vccz .LBB23_2681
; %bb.2679:
	v_mov_b32_e32 v3, 29
	v_cmp_eq_u16_sdwa s[10:11], s18, v3 src0_sel:BYTE_0 src1_sel:DWORD
	s_mov_b64 s[0:1], -1
	s_and_b64 vcc, exec, s[10:11]
	s_cbranch_vccz .LBB23_2681
; %bb.2680:
	v_cvt_f32_f16_e32 v3, v1
	v_mov_b32_e32 v21, 0
	s_mov_b64 s[0:1], 0
	s_mov_b64 s[6:7], -1
	v_cvt_u32_f32_e32 v20, v3
	s_mov_b64 s[10:11], 0
	global_store_dwordx2 v[6:7], v[20:21], off
	s_branch .LBB23_2682
.LBB23_2681:
	s_mov_b64 s[10:11], 0
.LBB23_2682:
	s_and_b64 vcc, exec, s[10:11]
	s_cbranch_vccz .LBB23_2698
; %bb.2683:
	v_mov_b32_e32 v3, 27
	v_cmp_lt_i16_sdwa s[10:11], s18, v3 src0_sel:BYTE_0 src1_sel:DWORD
	s_mov_b64 s[6:7], -1
	s_and_b64 vcc, exec, s[10:11]
	s_cbranch_vccnz .LBB23_2689
; %bb.2684:
	v_cmp_gt_i16_sdwa s[10:11], s18, v3 src0_sel:BYTE_0 src1_sel:DWORD
	s_and_b64 vcc, exec, s[10:11]
	s_cbranch_vccz .LBB23_2686
; %bb.2685:
	v_cvt_f32_f16_e32 v3, v1
	s_mov_b64 s[6:7], 0
	v_cvt_u32_f32_e32 v3, v3
	global_store_dword v[6:7], v3, off
.LBB23_2686:
	s_andn2_b64 vcc, exec, s[6:7]
	s_cbranch_vccnz .LBB23_2688
; %bb.2687:
	v_cvt_u16_f16_e32 v3, v1
	global_store_short v[6:7], v3, off
.LBB23_2688:
	s_mov_b64 s[6:7], 0
.LBB23_2689:
	s_andn2_b64 vcc, exec, s[6:7]
	s_cbranch_vccnz .LBB23_2697
; %bb.2690:
	v_cvt_f32_f16_e32 v3, v1
	s_mov_b32 s6, 0x43800000
	v_mov_b32_e32 v11, 0x80
	v_and_b32_e32 v9, 0x7fffffff, v3
	v_cmp_gt_u32_e32 vcc, s6, v9
	s_and_saveexec_b64 s[6:7], vcc
	s_cbranch_execz .LBB23_2696
; %bb.2691:
	s_mov_b32 s10, 0x3bffffff
	v_cmp_lt_u32_e32 vcc, s10, v9
	s_mov_b64 s[10:11], 0
                                        ; implicit-def: $vgpr9
	s_and_saveexec_b64 s[16:17], vcc
	s_xor_b64 s[16:17], exec, s[16:17]
	s_cbranch_execz .LBB23_2792
; %bb.2692:
	v_bfe_u32 v9, v3, 20, 1
	s_mov_b32 s19, 0x487ffff
	v_add3_u32 v9, v3, v9, s19
	s_mov_b64 s[10:11], exec
	v_lshrrev_b32_e32 v9, 20, v9
	s_or_saveexec_b64 s[16:17], s[16:17]
                                        ; implicit-def: $sgpr19
	s_xor_b64 exec, exec, s[16:17]
	s_cbranch_execnz .LBB23_2793
.LBB23_2693:
	s_or_b64 exec, exec, s[16:17]
	v_mov_b32_e32 v11, s19
	s_and_saveexec_b64 s[16:17], s[10:11]
.LBB23_2694:
	v_lshrrev_b32_e32 v3, 24, v3
	s_movk_i32 s10, 0x80
	v_and_or_b32 v11, v3, s10, v9
.LBB23_2695:
	s_or_b64 exec, exec, s[16:17]
.LBB23_2696:
	s_or_b64 exec, exec, s[6:7]
	global_store_byte v[6:7], v11, off
.LBB23_2697:
	s_mov_b64 s[6:7], -1
.LBB23_2698:
	s_mov_b64 s[10:11], 0
.LBB23_2699:
	s_and_b64 vcc, exec, s[10:11]
	s_cbranch_vccz .LBB23_2739
; %bb.2700:
	v_mov_b32_e32 v3, 22
	v_cmp_gt_i16_sdwa s[10:11], s18, v3 src0_sel:BYTE_0 src1_sel:DWORD
	s_mov_b64 s[2:3], -1
	s_and_b64 vcc, exec, s[10:11]
	s_cbranch_vccz .LBB23_2732
; %bb.2701:
	v_mov_b32_e32 v3, 24
	v_cmp_lt_i16_sdwa s[6:7], s18, v3 src0_sel:BYTE_0 src1_sel:DWORD
	s_and_b64 vcc, exec, s[6:7]
	s_cbranch_vccnz .LBB23_2721
; %bb.2702:
	v_cmp_gt_i16_sdwa s[6:7], s18, v3 src0_sel:BYTE_0 src1_sel:DWORD
	s_and_b64 vcc, exec, s[6:7]
	s_cbranch_vccz .LBB23_2710
; %bb.2703:
	v_cvt_f32_f16_e32 v3, v1
	s_mov_b32 s2, 0x47800000
	v_mov_b32_e32 v11, 0x80
	v_and_b32_e32 v9, 0x7fffffff, v3
	v_cmp_gt_u32_e32 vcc, s2, v9
	s_and_saveexec_b64 s[2:3], vcc
	s_cbranch_execz .LBB23_2709
; %bb.2704:
	s_mov_b32 s6, 0x37ffffff
	v_cmp_lt_u32_e32 vcc, s6, v9
	s_mov_b64 s[6:7], 0
                                        ; implicit-def: $vgpr9
	s_and_saveexec_b64 s[10:11], vcc
	s_xor_b64 s[10:11], exec, s[10:11]
	s_cbranch_execz .LBB23_2796
; %bb.2705:
	v_bfe_u32 v9, v3, 21, 1
	s_mov_b32 s16, 0x88fffff
	v_add3_u32 v9, v3, v9, s16
	s_mov_b64 s[6:7], exec
	v_lshrrev_b32_e32 v9, 21, v9
	s_or_saveexec_b64 s[10:11], s[10:11]
                                        ; implicit-def: $sgpr16
	s_xor_b64 exec, exec, s[10:11]
	s_cbranch_execnz .LBB23_2797
.LBB23_2706:
	s_or_b64 exec, exec, s[10:11]
	v_mov_b32_e32 v11, s16
	s_and_saveexec_b64 s[10:11], s[6:7]
.LBB23_2707:
	v_lshrrev_b32_e32 v3, 24, v3
	s_movk_i32 s6, 0x80
	v_and_or_b32 v11, v3, s6, v9
.LBB23_2708:
	s_or_b64 exec, exec, s[10:11]
.LBB23_2709:
	s_or_b64 exec, exec, s[2:3]
	s_mov_b64 s[2:3], 0
	global_store_byte v[6:7], v11, off
.LBB23_2710:
	s_and_b64 vcc, exec, s[2:3]
	s_cbranch_vccz .LBB23_2720
; %bb.2711:
	v_cvt_f32_f16_e32 v3, v1
	s_mov_b32 s2, 0x43f00000
                                        ; implicit-def: $vgpr9
	v_and_b32_e32 v11, 0x7fffffff, v3
	v_cmp_gt_u32_e32 vcc, s2, v11
	s_and_saveexec_b64 s[2:3], vcc
	s_xor_b64 s[2:3], exec, s[2:3]
	s_cbranch_execz .LBB23_2717
; %bb.2712:
	s_mov_b32 s6, 0x3c7fffff
	v_cmp_lt_u32_e32 vcc, s6, v11
                                        ; implicit-def: $vgpr9
	s_and_saveexec_b64 s[6:7], vcc
	s_xor_b64 s[6:7], exec, s[6:7]
; %bb.2713:
	v_bfe_u32 v9, v3, 20, 1
	s_mov_b32 s10, 0x407ffff
	v_add3_u32 v9, v3, v9, s10
	v_lshrrev_b32_e32 v11, 20, v9
	v_and_b32_e32 v9, 0xff00000, v9
	s_mov_b32 s10, 0x7f00000
	v_mov_b32_e32 v13, 0x7e
	v_cmp_ne_u32_e32 vcc, s10, v9
	v_cndmask_b32_e32 v9, v13, v11, vcc
; %bb.2714:
	s_andn2_saveexec_b64 s[6:7], s[6:7]
; %bb.2715:
	s_mov_b32 s10, 0x46800000
	v_add_f32_e64 v9, |v3|, s10
; %bb.2716:
	s_or_b64 exec, exec, s[6:7]
                                        ; implicit-def: $vgpr11
.LBB23_2717:
	s_andn2_saveexec_b64 s[2:3], s[2:3]
; %bb.2718:
	s_mov_b32 s6, 0x7f800000
	v_mov_b32_e32 v9, 0x7e
	v_mov_b32_e32 v13, 0x7f
	v_cmp_lt_u32_e32 vcc, s6, v11
	v_cndmask_b32_e32 v9, v9, v13, vcc
; %bb.2719:
	s_or_b64 exec, exec, s[2:3]
	v_lshrrev_b32_e32 v3, 24, v3
	s_movk_i32 s2, 0x80
	v_and_or_b32 v3, v3, s2, v9
	global_store_byte v[6:7], v3, off
.LBB23_2720:
	s_mov_b64 s[2:3], 0
.LBB23_2721:
	s_andn2_b64 vcc, exec, s[2:3]
	s_cbranch_vccnz .LBB23_2731
; %bb.2722:
	v_cvt_f32_f16_e32 v3, v1
	s_mov_b32 s2, 0x47800000
                                        ; implicit-def: $vgpr9
	v_and_b32_e32 v11, 0x7fffffff, v3
	v_cmp_gt_u32_e32 vcc, s2, v11
	s_and_saveexec_b64 s[2:3], vcc
	s_xor_b64 s[2:3], exec, s[2:3]
	s_cbranch_execz .LBB23_2728
; %bb.2723:
	s_mov_b32 s6, 0x387fffff
	v_cmp_lt_u32_e32 vcc, s6, v11
                                        ; implicit-def: $vgpr9
	s_and_saveexec_b64 s[6:7], vcc
	s_xor_b64 s[6:7], exec, s[6:7]
; %bb.2724:
	v_bfe_u32 v9, v3, 21, 1
	s_mov_b32 s10, 0x80fffff
	v_add3_u32 v9, v3, v9, s10
	v_lshrrev_b32_e32 v9, 21, v9
; %bb.2725:
	s_andn2_saveexec_b64 s[6:7], s[6:7]
; %bb.2726:
	s_mov_b32 s10, 0x43000000
	v_add_f32_e64 v9, |v3|, s10
; %bb.2727:
	s_or_b64 exec, exec, s[6:7]
                                        ; implicit-def: $vgpr11
.LBB23_2728:
	s_andn2_saveexec_b64 s[2:3], s[2:3]
; %bb.2729:
	s_mov_b32 s6, 0x7f800000
	v_mov_b32_e32 v9, 0x7c
	v_mov_b32_e32 v13, 0x7f
	v_cmp_lt_u32_e32 vcc, s6, v11
	v_cndmask_b32_e32 v9, v9, v13, vcc
; %bb.2730:
	s_or_b64 exec, exec, s[2:3]
	v_lshrrev_b32_e32 v3, 24, v3
	s_movk_i32 s2, 0x80
	v_and_or_b32 v3, v3, s2, v9
	global_store_byte v[6:7], v3, off
.LBB23_2731:
	s_mov_b64 s[2:3], 0
	s_mov_b64 s[6:7], -1
.LBB23_2732:
	s_andn2_b64 vcc, exec, s[2:3]
	s_mov_b64 s[2:3], 0
	s_cbranch_vccnz .LBB23_2739
; %bb.2733:
	v_mov_b32_e32 v3, 14
	v_cmp_gt_i16_sdwa s[2:3], s18, v3 src0_sel:BYTE_0 src1_sel:DWORD
	s_mov_b64 s[10:11], -1
	s_and_b64 vcc, exec, s[2:3]
	s_cbranch_vccz .LBB23_2737
; %bb.2734:
	v_mov_b32_e32 v3, 15
	v_cmp_eq_u16_sdwa s[2:3], s18, v3 src0_sel:BYTE_0 src1_sel:DWORD
	s_mov_b64 s[0:1], -1
	s_and_b64 vcc, exec, s[2:3]
	s_cbranch_vccz .LBB23_2736
; %bb.2735:
	v_cvt_f32_f16_e32 v3, v1
	s_movk_i32 s0, 0x7fff
	v_mov_b32_e32 v9, 0x7fc0
	v_cmp_o_f16_e32 vcc, v1, v1
	v_bfe_u32 v11, v3, 16, 1
	v_add3_u32 v3, v3, v11, s0
	v_lshrrev_b32_e32 v3, 16, v3
	v_cndmask_b32_e32 v3, v9, v3, vcc
	global_store_short v[6:7], v3, off
	s_mov_b64 s[0:1], 0
	s_mov_b64 s[6:7], -1
.LBB23_2736:
	s_mov_b64 s[10:11], 0
.LBB23_2737:
	s_mov_b64 s[2:3], 0
	s_and_b64 vcc, exec, s[10:11]
	s_cbranch_vccz .LBB23_2739
; %bb.2738:
	v_mov_b32_e32 v3, 11
	v_cmp_ne_u16_sdwa s[0:1], s18, v3 src0_sel:BYTE_0 src1_sel:DWORD
	s_mov_b64 s[2:3], -1
.LBB23_2739:
	s_and_b64 vcc, exec, s[0:1]
	s_cbranch_vccnz .LBB23_2795
; %bb.2740:
	s_andn2_b64 vcc, exec, s[2:3]
	s_cbranch_vccnz .LBB23_2742
.LBB23_2741:
	v_cmp_ne_u16_e32 vcc, 0, v8
	v_cndmask_b32_e64 v3, 0, 1, vcc
	s_mov_b64 s[6:7], -1
	global_store_byte v[6:7], v3, off
.LBB23_2742:
	s_mov_b64 s[0:1], 0
.LBB23_2743:
	s_and_b64 vcc, exec, s[0:1]
	s_cbranch_vccz .LBB23_2782
; %bb.2744:
	v_mov_b32_e32 v3, 5
	v_cmp_lt_i16_sdwa s[2:3], s18, v3 src0_sel:BYTE_0 src1_sel:DWORD
	s_mov_b64 s[0:1], -1
	s_and_b64 vcc, exec, s[2:3]
	s_cbranch_vccnz .LBB23_2765
; %bb.2745:
	v_mov_b32_e32 v3, 8
	v_cmp_lt_i16_sdwa s[2:3], s18, v3 src0_sel:BYTE_0 src1_sel:DWORD
	s_and_b64 vcc, exec, s[2:3]
	s_cbranch_vccnz .LBB23_2755
; %bb.2746:
	v_mov_b32_e32 v3, 9
	v_cmp_lt_i16_sdwa s[2:3], s18, v3 src0_sel:BYTE_0 src1_sel:DWORD
	s_and_b64 vcc, exec, s[2:3]
	s_cbranch_vccnz .LBB23_2752
; %bb.2747:
	v_cmp_gt_i16_sdwa s[2:3], s18, v3 src0_sel:BYTE_0 src1_sel:DWORD
	s_and_b64 vcc, exec, s[2:3]
	s_cbranch_vccz .LBB23_2749
; %bb.2748:
	v_cvt_f32_f16_e32 v3, v1
	v_mov_b32_e32 v22, 0
	v_mov_b32_e32 v23, v22
	s_mov_b64 s[0:1], 0
	v_cvt_f64_f32_e32 v[20:21], v3
	global_store_dwordx4 v[6:7], v[20:23], off
.LBB23_2749:
	s_andn2_b64 vcc, exec, s[0:1]
	s_cbranch_vccnz .LBB23_2751
; %bb.2750:
	v_cvt_f32_f16_e32 v8, v1
	v_mov_b32_e32 v9, 0
	global_store_dwordx2 v[6:7], v[8:9], off
.LBB23_2751:
	s_mov_b64 s[0:1], 0
.LBB23_2752:
	s_andn2_b64 vcc, exec, s[0:1]
	s_cbranch_vccnz .LBB23_2754
; %bb.2753:
	v_and_b32_e32 v3, 0xffff, v1
	global_store_dword v[6:7], v3, off
.LBB23_2754:
	s_mov_b64 s[0:1], 0
.LBB23_2755:
	s_andn2_b64 vcc, exec, s[0:1]
	s_cbranch_vccnz .LBB23_2764
; %bb.2756:
	v_mov_b32_e32 v3, 6
	v_cmp_lt_i16_sdwa s[2:3], s18, v3 src0_sel:BYTE_0 src1_sel:DWORD
	s_mov_b64 s[0:1], -1
	s_and_b64 vcc, exec, s[2:3]
	s_cbranch_vccnz .LBB23_2762
; %bb.2757:
	v_cmp_gt_i16_sdwa s[2:3], s18, v3 src0_sel:BYTE_0 src1_sel:DWORD
	s_and_b64 vcc, exec, s[2:3]
	s_cbranch_vccz .LBB23_2759
; %bb.2758:
	v_cvt_f32_f16_e32 v3, v1
	s_mov_b64 s[0:1], 0
	v_cvt_f64_f32_e32 v[8:9], v3
	global_store_dwordx2 v[6:7], v[8:9], off
.LBB23_2759:
	s_andn2_b64 vcc, exec, s[0:1]
	s_cbranch_vccnz .LBB23_2761
; %bb.2760:
	v_cvt_f32_f16_e32 v3, v1
	global_store_dword v[6:7], v3, off
.LBB23_2761:
	s_mov_b64 s[0:1], 0
.LBB23_2762:
	s_andn2_b64 vcc, exec, s[0:1]
	s_cbranch_vccnz .LBB23_2764
; %bb.2763:
	global_store_short v[6:7], v1, off
.LBB23_2764:
	s_mov_b64 s[0:1], 0
.LBB23_2765:
	s_andn2_b64 vcc, exec, s[0:1]
	s_cbranch_vccnz .LBB23_2781
; %bb.2766:
	v_mov_b32_e32 v3, 2
	v_cmp_lt_i16_sdwa s[2:3], s18, v3 src0_sel:BYTE_0 src1_sel:DWORD
	s_mov_b64 s[0:1], -1
	s_and_b64 vcc, exec, s[2:3]
	s_cbranch_vccnz .LBB23_2776
; %bb.2767:
	v_mov_b32_e32 v3, 3
	v_cmp_lt_i16_sdwa s[2:3], s18, v3 src0_sel:BYTE_0 src1_sel:DWORD
	s_and_b64 vcc, exec, s[2:3]
	s_cbranch_vccnz .LBB23_2773
; %bb.2768:
	v_cmp_gt_i16_sdwa s[2:3], s18, v3 src0_sel:BYTE_0 src1_sel:DWORD
	s_and_b64 vcc, exec, s[2:3]
	s_cbranch_vccz .LBB23_2770
; %bb.2769:
	v_cvt_f32_f16_e32 v3, v1
	s_mov_b64 s[0:1], 0
	v_cvt_i32_f32_e32 v8, v3
	v_ashrrev_i32_e32 v9, 31, v8
	global_store_dwordx2 v[6:7], v[8:9], off
.LBB23_2770:
	s_andn2_b64 vcc, exec, s[0:1]
	s_cbranch_vccnz .LBB23_2772
; %bb.2771:
	v_cvt_f32_f16_e32 v3, v1
	v_cvt_i32_f32_e32 v3, v3
	global_store_dword v[6:7], v3, off
.LBB23_2772:
	s_mov_b64 s[0:1], 0
.LBB23_2773:
	s_andn2_b64 vcc, exec, s[0:1]
	s_cbranch_vccnz .LBB23_2775
; %bb.2774:
	v_cvt_i16_f16_e32 v3, v1
	global_store_short v[6:7], v3, off
.LBB23_2775:
	s_mov_b64 s[0:1], 0
.LBB23_2776:
	s_andn2_b64 vcc, exec, s[0:1]
	s_cbranch_vccnz .LBB23_2781
; %bb.2777:
	v_mov_b32_e32 v3, 0
	v_cmp_gt_i16_sdwa s[2:3], s18, v3 src0_sel:BYTE_0 src1_sel:DWORD
	s_mov_b64 s[0:1], -1
	s_and_b64 vcc, exec, s[2:3]
	s_cbranch_vccz .LBB23_2779
; %bb.2778:
	v_cvt_i16_f16_e32 v3, v1
	global_store_byte v[6:7], v3, off
	s_mov_b64 s[0:1], 0
.LBB23_2779:
	s_andn2_b64 vcc, exec, s[0:1]
	s_cbranch_vccnz .LBB23_2781
; %bb.2780:
	v_cvt_f32_f16_e32 v1, v1
	v_cvt_i32_f32_e32 v1, v1
	global_store_byte v[6:7], v1, off
.LBB23_2781:
	s_mov_b64 s[6:7], -1
.LBB23_2782:
	s_andn2_b64 vcc, exec, s[6:7]
	s_cbranch_vccnz .LBB23_3113
; %bb.2783:
	v_and_b32_e32 v3, 0x7fff, v5
	v_mov_b32_e32 v5, s9
	v_add_co_u32_e32 v4, vcc, s8, v4
	v_mov_b32_e32 v6, 11
	v_and_b32_e32 v1, 0xffff8000, v18
	v_addc_co_u32_e32 v5, vcc, 0, v5, vcc
	v_cmp_lt_i16_sdwa s[0:1], s18, v6 src0_sel:BYTE_0 src1_sel:DWORD
	v_or_b32_e32 v1, v1, v3
	s_and_b64 vcc, exec, s[0:1]
	s_cbranch_vccnz .LBB23_2790
; %bb.2784:
	v_mov_b32_e32 v6, 25
	v_cmp_gt_i16_sdwa s[0:1], s18, v6 src0_sel:BYTE_0 src1_sel:DWORD
	s_mov_b64 s[10:11], -1
	s_mov_b64 s[2:3], 0
	s_and_b64 vcc, exec, s[0:1]
	s_mov_b64 s[6:7], 0
	s_mov_b64 s[0:1], 0
	s_cbranch_vccz .LBB23_2826
; %bb.2785:
	v_mov_b32_e32 v6, 28
	v_cmp_gt_i16_sdwa s[0:1], s18, v6 src0_sel:BYTE_0 src1_sel:DWORD
	s_and_b64 vcc, exec, s[0:1]
	s_cbranch_vccz .LBB23_2791
; %bb.2786:
	v_mov_b32_e32 v6, 43
	v_cmp_gt_i16_sdwa s[0:1], s18, v6 src0_sel:BYTE_0 src1_sel:DWORD
	s_and_b64 vcc, exec, s[0:1]
	;; [unrolled: 5-line block ×3, first 2 shown]
	s_cbranch_vccz .LBB23_2798
; %bb.2788:
	v_mov_b32_e32 v6, 46
	v_cmp_eq_u16_sdwa s[6:7], s18, v6 src0_sel:BYTE_0 src1_sel:DWORD
	s_mov_b64 s[0:1], -1
	s_mov_b64 s[10:11], 0
	s_and_b64 vcc, exec, s[6:7]
	s_mov_b64 s[6:7], 0
	s_cbranch_vccz .LBB23_2799
; %bb.2789:
	v_cvt_f32_f16_e32 v6, v1
	s_movk_i32 s0, 0x7fff
	v_mov_b32_e32 v7, 0x7fc0
	v_cmp_o_f16_e32 vcc, v1, v1
	v_bfe_u32 v8, v6, 16, 1
	v_add3_u32 v6, v6, v8, s0
	v_lshrrev_b32_e32 v6, 16, v6
	v_cndmask_b32_e32 v6, v7, v6, vcc
	global_store_dword v[4:5], v6, off
	s_mov_b64 s[0:1], 0
	s_mov_b64 s[6:7], -1
	s_branch .LBB23_2799
.LBB23_2790:
	s_mov_b64 s[0:1], -1
	s_mov_b64 s[6:7], 0
	s_branch .LBB23_2870
.LBB23_2791:
	s_mov_b64 s[0:1], 0
	s_branch .LBB23_2809
.LBB23_2792:
	s_or_saveexec_b64 s[16:17], s[16:17]
                                        ; implicit-def: $sgpr19
	s_xor_b64 exec, exec, s[16:17]
	s_cbranch_execz .LBB23_2693
.LBB23_2793:
	s_mov_b32 s19, 0x46000000
	v_add_f32_e64 v9, |v3|, s19
	v_and_b32_e32 v9, 0xff, v9
	v_cmp_ne_u32_e32 vcc, 0, v9
	s_andn2_b64 s[10:11], s[10:11], exec
	s_and_b64 s[20:21], vcc, exec
	s_mov_b32 s19, 0
	s_or_b64 s[10:11], s[10:11], s[20:21]
	s_or_b64 exec, exec, s[16:17]
	v_mov_b32_e32 v11, s19
	s_and_saveexec_b64 s[16:17], s[10:11]
	s_cbranch_execnz .LBB23_2694
	s_branch .LBB23_2695
.LBB23_2794:
	s_mov_b64 s[0:1], 0
	s_branch .LBB23_2805
.LBB23_2795:
	s_trap 2
	s_or_b64 s[4:5], s[4:5], exec
	s_cbranch_execz .LBB23_2741
	s_branch .LBB23_2742
.LBB23_2796:
	s_or_saveexec_b64 s[10:11], s[10:11]
                                        ; implicit-def: $sgpr16
	s_xor_b64 exec, exec, s[10:11]
	s_cbranch_execz .LBB23_2706
.LBB23_2797:
	s_mov_b32 s16, 0x42800000
	v_add_f32_e64 v9, |v3|, s16
	v_and_b32_e32 v9, 0xff, v9
	v_cmp_ne_u32_e32 vcc, 0, v9
	s_andn2_b64 s[6:7], s[6:7], exec
	s_and_b64 s[20:21], vcc, exec
	s_mov_b32 s16, 0
	s_or_b64 s[6:7], s[6:7], s[20:21]
	s_or_b64 exec, exec, s[10:11]
	v_mov_b32_e32 v11, s16
	s_and_saveexec_b64 s[10:11], s[6:7]
	s_cbranch_execnz .LBB23_2707
	s_branch .LBB23_2708
.LBB23_2798:
	s_mov_b64 s[0:1], 0
.LBB23_2799:
	s_and_b64 vcc, exec, s[10:11]
	s_cbranch_vccz .LBB23_2804
; %bb.2800:
	v_mov_b32_e32 v6, 44
	v_cmp_eq_u16_sdwa s[10:11], s18, v6 src0_sel:BYTE_0 src1_sel:DWORD
	s_mov_b64 s[0:1], -1
	s_and_b64 vcc, exec, s[10:11]
	s_cbranch_vccz .LBB23_2804
; %bb.2801:
	v_cvt_f32_f16_e32 v6, v1
	s_movk_i32 s0, 0xff
	v_mov_b32_e32 v8, 0xff
	v_bfe_u32 v7, v6, 23, 8
	v_cmp_ne_u32_e32 vcc, s0, v7
	s_and_saveexec_b64 s[6:7], vcc
; %bb.2802:
	s_mov_b32 s0, 0x3fffff
	v_lshrrev_b32_e32 v8, 23, v6
	v_and_b32_e32 v9, 0x400000, v6
	v_and_or_b32 v6, v6, s0, v7
	v_cmp_ne_u32_e32 vcc, 0, v9
	v_cmp_ne_u32_e64 s[0:1], 0, v6
	s_and_b64 s[0:1], vcc, s[0:1]
	v_cndmask_b32_e64 v6, 0, 1, s[0:1]
	v_add_u32_e32 v8, v8, v6
; %bb.2803:
	s_or_b64 exec, exec, s[6:7]
	s_mov_b64 s[0:1], 0
	s_mov_b64 s[6:7], -1
	global_store_byte v[4:5], v8, off
.LBB23_2804:
	s_mov_b64 s[10:11], 0
.LBB23_2805:
	s_and_b64 vcc, exec, s[10:11]
	s_cbranch_vccz .LBB23_2808
; %bb.2806:
	v_mov_b32_e32 v6, 29
	v_cmp_eq_u16_sdwa s[10:11], s18, v6 src0_sel:BYTE_0 src1_sel:DWORD
	s_mov_b64 s[0:1], -1
	s_and_b64 vcc, exec, s[10:11]
	s_cbranch_vccz .LBB23_2808
; %bb.2807:
	v_cvt_f32_f16_e32 v6, v1
	v_mov_b32_e32 v7, 0
	s_mov_b64 s[0:1], 0
	s_mov_b64 s[6:7], -1
	v_cvt_u32_f32_e32 v6, v6
	s_mov_b64 s[10:11], 0
	global_store_dwordx2 v[4:5], v[6:7], off
	s_branch .LBB23_2809
.LBB23_2808:
	s_mov_b64 s[10:11], 0
.LBB23_2809:
	s_and_b64 vcc, exec, s[10:11]
	s_cbranch_vccz .LBB23_2825
; %bb.2810:
	v_mov_b32_e32 v6, 27
	v_cmp_lt_i16_sdwa s[10:11], s18, v6 src0_sel:BYTE_0 src1_sel:DWORD
	s_mov_b64 s[6:7], -1
	s_and_b64 vcc, exec, s[10:11]
	s_cbranch_vccnz .LBB23_2816
; %bb.2811:
	v_cmp_gt_i16_sdwa s[10:11], s18, v6 src0_sel:BYTE_0 src1_sel:DWORD
	s_and_b64 vcc, exec, s[10:11]
	s_cbranch_vccz .LBB23_2813
; %bb.2812:
	v_cvt_f32_f16_e32 v6, v1
	s_mov_b64 s[6:7], 0
	v_cvt_u32_f32_e32 v6, v6
	global_store_dword v[4:5], v6, off
.LBB23_2813:
	s_andn2_b64 vcc, exec, s[6:7]
	s_cbranch_vccnz .LBB23_2815
; %bb.2814:
	v_cvt_u16_f16_e32 v6, v1
	global_store_short v[4:5], v6, off
.LBB23_2815:
	s_mov_b64 s[6:7], 0
.LBB23_2816:
	s_andn2_b64 vcc, exec, s[6:7]
	s_cbranch_vccnz .LBB23_2824
; %bb.2817:
	v_cvt_f32_f16_e32 v6, v1
	s_mov_b32 s6, 0x43800000
	v_mov_b32_e32 v8, 0x80
	v_and_b32_e32 v7, 0x7fffffff, v6
	v_cmp_gt_u32_e32 vcc, s6, v7
	s_and_saveexec_b64 s[6:7], vcc
	s_cbranch_execz .LBB23_2823
; %bb.2818:
	s_mov_b32 s10, 0x3bffffff
	v_cmp_lt_u32_e32 vcc, s10, v7
	s_mov_b64 s[10:11], 0
                                        ; implicit-def: $vgpr7
	s_and_saveexec_b64 s[16:17], vcc
	s_xor_b64 s[16:17], exec, s[16:17]
	s_cbranch_execz .LBB23_2919
; %bb.2819:
	v_bfe_u32 v7, v6, 20, 1
	s_mov_b32 s19, 0x487ffff
	v_add3_u32 v7, v6, v7, s19
	s_mov_b64 s[10:11], exec
	v_lshrrev_b32_e32 v7, 20, v7
	s_or_saveexec_b64 s[16:17], s[16:17]
                                        ; implicit-def: $sgpr19
	s_xor_b64 exec, exec, s[16:17]
	s_cbranch_execnz .LBB23_2920
.LBB23_2820:
	s_or_b64 exec, exec, s[16:17]
	v_mov_b32_e32 v8, s19
	s_and_saveexec_b64 s[16:17], s[10:11]
.LBB23_2821:
	v_lshrrev_b32_e32 v6, 24, v6
	s_movk_i32 s10, 0x80
	v_and_or_b32 v8, v6, s10, v7
.LBB23_2822:
	s_or_b64 exec, exec, s[16:17]
.LBB23_2823:
	s_or_b64 exec, exec, s[6:7]
	global_store_byte v[4:5], v8, off
.LBB23_2824:
	s_mov_b64 s[6:7], -1
.LBB23_2825:
	s_mov_b64 s[10:11], 0
.LBB23_2826:
	s_and_b64 vcc, exec, s[10:11]
	s_cbranch_vccz .LBB23_2866
; %bb.2827:
	v_mov_b32_e32 v6, 22
	v_cmp_gt_i16_sdwa s[10:11], s18, v6 src0_sel:BYTE_0 src1_sel:DWORD
	s_mov_b64 s[2:3], -1
	s_and_b64 vcc, exec, s[10:11]
	s_cbranch_vccz .LBB23_2859
; %bb.2828:
	v_mov_b32_e32 v6, 24
	v_cmp_lt_i16_sdwa s[6:7], s18, v6 src0_sel:BYTE_0 src1_sel:DWORD
	s_and_b64 vcc, exec, s[6:7]
	s_cbranch_vccnz .LBB23_2848
; %bb.2829:
	v_cmp_gt_i16_sdwa s[6:7], s18, v6 src0_sel:BYTE_0 src1_sel:DWORD
	s_and_b64 vcc, exec, s[6:7]
	s_cbranch_vccz .LBB23_2837
; %bb.2830:
	v_cvt_f32_f16_e32 v6, v1
	s_mov_b32 s2, 0x47800000
	v_mov_b32_e32 v8, 0x80
	v_and_b32_e32 v7, 0x7fffffff, v6
	v_cmp_gt_u32_e32 vcc, s2, v7
	s_and_saveexec_b64 s[2:3], vcc
	s_cbranch_execz .LBB23_2836
; %bb.2831:
	s_mov_b32 s6, 0x37ffffff
	v_cmp_lt_u32_e32 vcc, s6, v7
	s_mov_b64 s[6:7], 0
                                        ; implicit-def: $vgpr7
	s_and_saveexec_b64 s[10:11], vcc
	s_xor_b64 s[10:11], exec, s[10:11]
	s_cbranch_execz .LBB23_2923
; %bb.2832:
	v_bfe_u32 v7, v6, 21, 1
	s_mov_b32 s16, 0x88fffff
	v_add3_u32 v7, v6, v7, s16
	s_mov_b64 s[6:7], exec
	v_lshrrev_b32_e32 v7, 21, v7
	s_or_saveexec_b64 s[10:11], s[10:11]
                                        ; implicit-def: $sgpr16
	s_xor_b64 exec, exec, s[10:11]
	s_cbranch_execnz .LBB23_2924
.LBB23_2833:
	s_or_b64 exec, exec, s[10:11]
	v_mov_b32_e32 v8, s16
	s_and_saveexec_b64 s[10:11], s[6:7]
.LBB23_2834:
	v_lshrrev_b32_e32 v6, 24, v6
	s_movk_i32 s6, 0x80
	v_and_or_b32 v8, v6, s6, v7
.LBB23_2835:
	s_or_b64 exec, exec, s[10:11]
.LBB23_2836:
	s_or_b64 exec, exec, s[2:3]
	s_mov_b64 s[2:3], 0
	global_store_byte v[4:5], v8, off
.LBB23_2837:
	s_and_b64 vcc, exec, s[2:3]
	s_cbranch_vccz .LBB23_2847
; %bb.2838:
	v_cvt_f32_f16_e32 v6, v1
	s_mov_b32 s2, 0x43f00000
                                        ; implicit-def: $vgpr7
	v_and_b32_e32 v8, 0x7fffffff, v6
	v_cmp_gt_u32_e32 vcc, s2, v8
	s_and_saveexec_b64 s[2:3], vcc
	s_xor_b64 s[2:3], exec, s[2:3]
	s_cbranch_execz .LBB23_2844
; %bb.2839:
	s_mov_b32 s6, 0x3c7fffff
	v_cmp_lt_u32_e32 vcc, s6, v8
                                        ; implicit-def: $vgpr7
	s_and_saveexec_b64 s[6:7], vcc
	s_xor_b64 s[6:7], exec, s[6:7]
; %bb.2840:
	v_bfe_u32 v7, v6, 20, 1
	s_mov_b32 s10, 0x407ffff
	v_add3_u32 v7, v6, v7, s10
	v_lshrrev_b32_e32 v8, 20, v7
	v_and_b32_e32 v7, 0xff00000, v7
	s_mov_b32 s10, 0x7f00000
	v_mov_b32_e32 v9, 0x7e
	v_cmp_ne_u32_e32 vcc, s10, v7
	v_cndmask_b32_e32 v7, v9, v8, vcc
; %bb.2841:
	s_andn2_saveexec_b64 s[6:7], s[6:7]
; %bb.2842:
	s_mov_b32 s10, 0x46800000
	v_add_f32_e64 v7, |v6|, s10
; %bb.2843:
	s_or_b64 exec, exec, s[6:7]
                                        ; implicit-def: $vgpr8
.LBB23_2844:
	s_andn2_saveexec_b64 s[2:3], s[2:3]
; %bb.2845:
	s_mov_b32 s6, 0x7f800000
	v_mov_b32_e32 v7, 0x7e
	v_mov_b32_e32 v9, 0x7f
	v_cmp_lt_u32_e32 vcc, s6, v8
	v_cndmask_b32_e32 v7, v7, v9, vcc
; %bb.2846:
	s_or_b64 exec, exec, s[2:3]
	v_lshrrev_b32_e32 v6, 24, v6
	s_movk_i32 s2, 0x80
	v_and_or_b32 v6, v6, s2, v7
	global_store_byte v[4:5], v6, off
.LBB23_2847:
	s_mov_b64 s[2:3], 0
.LBB23_2848:
	s_andn2_b64 vcc, exec, s[2:3]
	s_cbranch_vccnz .LBB23_2858
; %bb.2849:
	v_cvt_f32_f16_e32 v6, v1
	s_mov_b32 s2, 0x47800000
                                        ; implicit-def: $vgpr7
	v_and_b32_e32 v8, 0x7fffffff, v6
	v_cmp_gt_u32_e32 vcc, s2, v8
	s_and_saveexec_b64 s[2:3], vcc
	s_xor_b64 s[2:3], exec, s[2:3]
	s_cbranch_execz .LBB23_2855
; %bb.2850:
	s_mov_b32 s6, 0x387fffff
	v_cmp_lt_u32_e32 vcc, s6, v8
                                        ; implicit-def: $vgpr7
	s_and_saveexec_b64 s[6:7], vcc
	s_xor_b64 s[6:7], exec, s[6:7]
; %bb.2851:
	v_bfe_u32 v7, v6, 21, 1
	s_mov_b32 s10, 0x80fffff
	v_add3_u32 v7, v6, v7, s10
	v_lshrrev_b32_e32 v7, 21, v7
; %bb.2852:
	s_andn2_saveexec_b64 s[6:7], s[6:7]
; %bb.2853:
	s_mov_b32 s10, 0x43000000
	v_add_f32_e64 v7, |v6|, s10
; %bb.2854:
	s_or_b64 exec, exec, s[6:7]
                                        ; implicit-def: $vgpr8
.LBB23_2855:
	s_andn2_saveexec_b64 s[2:3], s[2:3]
; %bb.2856:
	s_mov_b32 s6, 0x7f800000
	v_mov_b32_e32 v7, 0x7c
	v_mov_b32_e32 v9, 0x7f
	v_cmp_lt_u32_e32 vcc, s6, v8
	v_cndmask_b32_e32 v7, v7, v9, vcc
; %bb.2857:
	s_or_b64 exec, exec, s[2:3]
	v_lshrrev_b32_e32 v6, 24, v6
	s_movk_i32 s2, 0x80
	v_and_or_b32 v6, v6, s2, v7
	global_store_byte v[4:5], v6, off
.LBB23_2858:
	s_mov_b64 s[2:3], 0
	s_mov_b64 s[6:7], -1
.LBB23_2859:
	s_andn2_b64 vcc, exec, s[2:3]
	s_mov_b64 s[2:3], 0
	s_cbranch_vccnz .LBB23_2866
; %bb.2860:
	v_mov_b32_e32 v6, 14
	v_cmp_gt_i16_sdwa s[2:3], s18, v6 src0_sel:BYTE_0 src1_sel:DWORD
	s_mov_b64 s[10:11], -1
	s_and_b64 vcc, exec, s[2:3]
	s_cbranch_vccz .LBB23_2864
; %bb.2861:
	v_mov_b32_e32 v6, 15
	v_cmp_eq_u16_sdwa s[2:3], s18, v6 src0_sel:BYTE_0 src1_sel:DWORD
	s_mov_b64 s[0:1], -1
	s_and_b64 vcc, exec, s[2:3]
	s_cbranch_vccz .LBB23_2863
; %bb.2862:
	v_cvt_f32_f16_e32 v6, v1
	s_movk_i32 s0, 0x7fff
	v_mov_b32_e32 v7, 0x7fc0
	v_cmp_o_f16_e32 vcc, v1, v1
	v_bfe_u32 v8, v6, 16, 1
	v_add3_u32 v6, v6, v8, s0
	v_lshrrev_b32_e32 v6, 16, v6
	v_cndmask_b32_e32 v6, v7, v6, vcc
	global_store_short v[4:5], v6, off
	s_mov_b64 s[0:1], 0
	s_mov_b64 s[6:7], -1
.LBB23_2863:
	s_mov_b64 s[10:11], 0
.LBB23_2864:
	s_mov_b64 s[2:3], 0
	s_and_b64 vcc, exec, s[10:11]
	s_cbranch_vccz .LBB23_2866
; %bb.2865:
	v_mov_b32_e32 v6, 11
	v_cmp_ne_u16_sdwa s[0:1], s18, v6 src0_sel:BYTE_0 src1_sel:DWORD
	s_mov_b64 s[2:3], -1
.LBB23_2866:
	s_and_b64 vcc, exec, s[0:1]
	s_cbranch_vccnz .LBB23_2922
; %bb.2867:
	s_andn2_b64 vcc, exec, s[2:3]
	s_cbranch_vccnz .LBB23_2869
.LBB23_2868:
	v_cmp_ne_u16_e32 vcc, 0, v3
	v_cndmask_b32_e64 v3, 0, 1, vcc
	s_mov_b64 s[6:7], -1
	global_store_byte v[4:5], v3, off
.LBB23_2869:
	s_mov_b64 s[0:1], 0
.LBB23_2870:
	s_and_b64 vcc, exec, s[0:1]
	s_cbranch_vccz .LBB23_2909
; %bb.2871:
	v_mov_b32_e32 v3, 5
	v_cmp_lt_i16_sdwa s[2:3], s18, v3 src0_sel:BYTE_0 src1_sel:DWORD
	s_mov_b64 s[0:1], -1
	s_and_b64 vcc, exec, s[2:3]
	s_cbranch_vccnz .LBB23_2892
; %bb.2872:
	v_mov_b32_e32 v3, 8
	v_cmp_lt_i16_sdwa s[2:3], s18, v3 src0_sel:BYTE_0 src1_sel:DWORD
	s_and_b64 vcc, exec, s[2:3]
	s_cbranch_vccnz .LBB23_2882
; %bb.2873:
	v_mov_b32_e32 v3, 9
	v_cmp_lt_i16_sdwa s[2:3], s18, v3 src0_sel:BYTE_0 src1_sel:DWORD
	s_and_b64 vcc, exec, s[2:3]
	s_cbranch_vccnz .LBB23_2879
; %bb.2874:
	v_cmp_gt_i16_sdwa s[2:3], s18, v3 src0_sel:BYTE_0 src1_sel:DWORD
	s_and_b64 vcc, exec, s[2:3]
	s_cbranch_vccz .LBB23_2876
; %bb.2875:
	v_cvt_f32_f16_e32 v3, v1
	v_mov_b32_e32 v8, 0
	v_mov_b32_e32 v9, v8
	s_mov_b64 s[0:1], 0
	v_cvt_f64_f32_e32 v[6:7], v3
	global_store_dwordx4 v[4:5], v[6:9], off
.LBB23_2876:
	s_andn2_b64 vcc, exec, s[0:1]
	s_cbranch_vccnz .LBB23_2878
; %bb.2877:
	v_cvt_f32_f16_e32 v6, v1
	v_mov_b32_e32 v7, 0
	global_store_dwordx2 v[4:5], v[6:7], off
.LBB23_2878:
	s_mov_b64 s[0:1], 0
.LBB23_2879:
	s_andn2_b64 vcc, exec, s[0:1]
	s_cbranch_vccnz .LBB23_2881
; %bb.2880:
	v_and_b32_e32 v3, 0xffff, v1
	global_store_dword v[4:5], v3, off
.LBB23_2881:
	s_mov_b64 s[0:1], 0
.LBB23_2882:
	s_andn2_b64 vcc, exec, s[0:1]
	s_cbranch_vccnz .LBB23_2891
; %bb.2883:
	v_mov_b32_e32 v3, 6
	v_cmp_lt_i16_sdwa s[2:3], s18, v3 src0_sel:BYTE_0 src1_sel:DWORD
	s_mov_b64 s[0:1], -1
	s_and_b64 vcc, exec, s[2:3]
	s_cbranch_vccnz .LBB23_2889
; %bb.2884:
	v_cmp_gt_i16_sdwa s[2:3], s18, v3 src0_sel:BYTE_0 src1_sel:DWORD
	s_and_b64 vcc, exec, s[2:3]
	s_cbranch_vccz .LBB23_2886
; %bb.2885:
	v_cvt_f32_f16_e32 v3, v1
	s_mov_b64 s[0:1], 0
	v_cvt_f64_f32_e32 v[6:7], v3
	global_store_dwordx2 v[4:5], v[6:7], off
.LBB23_2886:
	s_andn2_b64 vcc, exec, s[0:1]
	s_cbranch_vccnz .LBB23_2888
; %bb.2887:
	v_cvt_f32_f16_e32 v3, v1
	global_store_dword v[4:5], v3, off
.LBB23_2888:
	s_mov_b64 s[0:1], 0
.LBB23_2889:
	s_andn2_b64 vcc, exec, s[0:1]
	s_cbranch_vccnz .LBB23_2891
; %bb.2890:
	global_store_short v[4:5], v1, off
.LBB23_2891:
	s_mov_b64 s[0:1], 0
.LBB23_2892:
	s_andn2_b64 vcc, exec, s[0:1]
	s_cbranch_vccnz .LBB23_2908
; %bb.2893:
	v_mov_b32_e32 v3, 2
	v_cmp_lt_i16_sdwa s[2:3], s18, v3 src0_sel:BYTE_0 src1_sel:DWORD
	s_mov_b64 s[0:1], -1
	s_and_b64 vcc, exec, s[2:3]
	s_cbranch_vccnz .LBB23_2903
; %bb.2894:
	v_mov_b32_e32 v3, 3
	v_cmp_lt_i16_sdwa s[2:3], s18, v3 src0_sel:BYTE_0 src1_sel:DWORD
	s_and_b64 vcc, exec, s[2:3]
	s_cbranch_vccnz .LBB23_2900
; %bb.2895:
	v_cmp_gt_i16_sdwa s[2:3], s18, v3 src0_sel:BYTE_0 src1_sel:DWORD
	s_and_b64 vcc, exec, s[2:3]
	s_cbranch_vccz .LBB23_2897
; %bb.2896:
	v_cvt_f32_f16_e32 v3, v1
	s_mov_b64 s[0:1], 0
	v_cvt_i32_f32_e32 v6, v3
	v_ashrrev_i32_e32 v7, 31, v6
	global_store_dwordx2 v[4:5], v[6:7], off
.LBB23_2897:
	s_andn2_b64 vcc, exec, s[0:1]
	s_cbranch_vccnz .LBB23_2899
; %bb.2898:
	v_cvt_f32_f16_e32 v3, v1
	v_cvt_i32_f32_e32 v3, v3
	global_store_dword v[4:5], v3, off
.LBB23_2899:
	s_mov_b64 s[0:1], 0
.LBB23_2900:
	s_andn2_b64 vcc, exec, s[0:1]
	s_cbranch_vccnz .LBB23_2902
; %bb.2901:
	v_cvt_i16_f16_e32 v3, v1
	global_store_short v[4:5], v3, off
.LBB23_2902:
	s_mov_b64 s[0:1], 0
.LBB23_2903:
	s_andn2_b64 vcc, exec, s[0:1]
	s_cbranch_vccnz .LBB23_2908
; %bb.2904:
	v_mov_b32_e32 v3, 0
	v_cmp_gt_i16_sdwa s[2:3], s18, v3 src0_sel:BYTE_0 src1_sel:DWORD
	s_mov_b64 s[0:1], -1
	s_and_b64 vcc, exec, s[2:3]
	s_cbranch_vccz .LBB23_2906
; %bb.2905:
	v_cvt_i16_f16_e32 v3, v1
	global_store_byte v[4:5], v3, off
	s_mov_b64 s[0:1], 0
.LBB23_2906:
	s_andn2_b64 vcc, exec, s[0:1]
	s_cbranch_vccnz .LBB23_2908
; %bb.2907:
	v_cvt_f32_f16_e32 v1, v1
	v_cvt_i32_f32_e32 v1, v1
	global_store_byte v[4:5], v1, off
.LBB23_2908:
	s_mov_b64 s[6:7], -1
.LBB23_2909:
	s_andn2_b64 vcc, exec, s[6:7]
	s_cbranch_vccnz .LBB23_3113
; %bb.2910:
	v_mov_b32_e32 v3, s9
	v_add_co_u32_e32 v2, vcc, s8, v2
	v_mov_b32_e32 v5, 11
	v_and_b32_e32 v4, 0x7fff, v16
	v_and_b32_e32 v1, 0xffff8000, v14
	v_addc_co_u32_e32 v3, vcc, 0, v3, vcc
	v_cmp_lt_i16_sdwa s[0:1], s18, v5 src0_sel:BYTE_0 src1_sel:DWORD
	v_or_b32_e32 v1, v1, v4
	s_and_b64 vcc, exec, s[0:1]
	s_cbranch_vccnz .LBB23_2917
; %bb.2911:
	v_mov_b32_e32 v5, 25
	v_cmp_gt_i16_sdwa s[0:1], s18, v5 src0_sel:BYTE_0 src1_sel:DWORD
	s_mov_b64 s[10:11], -1
	s_mov_b64 s[2:3], 0
	s_and_b64 vcc, exec, s[0:1]
	s_mov_b64 s[6:7], 0
	s_mov_b64 s[0:1], 0
	s_cbranch_vccz .LBB23_2953
; %bb.2912:
	v_mov_b32_e32 v5, 28
	v_cmp_gt_i16_sdwa s[0:1], s18, v5 src0_sel:BYTE_0 src1_sel:DWORD
	s_and_b64 vcc, exec, s[0:1]
	s_cbranch_vccz .LBB23_2918
; %bb.2913:
	v_mov_b32_e32 v5, 43
	v_cmp_gt_i16_sdwa s[0:1], s18, v5 src0_sel:BYTE_0 src1_sel:DWORD
	s_and_b64 vcc, exec, s[0:1]
	;; [unrolled: 5-line block ×3, first 2 shown]
	s_cbranch_vccz .LBB23_2925
; %bb.2915:
	v_mov_b32_e32 v5, 46
	v_cmp_eq_u16_sdwa s[6:7], s18, v5 src0_sel:BYTE_0 src1_sel:DWORD
	s_mov_b64 s[0:1], -1
	s_mov_b64 s[10:11], 0
	s_and_b64 vcc, exec, s[6:7]
	s_mov_b64 s[6:7], 0
	s_cbranch_vccz .LBB23_2926
; %bb.2916:
	v_cvt_f32_f16_e32 v5, v1
	s_movk_i32 s0, 0x7fff
	v_mov_b32_e32 v6, 0x7fc0
	v_cmp_o_f16_e32 vcc, v1, v1
	v_bfe_u32 v7, v5, 16, 1
	v_add3_u32 v5, v5, v7, s0
	v_lshrrev_b32_e32 v5, 16, v5
	v_cndmask_b32_e32 v5, v6, v5, vcc
	global_store_dword v[2:3], v5, off
	s_mov_b64 s[0:1], 0
	s_mov_b64 s[6:7], -1
	s_branch .LBB23_2926
.LBB23_2917:
	s_mov_b64 s[0:1], -1
	s_mov_b64 s[6:7], 0
	s_branch .LBB23_2997
.LBB23_2918:
	s_mov_b64 s[0:1], 0
	s_branch .LBB23_2936
.LBB23_2919:
	s_or_saveexec_b64 s[16:17], s[16:17]
                                        ; implicit-def: $sgpr19
	s_xor_b64 exec, exec, s[16:17]
	s_cbranch_execz .LBB23_2820
.LBB23_2920:
	s_mov_b32 s19, 0x46000000
	v_add_f32_e64 v7, |v6|, s19
	v_and_b32_e32 v7, 0xff, v7
	v_cmp_ne_u32_e32 vcc, 0, v7
	s_andn2_b64 s[10:11], s[10:11], exec
	s_and_b64 s[20:21], vcc, exec
	s_mov_b32 s19, 0
	s_or_b64 s[10:11], s[10:11], s[20:21]
	s_or_b64 exec, exec, s[16:17]
	v_mov_b32_e32 v8, s19
	s_and_saveexec_b64 s[16:17], s[10:11]
	s_cbranch_execnz .LBB23_2821
	s_branch .LBB23_2822
.LBB23_2921:
	s_mov_b64 s[0:1], 0
	s_branch .LBB23_2932
.LBB23_2922:
	s_trap 2
	s_or_b64 s[4:5], s[4:5], exec
	s_cbranch_execz .LBB23_2868
	s_branch .LBB23_2869
.LBB23_2923:
	s_or_saveexec_b64 s[10:11], s[10:11]
                                        ; implicit-def: $sgpr16
	s_xor_b64 exec, exec, s[10:11]
	s_cbranch_execz .LBB23_2833
.LBB23_2924:
	s_mov_b32 s16, 0x42800000
	v_add_f32_e64 v7, |v6|, s16
	v_and_b32_e32 v7, 0xff, v7
	v_cmp_ne_u32_e32 vcc, 0, v7
	s_andn2_b64 s[6:7], s[6:7], exec
	s_and_b64 s[20:21], vcc, exec
	s_mov_b32 s16, 0
	s_or_b64 s[6:7], s[6:7], s[20:21]
	s_or_b64 exec, exec, s[10:11]
	v_mov_b32_e32 v8, s16
	s_and_saveexec_b64 s[10:11], s[6:7]
	s_cbranch_execnz .LBB23_2834
	s_branch .LBB23_2835
.LBB23_2925:
	s_mov_b64 s[0:1], 0
.LBB23_2926:
	s_and_b64 vcc, exec, s[10:11]
	s_cbranch_vccz .LBB23_2931
; %bb.2927:
	v_mov_b32_e32 v5, 44
	v_cmp_eq_u16_sdwa s[10:11], s18, v5 src0_sel:BYTE_0 src1_sel:DWORD
	s_mov_b64 s[0:1], -1
	s_and_b64 vcc, exec, s[10:11]
	s_cbranch_vccz .LBB23_2931
; %bb.2928:
	v_cvt_f32_f16_e32 v5, v1
	s_movk_i32 s0, 0xff
	v_mov_b32_e32 v7, 0xff
	v_bfe_u32 v6, v5, 23, 8
	v_cmp_ne_u32_e32 vcc, s0, v6
	s_and_saveexec_b64 s[6:7], vcc
; %bb.2929:
	s_mov_b32 s0, 0x3fffff
	v_lshrrev_b32_e32 v7, 23, v5
	v_and_b32_e32 v8, 0x400000, v5
	v_and_or_b32 v5, v5, s0, v6
	v_cmp_ne_u32_e32 vcc, 0, v8
	v_cmp_ne_u32_e64 s[0:1], 0, v5
	s_and_b64 s[0:1], vcc, s[0:1]
	v_cndmask_b32_e64 v5, 0, 1, s[0:1]
	v_add_u32_e32 v7, v7, v5
; %bb.2930:
	s_or_b64 exec, exec, s[6:7]
	s_mov_b64 s[0:1], 0
	s_mov_b64 s[6:7], -1
	global_store_byte v[2:3], v7, off
.LBB23_2931:
	s_mov_b64 s[10:11], 0
.LBB23_2932:
	s_and_b64 vcc, exec, s[10:11]
	s_cbranch_vccz .LBB23_2935
; %bb.2933:
	v_mov_b32_e32 v5, 29
	v_cmp_eq_u16_sdwa s[10:11], s18, v5 src0_sel:BYTE_0 src1_sel:DWORD
	s_mov_b64 s[0:1], -1
	s_and_b64 vcc, exec, s[10:11]
	s_cbranch_vccz .LBB23_2935
; %bb.2934:
	v_cvt_f32_f16_e32 v5, v1
	v_mov_b32_e32 v7, 0
	s_mov_b64 s[0:1], 0
	s_mov_b64 s[6:7], -1
	v_cvt_u32_f32_e32 v6, v5
	s_mov_b64 s[10:11], 0
	global_store_dwordx2 v[2:3], v[6:7], off
	s_branch .LBB23_2936
.LBB23_2935:
	s_mov_b64 s[10:11], 0
.LBB23_2936:
	s_and_b64 vcc, exec, s[10:11]
	s_cbranch_vccz .LBB23_2952
; %bb.2937:
	v_mov_b32_e32 v5, 27
	v_cmp_lt_i16_sdwa s[10:11], s18, v5 src0_sel:BYTE_0 src1_sel:DWORD
	s_mov_b64 s[6:7], -1
	s_and_b64 vcc, exec, s[10:11]
	s_cbranch_vccnz .LBB23_2943
; %bb.2938:
	v_cmp_gt_i16_sdwa s[10:11], s18, v5 src0_sel:BYTE_0 src1_sel:DWORD
	s_and_b64 vcc, exec, s[10:11]
	s_cbranch_vccz .LBB23_2940
; %bb.2939:
	v_cvt_f32_f16_e32 v5, v1
	s_mov_b64 s[6:7], 0
	v_cvt_u32_f32_e32 v5, v5
	global_store_dword v[2:3], v5, off
.LBB23_2940:
	s_andn2_b64 vcc, exec, s[6:7]
	s_cbranch_vccnz .LBB23_2942
; %bb.2941:
	v_cvt_u16_f16_e32 v5, v1
	global_store_short v[2:3], v5, off
.LBB23_2942:
	s_mov_b64 s[6:7], 0
.LBB23_2943:
	s_andn2_b64 vcc, exec, s[6:7]
	s_cbranch_vccnz .LBB23_2951
; %bb.2944:
	v_cvt_f32_f16_e32 v5, v1
	s_mov_b32 s6, 0x43800000
	v_mov_b32_e32 v7, 0x80
	v_and_b32_e32 v6, 0x7fffffff, v5
	v_cmp_gt_u32_e32 vcc, s6, v6
	s_and_saveexec_b64 s[6:7], vcc
	s_cbranch_execz .LBB23_2950
; %bb.2945:
	s_mov_b32 s10, 0x3bffffff
	v_cmp_lt_u32_e32 vcc, s10, v6
	s_mov_b64 s[10:11], 0
                                        ; implicit-def: $vgpr6
	s_and_saveexec_b64 s[16:17], vcc
	s_xor_b64 s[16:17], exec, s[16:17]
	s_cbranch_execz .LBB23_3159
; %bb.2946:
	v_bfe_u32 v6, v5, 20, 1
	s_mov_b32 s19, 0x487ffff
	v_add3_u32 v6, v5, v6, s19
	s_mov_b64 s[10:11], exec
	v_lshrrev_b32_e32 v6, 20, v6
	s_or_saveexec_b64 s[16:17], s[16:17]
                                        ; implicit-def: $sgpr19
	s_xor_b64 exec, exec, s[16:17]
	s_cbranch_execnz .LBB23_3160
.LBB23_2947:
	s_or_b64 exec, exec, s[16:17]
	v_mov_b32_e32 v7, s19
	s_and_saveexec_b64 s[16:17], s[10:11]
.LBB23_2948:
	v_lshrrev_b32_e32 v5, 24, v5
	s_movk_i32 s10, 0x80
	v_and_or_b32 v7, v5, s10, v6
.LBB23_2949:
	s_or_b64 exec, exec, s[16:17]
.LBB23_2950:
	s_or_b64 exec, exec, s[6:7]
	global_store_byte v[2:3], v7, off
.LBB23_2951:
	s_mov_b64 s[6:7], -1
.LBB23_2952:
	s_mov_b64 s[10:11], 0
.LBB23_2953:
	s_and_b64 vcc, exec, s[10:11]
	s_cbranch_vccz .LBB23_2993
; %bb.2954:
	v_mov_b32_e32 v5, 22
	v_cmp_gt_i16_sdwa s[10:11], s18, v5 src0_sel:BYTE_0 src1_sel:DWORD
	s_mov_b64 s[2:3], -1
	s_and_b64 vcc, exec, s[10:11]
	s_cbranch_vccz .LBB23_2986
; %bb.2955:
	v_mov_b32_e32 v5, 24
	v_cmp_lt_i16_sdwa s[6:7], s18, v5 src0_sel:BYTE_0 src1_sel:DWORD
	s_and_b64 vcc, exec, s[6:7]
	s_cbranch_vccnz .LBB23_2975
; %bb.2956:
	v_cmp_gt_i16_sdwa s[6:7], s18, v5 src0_sel:BYTE_0 src1_sel:DWORD
	s_and_b64 vcc, exec, s[6:7]
	s_cbranch_vccz .LBB23_2964
; %bb.2957:
	v_cvt_f32_f16_e32 v5, v1
	s_mov_b32 s2, 0x47800000
	v_mov_b32_e32 v7, 0x80
	v_and_b32_e32 v6, 0x7fffffff, v5
	v_cmp_gt_u32_e32 vcc, s2, v6
	s_and_saveexec_b64 s[2:3], vcc
	s_cbranch_execz .LBB23_2963
; %bb.2958:
	s_mov_b32 s6, 0x37ffffff
	v_cmp_lt_u32_e32 vcc, s6, v6
	s_mov_b64 s[6:7], 0
                                        ; implicit-def: $vgpr6
	s_and_saveexec_b64 s[10:11], vcc
	s_xor_b64 s[10:11], exec, s[10:11]
	s_cbranch_execz .LBB23_3162
; %bb.2959:
	v_bfe_u32 v6, v5, 21, 1
	s_mov_b32 s16, 0x88fffff
	v_add3_u32 v6, v5, v6, s16
	s_mov_b64 s[6:7], exec
	v_lshrrev_b32_e32 v6, 21, v6
	s_or_saveexec_b64 s[10:11], s[10:11]
                                        ; implicit-def: $sgpr16
	s_xor_b64 exec, exec, s[10:11]
	s_cbranch_execnz .LBB23_3163
.LBB23_2960:
	s_or_b64 exec, exec, s[10:11]
	v_mov_b32_e32 v7, s16
	s_and_saveexec_b64 s[10:11], s[6:7]
.LBB23_2961:
	v_lshrrev_b32_e32 v5, 24, v5
	s_movk_i32 s6, 0x80
	v_and_or_b32 v7, v5, s6, v6
.LBB23_2962:
	s_or_b64 exec, exec, s[10:11]
.LBB23_2963:
	s_or_b64 exec, exec, s[2:3]
	s_mov_b64 s[2:3], 0
	global_store_byte v[2:3], v7, off
.LBB23_2964:
	s_and_b64 vcc, exec, s[2:3]
	s_cbranch_vccz .LBB23_2974
; %bb.2965:
	v_cvt_f32_f16_e32 v5, v1
	s_mov_b32 s2, 0x43f00000
                                        ; implicit-def: $vgpr6
	v_and_b32_e32 v7, 0x7fffffff, v5
	v_cmp_gt_u32_e32 vcc, s2, v7
	s_and_saveexec_b64 s[2:3], vcc
	s_xor_b64 s[2:3], exec, s[2:3]
	s_cbranch_execz .LBB23_2971
; %bb.2966:
	s_mov_b32 s6, 0x3c7fffff
	v_cmp_lt_u32_e32 vcc, s6, v7
                                        ; implicit-def: $vgpr6
	s_and_saveexec_b64 s[6:7], vcc
	s_xor_b64 s[6:7], exec, s[6:7]
; %bb.2967:
	v_bfe_u32 v6, v5, 20, 1
	s_mov_b32 s10, 0x407ffff
	v_add3_u32 v6, v5, v6, s10
	v_lshrrev_b32_e32 v7, 20, v6
	v_and_b32_e32 v6, 0xff00000, v6
	s_mov_b32 s10, 0x7f00000
	v_mov_b32_e32 v8, 0x7e
	v_cmp_ne_u32_e32 vcc, s10, v6
	v_cndmask_b32_e32 v6, v8, v7, vcc
; %bb.2968:
	s_andn2_saveexec_b64 s[6:7], s[6:7]
; %bb.2969:
	s_mov_b32 s10, 0x46800000
	v_add_f32_e64 v6, |v5|, s10
; %bb.2970:
	s_or_b64 exec, exec, s[6:7]
                                        ; implicit-def: $vgpr7
.LBB23_2971:
	s_andn2_saveexec_b64 s[2:3], s[2:3]
; %bb.2972:
	s_mov_b32 s6, 0x7f800000
	v_mov_b32_e32 v6, 0x7e
	v_mov_b32_e32 v8, 0x7f
	v_cmp_lt_u32_e32 vcc, s6, v7
	v_cndmask_b32_e32 v6, v6, v8, vcc
; %bb.2973:
	s_or_b64 exec, exec, s[2:3]
	v_lshrrev_b32_e32 v5, 24, v5
	s_movk_i32 s2, 0x80
	v_and_or_b32 v5, v5, s2, v6
	global_store_byte v[2:3], v5, off
.LBB23_2974:
	s_mov_b64 s[2:3], 0
.LBB23_2975:
	s_andn2_b64 vcc, exec, s[2:3]
	s_cbranch_vccnz .LBB23_2985
; %bb.2976:
	v_cvt_f32_f16_e32 v5, v1
	s_mov_b32 s2, 0x47800000
                                        ; implicit-def: $vgpr6
	v_and_b32_e32 v7, 0x7fffffff, v5
	v_cmp_gt_u32_e32 vcc, s2, v7
	s_and_saveexec_b64 s[2:3], vcc
	s_xor_b64 s[2:3], exec, s[2:3]
	s_cbranch_execz .LBB23_2982
; %bb.2977:
	s_mov_b32 s6, 0x387fffff
	v_cmp_lt_u32_e32 vcc, s6, v7
                                        ; implicit-def: $vgpr6
	s_and_saveexec_b64 s[6:7], vcc
	s_xor_b64 s[6:7], exec, s[6:7]
; %bb.2978:
	v_bfe_u32 v6, v5, 21, 1
	s_mov_b32 s10, 0x80fffff
	v_add3_u32 v6, v5, v6, s10
	v_lshrrev_b32_e32 v6, 21, v6
; %bb.2979:
	s_andn2_saveexec_b64 s[6:7], s[6:7]
; %bb.2980:
	s_mov_b32 s10, 0x43000000
	v_add_f32_e64 v6, |v5|, s10
; %bb.2981:
	s_or_b64 exec, exec, s[6:7]
                                        ; implicit-def: $vgpr7
.LBB23_2982:
	s_andn2_saveexec_b64 s[2:3], s[2:3]
; %bb.2983:
	s_mov_b32 s6, 0x7f800000
	v_mov_b32_e32 v6, 0x7c
	v_mov_b32_e32 v8, 0x7f
	v_cmp_lt_u32_e32 vcc, s6, v7
	v_cndmask_b32_e32 v6, v6, v8, vcc
; %bb.2984:
	s_or_b64 exec, exec, s[2:3]
	v_lshrrev_b32_e32 v5, 24, v5
	s_movk_i32 s2, 0x80
	v_and_or_b32 v5, v5, s2, v6
	global_store_byte v[2:3], v5, off
.LBB23_2985:
	s_mov_b64 s[2:3], 0
	s_mov_b64 s[6:7], -1
.LBB23_2986:
	s_andn2_b64 vcc, exec, s[2:3]
	s_mov_b64 s[2:3], 0
	s_cbranch_vccnz .LBB23_2993
; %bb.2987:
	v_mov_b32_e32 v5, 14
	v_cmp_gt_i16_sdwa s[2:3], s18, v5 src0_sel:BYTE_0 src1_sel:DWORD
	s_mov_b64 s[10:11], -1
	s_and_b64 vcc, exec, s[2:3]
	s_cbranch_vccz .LBB23_2991
; %bb.2988:
	v_mov_b32_e32 v5, 15
	v_cmp_eq_u16_sdwa s[2:3], s18, v5 src0_sel:BYTE_0 src1_sel:DWORD
	s_mov_b64 s[0:1], -1
	s_and_b64 vcc, exec, s[2:3]
	s_cbranch_vccz .LBB23_2990
; %bb.2989:
	v_cvt_f32_f16_e32 v5, v1
	s_movk_i32 s0, 0x7fff
	v_mov_b32_e32 v6, 0x7fc0
	v_cmp_o_f16_e32 vcc, v1, v1
	v_bfe_u32 v7, v5, 16, 1
	v_add3_u32 v5, v5, v7, s0
	v_lshrrev_b32_e32 v5, 16, v5
	v_cndmask_b32_e32 v5, v6, v5, vcc
	global_store_short v[2:3], v5, off
	s_mov_b64 s[0:1], 0
	s_mov_b64 s[6:7], -1
.LBB23_2990:
	s_mov_b64 s[10:11], 0
.LBB23_2991:
	s_mov_b64 s[2:3], 0
	s_and_b64 vcc, exec, s[10:11]
	s_cbranch_vccz .LBB23_2993
; %bb.2992:
	v_mov_b32_e32 v5, 11
	v_cmp_ne_u16_sdwa s[0:1], s18, v5 src0_sel:BYTE_0 src1_sel:DWORD
	s_mov_b64 s[2:3], -1
.LBB23_2993:
	s_and_b64 vcc, exec, s[0:1]
	s_cbranch_vccnz .LBB23_3161
; %bb.2994:
	s_andn2_b64 vcc, exec, s[2:3]
	s_cbranch_vccnz .LBB23_2996
.LBB23_2995:
	v_cmp_ne_u16_e32 vcc, 0, v4
	v_cndmask_b32_e64 v4, 0, 1, vcc
	s_mov_b64 s[6:7], -1
	global_store_byte v[2:3], v4, off
.LBB23_2996:
	s_mov_b64 s[0:1], 0
.LBB23_2997:
	s_and_b64 vcc, exec, s[0:1]
	s_cbranch_vccz .LBB23_3036
; %bb.2998:
	v_mov_b32_e32 v4, 5
	v_cmp_lt_i16_sdwa s[2:3], s18, v4 src0_sel:BYTE_0 src1_sel:DWORD
	s_mov_b64 s[0:1], -1
	s_and_b64 vcc, exec, s[2:3]
	s_cbranch_vccnz .LBB23_3019
; %bb.2999:
	v_mov_b32_e32 v4, 8
	v_cmp_lt_i16_sdwa s[2:3], s18, v4 src0_sel:BYTE_0 src1_sel:DWORD
	s_and_b64 vcc, exec, s[2:3]
	s_cbranch_vccnz .LBB23_3009
; %bb.3000:
	v_mov_b32_e32 v4, 9
	v_cmp_lt_i16_sdwa s[2:3], s18, v4 src0_sel:BYTE_0 src1_sel:DWORD
	s_and_b64 vcc, exec, s[2:3]
	s_cbranch_vccnz .LBB23_3006
; %bb.3001:
	v_cmp_gt_i16_sdwa s[2:3], s18, v4 src0_sel:BYTE_0 src1_sel:DWORD
	s_and_b64 vcc, exec, s[2:3]
	s_cbranch_vccz .LBB23_3003
; %bb.3002:
	v_cvt_f32_f16_e32 v4, v1
	v_mov_b32_e32 v6, 0
	v_mov_b32_e32 v7, v6
	s_mov_b64 s[0:1], 0
	v_cvt_f64_f32_e32 v[4:5], v4
	global_store_dwordx4 v[2:3], v[4:7], off
.LBB23_3003:
	s_andn2_b64 vcc, exec, s[0:1]
	s_cbranch_vccnz .LBB23_3005
; %bb.3004:
	v_cvt_f32_f16_e32 v4, v1
	v_mov_b32_e32 v5, 0
	global_store_dwordx2 v[2:3], v[4:5], off
.LBB23_3005:
	s_mov_b64 s[0:1], 0
.LBB23_3006:
	s_andn2_b64 vcc, exec, s[0:1]
	s_cbranch_vccnz .LBB23_3008
; %bb.3007:
	v_and_b32_e32 v4, 0xffff, v1
	global_store_dword v[2:3], v4, off
.LBB23_3008:
	s_mov_b64 s[0:1], 0
.LBB23_3009:
	s_andn2_b64 vcc, exec, s[0:1]
	s_cbranch_vccnz .LBB23_3018
; %bb.3010:
	v_mov_b32_e32 v4, 6
	v_cmp_lt_i16_sdwa s[2:3], s18, v4 src0_sel:BYTE_0 src1_sel:DWORD
	s_mov_b64 s[0:1], -1
	s_and_b64 vcc, exec, s[2:3]
	s_cbranch_vccnz .LBB23_3016
; %bb.3011:
	v_cmp_gt_i16_sdwa s[2:3], s18, v4 src0_sel:BYTE_0 src1_sel:DWORD
	s_and_b64 vcc, exec, s[2:3]
	s_cbranch_vccz .LBB23_3013
; %bb.3012:
	v_cvt_f32_f16_e32 v4, v1
	s_mov_b64 s[0:1], 0
	v_cvt_f64_f32_e32 v[4:5], v4
	global_store_dwordx2 v[2:3], v[4:5], off
.LBB23_3013:
	s_andn2_b64 vcc, exec, s[0:1]
	s_cbranch_vccnz .LBB23_3015
; %bb.3014:
	v_cvt_f32_f16_e32 v4, v1
	global_store_dword v[2:3], v4, off
.LBB23_3015:
	s_mov_b64 s[0:1], 0
.LBB23_3016:
	s_andn2_b64 vcc, exec, s[0:1]
	s_cbranch_vccnz .LBB23_3018
; %bb.3017:
	global_store_short v[2:3], v1, off
.LBB23_3018:
	s_mov_b64 s[0:1], 0
.LBB23_3019:
	s_andn2_b64 vcc, exec, s[0:1]
	s_cbranch_vccnz .LBB23_3035
; %bb.3020:
	v_mov_b32_e32 v4, 2
	v_cmp_lt_i16_sdwa s[2:3], s18, v4 src0_sel:BYTE_0 src1_sel:DWORD
	s_mov_b64 s[0:1], -1
	s_and_b64 vcc, exec, s[2:3]
	s_cbranch_vccnz .LBB23_3030
; %bb.3021:
	v_mov_b32_e32 v4, 3
	v_cmp_lt_i16_sdwa s[2:3], s18, v4 src0_sel:BYTE_0 src1_sel:DWORD
	s_and_b64 vcc, exec, s[2:3]
	s_cbranch_vccnz .LBB23_3027
; %bb.3022:
	v_cmp_gt_i16_sdwa s[2:3], s18, v4 src0_sel:BYTE_0 src1_sel:DWORD
	s_and_b64 vcc, exec, s[2:3]
	s_cbranch_vccz .LBB23_3024
; %bb.3023:
	v_cvt_f32_f16_e32 v4, v1
	s_mov_b64 s[0:1], 0
	v_cvt_i32_f32_e32 v4, v4
	v_ashrrev_i32_e32 v5, 31, v4
	global_store_dwordx2 v[2:3], v[4:5], off
.LBB23_3024:
	s_andn2_b64 vcc, exec, s[0:1]
	s_cbranch_vccnz .LBB23_3026
; %bb.3025:
	v_cvt_f32_f16_e32 v4, v1
	v_cvt_i32_f32_e32 v4, v4
	global_store_dword v[2:3], v4, off
.LBB23_3026:
	s_mov_b64 s[0:1], 0
.LBB23_3027:
	s_andn2_b64 vcc, exec, s[0:1]
	s_cbranch_vccnz .LBB23_3029
; %bb.3028:
	v_cvt_i16_f16_e32 v4, v1
	global_store_short v[2:3], v4, off
.LBB23_3029:
	s_mov_b64 s[0:1], 0
.LBB23_3030:
	s_andn2_b64 vcc, exec, s[0:1]
	s_cbranch_vccnz .LBB23_3035
; %bb.3031:
	v_mov_b32_e32 v4, 0
	v_cmp_gt_i16_sdwa s[2:3], s18, v4 src0_sel:BYTE_0 src1_sel:DWORD
	s_mov_b64 s[0:1], -1
	s_and_b64 vcc, exec, s[2:3]
	s_cbranch_vccz .LBB23_3033
; %bb.3032:
	v_cvt_i16_f16_e32 v4, v1
	global_store_byte v[2:3], v4, off
	s_mov_b64 s[0:1], 0
.LBB23_3033:
	s_andn2_b64 vcc, exec, s[0:1]
	s_cbranch_vccnz .LBB23_3035
; %bb.3034:
	v_cvt_f32_f16_e32 v1, v1
	v_cvt_i32_f32_e32 v1, v1
	global_store_byte v[2:3], v1, off
.LBB23_3035:
	s_mov_b64 s[6:7], -1
.LBB23_3036:
	s_andn2_b64 vcc, exec, s[6:7]
	s_cbranch_vccnz .LBB23_3113
; %bb.3037:
	v_and_b32_e32 v4, 0x7fff, v12
	v_and_b32_e32 v1, 0xffff8000, v10
	v_or_b32_e32 v2, v1, v4
	v_mov_b32_e32 v1, 0xff
	v_and_b32_e32 v3, s18, v1
	v_mov_b32_e32 v1, s9
	v_add_co_u32_e32 v0, vcc, s8, v0
	v_addc_co_u32_e32 v1, vcc, 0, v1, vcc
	v_cmp_gt_i16_e32 vcc, 11, v3
	s_cbranch_vccnz .LBB23_3158
; %bb.3038:
	v_cmp_lt_i16_e32 vcc, 25, v3
	s_mov_b64 s[6:7], -1
	s_mov_b64 s[2:3], 0
	s_mov_b64 s[0:1], 0
	s_cbranch_vccz .LBB23_3071
; %bb.3039:
	v_cmp_lt_i16_e32 vcc, 28, v3
	s_cbranch_vccz .LBB23_3055
; %bb.3040:
	v_cmp_lt_i16_e32 vcc, 43, v3
	;; [unrolled: 3-line block ×3, first 2 shown]
	s_cbranch_vccz .LBB23_3045
; %bb.3042:
	v_cmp_eq_u16_e32 vcc, 46, v3
	s_mov_b64 s[0:1], -1
	s_cbranch_vccz .LBB23_3044
; %bb.3043:
	v_cvt_f32_f16_e32 v5, v2
	s_movk_i32 s0, 0x7fff
	v_mov_b32_e32 v6, 0x7fc0
	v_cmp_o_f16_e32 vcc, v2, v2
	v_bfe_u32 v7, v5, 16, 1
	v_add3_u32 v5, v5, v7, s0
	v_lshrrev_b32_e32 v5, 16, v5
	v_cndmask_b32_e32 v5, v6, v5, vcc
	global_store_dword v[0:1], v5, off
	s_mov_b64 s[0:1], 0
.LBB23_3044:
	s_mov_b64 s[6:7], 0
.LBB23_3045:
	s_and_b64 vcc, exec, s[6:7]
	s_cbranch_vccz .LBB23_3050
; %bb.3046:
	v_cmp_eq_u16_e32 vcc, 44, v3
	s_mov_b64 s[0:1], -1
	s_cbranch_vccz .LBB23_3050
; %bb.3047:
	v_cvt_f32_f16_e32 v5, v2
	s_movk_i32 s0, 0xff
	v_mov_b32_e32 v7, 0xff
	v_bfe_u32 v6, v5, 23, 8
	v_cmp_ne_u32_e32 vcc, s0, v6
	s_and_saveexec_b64 s[6:7], vcc
; %bb.3048:
	s_mov_b32 s0, 0x3fffff
	v_lshrrev_b32_e32 v7, 23, v5
	v_and_b32_e32 v8, 0x400000, v5
	v_and_or_b32 v5, v5, s0, v6
	v_cmp_ne_u32_e32 vcc, 0, v8
	v_cmp_ne_u32_e64 s[0:1], 0, v5
	s_and_b64 s[0:1], vcc, s[0:1]
	v_cndmask_b32_e64 v5, 0, 1, s[0:1]
	v_add_u32_e32 v7, v7, v5
; %bb.3049:
	s_or_b64 exec, exec, s[6:7]
	s_mov_b64 s[0:1], 0
	global_store_byte v[0:1], v7, off
.LBB23_3050:
	s_mov_b64 s[6:7], 0
.LBB23_3051:
	s_and_b64 vcc, exec, s[6:7]
	s_cbranch_vccz .LBB23_3054
; %bb.3052:
	v_cmp_eq_u16_e32 vcc, 29, v3
	s_mov_b64 s[0:1], -1
	s_cbranch_vccz .LBB23_3054
; %bb.3053:
	v_cvt_f32_f16_e32 v5, v2
	v_mov_b32_e32 v7, 0
	s_mov_b64 s[0:1], 0
	v_cvt_u32_f32_e32 v6, v5
	global_store_dwordx2 v[0:1], v[6:7], off
.LBB23_3054:
	s_mov_b64 s[6:7], 0
.LBB23_3055:
	s_and_b64 vcc, exec, s[6:7]
	s_cbranch_vccz .LBB23_3070
; %bb.3056:
	v_cmp_gt_i16_e32 vcc, 27, v3
	s_mov_b64 s[6:7], -1
	s_cbranch_vccnz .LBB23_3062
; %bb.3057:
	v_cmp_lt_i16_e32 vcc, 27, v3
	s_cbranch_vccz .LBB23_3059
; %bb.3058:
	v_cvt_f32_f16_e32 v5, v2
	s_mov_b64 s[6:7], 0
	v_cvt_u32_f32_e32 v5, v5
	global_store_dword v[0:1], v5, off
.LBB23_3059:
	s_andn2_b64 vcc, exec, s[6:7]
	s_cbranch_vccnz .LBB23_3061
; %bb.3060:
	v_cvt_u16_f16_e32 v5, v2
	global_store_short v[0:1], v5, off
.LBB23_3061:
	s_mov_b64 s[6:7], 0
.LBB23_3062:
	s_andn2_b64 vcc, exec, s[6:7]
	s_cbranch_vccnz .LBB23_3070
; %bb.3063:
	v_cvt_f32_f16_e32 v5, v2
	s_mov_b32 s6, 0x43800000
	v_mov_b32_e32 v7, 0x80
	v_and_b32_e32 v6, 0x7fffffff, v5
	v_cmp_gt_u32_e32 vcc, s6, v6
	s_and_saveexec_b64 s[6:7], vcc
	s_cbranch_execz .LBB23_3069
; %bb.3064:
	s_mov_b32 s8, 0x3bffffff
	v_cmp_lt_u32_e32 vcc, s8, v6
	s_mov_b64 s[8:9], 0
                                        ; implicit-def: $vgpr6
	s_and_saveexec_b64 s[10:11], vcc
	s_xor_b64 s[10:11], exec, s[10:11]
	s_cbranch_execz .LBB23_3164
; %bb.3065:
	v_bfe_u32 v6, v5, 20, 1
	s_mov_b32 s16, 0x487ffff
	v_add3_u32 v6, v5, v6, s16
	s_mov_b64 s[8:9], exec
	v_lshrrev_b32_e32 v6, 20, v6
	s_or_saveexec_b64 s[10:11], s[10:11]
                                        ; implicit-def: $sgpr16
	s_xor_b64 exec, exec, s[10:11]
	s_cbranch_execnz .LBB23_3165
.LBB23_3066:
	s_or_b64 exec, exec, s[10:11]
	v_mov_b32_e32 v7, s16
	s_and_saveexec_b64 s[10:11], s[8:9]
.LBB23_3067:
	v_lshrrev_b32_e32 v5, 24, v5
	s_movk_i32 s8, 0x80
	v_and_or_b32 v7, v5, s8, v6
.LBB23_3068:
	s_or_b64 exec, exec, s[10:11]
.LBB23_3069:
	s_or_b64 exec, exec, s[6:7]
	global_store_byte v[0:1], v7, off
.LBB23_3070:
	s_mov_b64 s[6:7], 0
.LBB23_3071:
	s_and_b64 vcc, exec, s[6:7]
	s_cbranch_vccz .LBB23_3111
; %bb.3072:
	v_cmp_lt_i16_e32 vcc, 22, v3
	s_mov_b64 s[2:3], -1
	s_cbranch_vccz .LBB23_3104
; %bb.3073:
	v_cmp_gt_i16_e32 vcc, 24, v3
	s_cbranch_vccnz .LBB23_3093
; %bb.3074:
	v_cmp_lt_i16_e32 vcc, 24, v3
	s_cbranch_vccz .LBB23_3082
; %bb.3075:
	v_cvt_f32_f16_e32 v5, v2
	s_mov_b32 s2, 0x47800000
	v_mov_b32_e32 v7, 0x80
	v_and_b32_e32 v6, 0x7fffffff, v5
	v_cmp_gt_u32_e32 vcc, s2, v6
	s_and_saveexec_b64 s[2:3], vcc
	s_cbranch_execz .LBB23_3081
; %bb.3076:
	s_mov_b32 s6, 0x37ffffff
	v_cmp_lt_u32_e32 vcc, s6, v6
	s_mov_b64 s[6:7], 0
                                        ; implicit-def: $vgpr6
	s_and_saveexec_b64 s[8:9], vcc
	s_xor_b64 s[8:9], exec, s[8:9]
	s_cbranch_execz .LBB23_3167
; %bb.3077:
	v_bfe_u32 v6, v5, 21, 1
	s_mov_b32 s10, 0x88fffff
	v_add3_u32 v6, v5, v6, s10
	s_mov_b64 s[6:7], exec
	v_lshrrev_b32_e32 v6, 21, v6
	s_or_saveexec_b64 s[8:9], s[8:9]
                                        ; implicit-def: $sgpr10
	s_xor_b64 exec, exec, s[8:9]
	s_cbranch_execnz .LBB23_3168
.LBB23_3078:
	s_or_b64 exec, exec, s[8:9]
	v_mov_b32_e32 v7, s10
	s_and_saveexec_b64 s[8:9], s[6:7]
.LBB23_3079:
	v_lshrrev_b32_e32 v5, 24, v5
	s_movk_i32 s6, 0x80
	v_and_or_b32 v7, v5, s6, v6
.LBB23_3080:
	s_or_b64 exec, exec, s[8:9]
.LBB23_3081:
	s_or_b64 exec, exec, s[2:3]
	s_mov_b64 s[2:3], 0
	global_store_byte v[0:1], v7, off
.LBB23_3082:
	s_and_b64 vcc, exec, s[2:3]
	s_cbranch_vccz .LBB23_3092
; %bb.3083:
	v_cvt_f32_f16_e32 v5, v2
	s_mov_b32 s2, 0x43f00000
                                        ; implicit-def: $vgpr6
	v_and_b32_e32 v7, 0x7fffffff, v5
	v_cmp_gt_u32_e32 vcc, s2, v7
	s_and_saveexec_b64 s[2:3], vcc
	s_xor_b64 s[2:3], exec, s[2:3]
	s_cbranch_execz .LBB23_3089
; %bb.3084:
	s_mov_b32 s6, 0x3c7fffff
	v_cmp_lt_u32_e32 vcc, s6, v7
                                        ; implicit-def: $vgpr6
	s_and_saveexec_b64 s[6:7], vcc
	s_xor_b64 s[6:7], exec, s[6:7]
; %bb.3085:
	v_bfe_u32 v6, v5, 20, 1
	s_mov_b32 s8, 0x407ffff
	v_add3_u32 v6, v5, v6, s8
	v_lshrrev_b32_e32 v7, 20, v6
	v_and_b32_e32 v6, 0xff00000, v6
	s_mov_b32 s8, 0x7f00000
	v_mov_b32_e32 v8, 0x7e
	v_cmp_ne_u32_e32 vcc, s8, v6
	v_cndmask_b32_e32 v6, v8, v7, vcc
; %bb.3086:
	s_andn2_saveexec_b64 s[6:7], s[6:7]
; %bb.3087:
	s_mov_b32 s8, 0x46800000
	v_add_f32_e64 v6, |v5|, s8
; %bb.3088:
	s_or_b64 exec, exec, s[6:7]
                                        ; implicit-def: $vgpr7
.LBB23_3089:
	s_andn2_saveexec_b64 s[2:3], s[2:3]
; %bb.3090:
	s_mov_b32 s6, 0x7f800000
	v_mov_b32_e32 v6, 0x7e
	v_mov_b32_e32 v8, 0x7f
	v_cmp_lt_u32_e32 vcc, s6, v7
	v_cndmask_b32_e32 v6, v6, v8, vcc
; %bb.3091:
	s_or_b64 exec, exec, s[2:3]
	v_lshrrev_b32_e32 v5, 24, v5
	s_movk_i32 s2, 0x80
	v_and_or_b32 v5, v5, s2, v6
	global_store_byte v[0:1], v5, off
.LBB23_3092:
	s_mov_b64 s[2:3], 0
.LBB23_3093:
	s_andn2_b64 vcc, exec, s[2:3]
	s_cbranch_vccnz .LBB23_3103
; %bb.3094:
	v_cvt_f32_f16_e32 v5, v2
	s_mov_b32 s2, 0x47800000
                                        ; implicit-def: $vgpr6
	v_and_b32_e32 v7, 0x7fffffff, v5
	v_cmp_gt_u32_e32 vcc, s2, v7
	s_and_saveexec_b64 s[2:3], vcc
	s_xor_b64 s[2:3], exec, s[2:3]
	s_cbranch_execz .LBB23_3100
; %bb.3095:
	s_mov_b32 s6, 0x387fffff
	v_cmp_lt_u32_e32 vcc, s6, v7
                                        ; implicit-def: $vgpr6
	s_and_saveexec_b64 s[6:7], vcc
	s_xor_b64 s[6:7], exec, s[6:7]
; %bb.3096:
	v_bfe_u32 v6, v5, 21, 1
	s_mov_b32 s8, 0x80fffff
	v_add3_u32 v6, v5, v6, s8
	v_lshrrev_b32_e32 v6, 21, v6
; %bb.3097:
	s_andn2_saveexec_b64 s[6:7], s[6:7]
; %bb.3098:
	s_mov_b32 s8, 0x43000000
	v_add_f32_e64 v6, |v5|, s8
; %bb.3099:
	s_or_b64 exec, exec, s[6:7]
                                        ; implicit-def: $vgpr7
.LBB23_3100:
	s_andn2_saveexec_b64 s[2:3], s[2:3]
; %bb.3101:
	s_mov_b32 s6, 0x7f800000
	v_mov_b32_e32 v6, 0x7c
	v_mov_b32_e32 v8, 0x7f
	v_cmp_lt_u32_e32 vcc, s6, v7
	v_cndmask_b32_e32 v6, v6, v8, vcc
; %bb.3102:
	s_or_b64 exec, exec, s[2:3]
	v_lshrrev_b32_e32 v5, 24, v5
	s_movk_i32 s2, 0x80
	v_and_or_b32 v5, v5, s2, v6
	global_store_byte v[0:1], v5, off
.LBB23_3103:
	s_mov_b64 s[2:3], 0
.LBB23_3104:
	s_andn2_b64 vcc, exec, s[2:3]
	s_mov_b64 s[2:3], 0
	s_cbranch_vccnz .LBB23_3111
; %bb.3105:
	v_cmp_lt_i16_e32 vcc, 14, v3
	s_mov_b64 s[6:7], -1
	s_cbranch_vccz .LBB23_3109
; %bb.3106:
	v_cmp_eq_u16_e32 vcc, 15, v3
	s_mov_b64 s[0:1], -1
	s_cbranch_vccz .LBB23_3108
; %bb.3107:
	v_cvt_f32_f16_e32 v5, v2
	s_movk_i32 s0, 0x7fff
	v_mov_b32_e32 v6, 0x7fc0
	v_cmp_o_f16_e32 vcc, v2, v2
	v_bfe_u32 v7, v5, 16, 1
	v_add3_u32 v5, v5, v7, s0
	v_lshrrev_b32_e32 v5, 16, v5
	v_cndmask_b32_e32 v5, v6, v5, vcc
	global_store_short v[0:1], v5, off
	s_mov_b64 s[0:1], 0
.LBB23_3108:
	s_mov_b64 s[6:7], 0
.LBB23_3109:
	s_and_b64 vcc, exec, s[6:7]
	s_cbranch_vccz .LBB23_3111
; %bb.3110:
	v_cmp_ne_u16_e64 s[0:1], 11, v3
	s_mov_b64 s[2:3], -1
.LBB23_3111:
	s_and_b64 vcc, exec, s[0:1]
	s_cbranch_vccnz .LBB23_3166
.LBB23_3112:
	s_mov_b64 s[0:1], 0
	s_branch .LBB23_3114
.LBB23_3113:
	s_mov_b64 s[0:1], 0
	s_mov_b64 s[2:3], 0
                                        ; implicit-def: $vgpr0_vgpr1
                                        ; implicit-def: $vgpr3
                                        ; implicit-def: $vgpr2
                                        ; implicit-def: $vgpr4
.LBB23_3114:
	s_and_b64 s[6:7], s[2:3], exec
	s_andn2_b64 s[2:3], s[12:13], exec
	s_and_b64 s[4:5], s[4:5], exec
	s_and_b64 s[0:1], s[0:1], exec
	s_or_b64 s[12:13], s[2:3], s[4:5]
.LBB23_3115:
	s_or_b64 exec, exec, s[14:15]
	s_and_saveexec_b64 s[2:3], s[12:13]
	s_cbranch_execz .LBB23_3118
; %bb.3116:
	; divergent unreachable
	s_or_b64 exec, exec, s[2:3]
	s_and_saveexec_b64 s[2:3], s[6:7]
	s_xor_b64 s[2:3], exec, s[2:3]
	s_cbranch_execnz .LBB23_3119
.LBB23_3117:
	s_or_b64 exec, exec, s[2:3]
	s_and_saveexec_b64 s[2:3], s[0:1]
	s_cbranch_execnz .LBB23_3120
	s_branch .LBB23_3157
.LBB23_3118:
	s_or_b64 exec, exec, s[2:3]
	s_and_saveexec_b64 s[2:3], s[6:7]
	s_xor_b64 s[2:3], exec, s[2:3]
	s_cbranch_execz .LBB23_3117
.LBB23_3119:
	s_waitcnt vmcnt(0)
	v_cmp_ne_u16_e32 vcc, 0, v4
	v_cndmask_b32_e64 v4, 0, 1, vcc
	global_store_byte v[0:1], v4, off
	s_or_b64 exec, exec, s[2:3]
	s_and_saveexec_b64 s[2:3], s[0:1]
	s_cbranch_execz .LBB23_3157
.LBB23_3120:
	s_waitcnt vmcnt(0)
	v_cmp_gt_i16_e32 vcc, 5, v3
	s_mov_b64 s[0:1], -1
	s_cbranch_vccnz .LBB23_3141
; %bb.3121:
	v_cmp_gt_i16_e32 vcc, 8, v3
	s_cbranch_vccnz .LBB23_3131
; %bb.3122:
	v_cmp_gt_i16_e32 vcc, 9, v3
	s_cbranch_vccnz .LBB23_3128
; %bb.3123:
	v_cmp_lt_i16_e32 vcc, 9, v3
	s_cbranch_vccz .LBB23_3125
; %bb.3124:
	v_cvt_f32_f16_e32 v4, v2
	v_mov_b32_e32 v6, 0
	v_mov_b32_e32 v7, v6
	s_mov_b64 s[0:1], 0
	v_cvt_f64_f32_e32 v[4:5], v4
	global_store_dwordx4 v[0:1], v[4:7], off
.LBB23_3125:
	s_andn2_b64 vcc, exec, s[0:1]
	s_cbranch_vccnz .LBB23_3127
; %bb.3126:
	v_cvt_f32_f16_e32 v4, v2
	v_mov_b32_e32 v5, 0
	global_store_dwordx2 v[0:1], v[4:5], off
.LBB23_3127:
	s_mov_b64 s[0:1], 0
.LBB23_3128:
	s_andn2_b64 vcc, exec, s[0:1]
	s_cbranch_vccnz .LBB23_3130
; %bb.3129:
	v_and_b32_e32 v4, 0xffff, v2
	global_store_dword v[0:1], v4, off
.LBB23_3130:
	s_mov_b64 s[0:1], 0
.LBB23_3131:
	s_andn2_b64 vcc, exec, s[0:1]
	s_cbranch_vccnz .LBB23_3140
; %bb.3132:
	v_cmp_gt_i16_e32 vcc, 6, v3
	s_mov_b64 s[0:1], -1
	s_cbranch_vccnz .LBB23_3138
; %bb.3133:
	v_cmp_lt_i16_e32 vcc, 6, v3
	s_cbranch_vccz .LBB23_3135
; %bb.3134:
	v_cvt_f32_f16_e32 v4, v2
	s_mov_b64 s[0:1], 0
	v_cvt_f64_f32_e32 v[4:5], v4
	global_store_dwordx2 v[0:1], v[4:5], off
.LBB23_3135:
	s_andn2_b64 vcc, exec, s[0:1]
	s_cbranch_vccnz .LBB23_3137
; %bb.3136:
	v_cvt_f32_f16_e32 v4, v2
	global_store_dword v[0:1], v4, off
.LBB23_3137:
	s_mov_b64 s[0:1], 0
.LBB23_3138:
	s_andn2_b64 vcc, exec, s[0:1]
	s_cbranch_vccnz .LBB23_3140
; %bb.3139:
	global_store_short v[0:1], v2, off
.LBB23_3140:
	s_mov_b64 s[0:1], 0
.LBB23_3141:
	s_andn2_b64 vcc, exec, s[0:1]
	s_cbranch_vccnz .LBB23_3157
; %bb.3142:
	v_cmp_gt_i16_e32 vcc, 2, v3
	s_mov_b64 s[0:1], -1
	s_cbranch_vccnz .LBB23_3152
; %bb.3143:
	v_cmp_gt_i16_e32 vcc, 3, v3
	s_cbranch_vccnz .LBB23_3149
; %bb.3144:
	v_cmp_lt_i16_e32 vcc, 3, v3
	s_cbranch_vccz .LBB23_3146
; %bb.3145:
	v_cvt_f32_f16_e32 v4, v2
	s_mov_b64 s[0:1], 0
	v_cvt_i32_f32_e32 v4, v4
	v_ashrrev_i32_e32 v5, 31, v4
	global_store_dwordx2 v[0:1], v[4:5], off
.LBB23_3146:
	s_andn2_b64 vcc, exec, s[0:1]
	s_cbranch_vccnz .LBB23_3148
; %bb.3147:
	v_cvt_f32_f16_e32 v4, v2
	v_cvt_i32_f32_e32 v4, v4
	global_store_dword v[0:1], v4, off
.LBB23_3148:
	s_mov_b64 s[0:1], 0
.LBB23_3149:
	s_andn2_b64 vcc, exec, s[0:1]
	s_cbranch_vccnz .LBB23_3151
; %bb.3150:
	v_cvt_i16_f16_e32 v4, v2
	global_store_short v[0:1], v4, off
.LBB23_3151:
	s_mov_b64 s[0:1], 0
.LBB23_3152:
	s_andn2_b64 vcc, exec, s[0:1]
	s_cbranch_vccnz .LBB23_3157
; %bb.3153:
	v_cmp_lt_i16_e32 vcc, 0, v3
	s_mov_b64 s[0:1], -1
	s_cbranch_vccz .LBB23_3155
; %bb.3154:
	v_cvt_i16_f16_e32 v3, v2
	global_store_byte v[0:1], v3, off
	s_mov_b64 s[0:1], 0
.LBB23_3155:
	s_andn2_b64 vcc, exec, s[0:1]
	s_cbranch_vccnz .LBB23_3157
; %bb.3156:
	v_cvt_f32_f16_e32 v2, v2
	v_cvt_i32_f32_e32 v2, v2
	global_store_byte v[0:1], v2, off
	s_endpgm
.LBB23_3157:
	s_endpgm
.LBB23_3158:
	s_mov_b64 s[2:3], 0
	s_mov_b64 s[0:1], -1
	s_branch .LBB23_3114
.LBB23_3159:
	s_or_saveexec_b64 s[16:17], s[16:17]
                                        ; implicit-def: $sgpr19
	s_xor_b64 exec, exec, s[16:17]
	s_cbranch_execz .LBB23_2947
.LBB23_3160:
	s_mov_b32 s19, 0x46000000
	v_add_f32_e64 v6, |v5|, s19
	v_and_b32_e32 v6, 0xff, v6
	v_cmp_ne_u32_e32 vcc, 0, v6
	s_andn2_b64 s[10:11], s[10:11], exec
	s_and_b64 s[20:21], vcc, exec
	s_mov_b32 s19, 0
	s_or_b64 s[10:11], s[10:11], s[20:21]
	s_or_b64 exec, exec, s[16:17]
	v_mov_b32_e32 v7, s19
	s_and_saveexec_b64 s[16:17], s[10:11]
	s_cbranch_execnz .LBB23_2948
	s_branch .LBB23_2949
.LBB23_3161:
	s_trap 2
	s_or_b64 s[4:5], s[4:5], exec
	s_cbranch_execz .LBB23_2995
	s_branch .LBB23_2996
.LBB23_3162:
	s_or_saveexec_b64 s[10:11], s[10:11]
                                        ; implicit-def: $sgpr16
	s_xor_b64 exec, exec, s[10:11]
	s_cbranch_execz .LBB23_2960
.LBB23_3163:
	s_mov_b32 s16, 0x42800000
	v_add_f32_e64 v6, |v5|, s16
	v_and_b32_e32 v6, 0xff, v6
	v_cmp_ne_u32_e32 vcc, 0, v6
	s_andn2_b64 s[6:7], s[6:7], exec
	s_and_b64 s[20:21], vcc, exec
	s_mov_b32 s16, 0
	s_or_b64 s[6:7], s[6:7], s[20:21]
	s_or_b64 exec, exec, s[10:11]
	v_mov_b32_e32 v7, s16
	s_and_saveexec_b64 s[10:11], s[6:7]
	s_cbranch_execnz .LBB23_2961
	s_branch .LBB23_2962
.LBB23_3164:
	s_or_saveexec_b64 s[10:11], s[10:11]
                                        ; implicit-def: $sgpr16
	s_xor_b64 exec, exec, s[10:11]
	s_cbranch_execz .LBB23_3066
.LBB23_3165:
	s_mov_b32 s16, 0x46000000
	v_add_f32_e64 v6, |v5|, s16
	v_and_b32_e32 v6, 0xff, v6
	v_cmp_ne_u32_e32 vcc, 0, v6
	s_andn2_b64 s[8:9], s[8:9], exec
	s_and_b64 s[18:19], vcc, exec
	s_mov_b32 s16, 0
	s_or_b64 s[8:9], s[8:9], s[18:19]
	s_or_b64 exec, exec, s[10:11]
	v_mov_b32_e32 v7, s16
	s_and_saveexec_b64 s[10:11], s[8:9]
	s_cbranch_execnz .LBB23_3067
	s_branch .LBB23_3068
.LBB23_3166:
	s_mov_b64 s[2:3], 0
	s_or_b64 s[4:5], s[4:5], exec
	s_trap 2
	s_branch .LBB23_3112
.LBB23_3167:
	s_or_saveexec_b64 s[8:9], s[8:9]
                                        ; implicit-def: $sgpr10
	s_xor_b64 exec, exec, s[8:9]
	s_cbranch_execz .LBB23_3078
.LBB23_3168:
	s_mov_b32 s10, 0x42800000
	v_add_f32_e64 v6, |v5|, s10
	v_and_b32_e32 v6, 0xff, v6
	v_cmp_ne_u32_e32 vcc, 0, v6
	s_andn2_b64 s[6:7], s[6:7], exec
	s_and_b64 s[16:17], vcc, exec
	s_mov_b32 s10, 0
	s_or_b64 s[6:7], s[6:7], s[16:17]
	s_or_b64 exec, exec, s[8:9]
	v_mov_b32_e32 v7, s10
	s_and_saveexec_b64 s[8:9], s[6:7]
	s_cbranch_execnz .LBB23_3079
	s_branch .LBB23_3080
	.section	.rodata,"a",@progbits
	.p2align	6, 0x0
	.amdhsa_kernel _ZN2at6native32elementwise_kernel_manual_unrollILi128ELi4EZNS0_15gpu_kernel_implINS0_13BinaryFunctorIN3c104HalfES5_S5_ZNS0_20copysign_kernel_cudaERNS_18TensorIteratorBaseEEUlS5_S5_E_EEEEvS7_RKT_EUlibE0_EEviT1_
		.amdhsa_group_segment_fixed_size 0
		.amdhsa_private_segment_fixed_size 0
		.amdhsa_kernarg_size 432
		.amdhsa_user_sgpr_count 6
		.amdhsa_user_sgpr_private_segment_buffer 1
		.amdhsa_user_sgpr_dispatch_ptr 0
		.amdhsa_user_sgpr_queue_ptr 0
		.amdhsa_user_sgpr_kernarg_segment_ptr 1
		.amdhsa_user_sgpr_dispatch_id 0
		.amdhsa_user_sgpr_flat_scratch_init 0
		.amdhsa_user_sgpr_kernarg_preload_length 0
		.amdhsa_user_sgpr_kernarg_preload_offset 0
		.amdhsa_user_sgpr_private_segment_size 0
		.amdhsa_uses_dynamic_stack 0
		.amdhsa_system_sgpr_private_segment_wavefront_offset 0
		.amdhsa_system_sgpr_workgroup_id_x 1
		.amdhsa_system_sgpr_workgroup_id_y 0
		.amdhsa_system_sgpr_workgroup_id_z 0
		.amdhsa_system_sgpr_workgroup_info 0
		.amdhsa_system_vgpr_workitem_id 0
		.amdhsa_next_free_vgpr 26
		.amdhsa_next_free_sgpr 78
		.amdhsa_accum_offset 28
		.amdhsa_reserve_vcc 1
		.amdhsa_reserve_flat_scratch 0
		.amdhsa_float_round_mode_32 0
		.amdhsa_float_round_mode_16_64 0
		.amdhsa_float_denorm_mode_32 3
		.amdhsa_float_denorm_mode_16_64 3
		.amdhsa_dx10_clamp 1
		.amdhsa_ieee_mode 1
		.amdhsa_fp16_overflow 0
		.amdhsa_tg_split 0
		.amdhsa_exception_fp_ieee_invalid_op 0
		.amdhsa_exception_fp_denorm_src 0
		.amdhsa_exception_fp_ieee_div_zero 0
		.amdhsa_exception_fp_ieee_overflow 0
		.amdhsa_exception_fp_ieee_underflow 0
		.amdhsa_exception_fp_ieee_inexact 0
		.amdhsa_exception_int_div_zero 0
	.end_amdhsa_kernel
	.section	.text._ZN2at6native32elementwise_kernel_manual_unrollILi128ELi4EZNS0_15gpu_kernel_implINS0_13BinaryFunctorIN3c104HalfES5_S5_ZNS0_20copysign_kernel_cudaERNS_18TensorIteratorBaseEEUlS5_S5_E_EEEEvS7_RKT_EUlibE0_EEviT1_,"axG",@progbits,_ZN2at6native32elementwise_kernel_manual_unrollILi128ELi4EZNS0_15gpu_kernel_implINS0_13BinaryFunctorIN3c104HalfES5_S5_ZNS0_20copysign_kernel_cudaERNS_18TensorIteratorBaseEEUlS5_S5_E_EEEEvS7_RKT_EUlibE0_EEviT1_,comdat
.Lfunc_end23:
	.size	_ZN2at6native32elementwise_kernel_manual_unrollILi128ELi4EZNS0_15gpu_kernel_implINS0_13BinaryFunctorIN3c104HalfES5_S5_ZNS0_20copysign_kernel_cudaERNS_18TensorIteratorBaseEEUlS5_S5_E_EEEEvS7_RKT_EUlibE0_EEviT1_, .Lfunc_end23-_ZN2at6native32elementwise_kernel_manual_unrollILi128ELi4EZNS0_15gpu_kernel_implINS0_13BinaryFunctorIN3c104HalfES5_S5_ZNS0_20copysign_kernel_cudaERNS_18TensorIteratorBaseEEUlS5_S5_E_EEEEvS7_RKT_EUlibE0_EEviT1_
                                        ; -- End function
	.section	.AMDGPU.csdata,"",@progbits
; Kernel info:
; codeLenInByte = 57748
; NumSgprs: 82
; NumVgprs: 26
; NumAgprs: 0
; TotalNumVgprs: 26
; ScratchSize: 0
; MemoryBound: 0
; FloatMode: 240
; IeeeMode: 1
; LDSByteSize: 0 bytes/workgroup (compile time only)
; SGPRBlocks: 10
; VGPRBlocks: 3
; NumSGPRsForWavesPerEU: 82
; NumVGPRsForWavesPerEU: 26
; AccumOffset: 28
; Occupancy: 8
; WaveLimiterHint : 1
; COMPUTE_PGM_RSRC2:SCRATCH_EN: 0
; COMPUTE_PGM_RSRC2:USER_SGPR: 6
; COMPUTE_PGM_RSRC2:TRAP_HANDLER: 0
; COMPUTE_PGM_RSRC2:TGID_X_EN: 1
; COMPUTE_PGM_RSRC2:TGID_Y_EN: 0
; COMPUTE_PGM_RSRC2:TGID_Z_EN: 0
; COMPUTE_PGM_RSRC2:TIDIG_COMP_CNT: 0
; COMPUTE_PGM_RSRC3_GFX90A:ACCUM_OFFSET: 6
; COMPUTE_PGM_RSRC3_GFX90A:TG_SPLIT: 0
	.section	.text._ZN2at6native29vectorized_elementwise_kernelILi16ENS0_13AUnaryFunctorIN3c108BFloat16ES4_S4_ZNS0_20copysign_kernel_cudaERNS_18TensorIteratorBaseEEUlS4_S4_E_EESt5arrayIPcLm2EEEEviT0_T1_,"axG",@progbits,_ZN2at6native29vectorized_elementwise_kernelILi16ENS0_13AUnaryFunctorIN3c108BFloat16ES4_S4_ZNS0_20copysign_kernel_cudaERNS_18TensorIteratorBaseEEUlS4_S4_E_EESt5arrayIPcLm2EEEEviT0_T1_,comdat
	.globl	_ZN2at6native29vectorized_elementwise_kernelILi16ENS0_13AUnaryFunctorIN3c108BFloat16ES4_S4_ZNS0_20copysign_kernel_cudaERNS_18TensorIteratorBaseEEUlS4_S4_E_EESt5arrayIPcLm2EEEEviT0_T1_ ; -- Begin function _ZN2at6native29vectorized_elementwise_kernelILi16ENS0_13AUnaryFunctorIN3c108BFloat16ES4_S4_ZNS0_20copysign_kernel_cudaERNS_18TensorIteratorBaseEEUlS4_S4_E_EESt5arrayIPcLm2EEEEviT0_T1_
	.p2align	8
	.type	_ZN2at6native29vectorized_elementwise_kernelILi16ENS0_13AUnaryFunctorIN3c108BFloat16ES4_S4_ZNS0_20copysign_kernel_cudaERNS_18TensorIteratorBaseEEUlS4_S4_E_EESt5arrayIPcLm2EEEEviT0_T1_,@function
_ZN2at6native29vectorized_elementwise_kernelILi16ENS0_13AUnaryFunctorIN3c108BFloat16ES4_S4_ZNS0_20copysign_kernel_cudaERNS_18TensorIteratorBaseEEUlS4_S4_E_EESt5arrayIPcLm2EEEEviT0_T1_: ; @_ZN2at6native29vectorized_elementwise_kernelILi16ENS0_13AUnaryFunctorIN3c108BFloat16ES4_S4_ZNS0_20copysign_kernel_cudaERNS_18TensorIteratorBaseEEUlS4_S4_E_EESt5arrayIPcLm2EEEEviT0_T1_
; %bb.0:
	s_load_dwordx2 s[0:1], s[4:5], 0x0
	s_load_dwordx4 s[8:11], s[4:5], 0x8
	s_lshl_b32 s2, s6, 11
	s_waitcnt lgkmcnt(0)
	s_sub_i32 s6, s0, s2
	s_lshr_b32 s7, s1, 16
	s_cmpk_gt_i32 s6, 0x7ff
	s_mov_b64 s[0:1], -1
	s_cbranch_scc0 .LBB24_2
; %bb.1:
	s_ashr_i32 s3, s2, 31
	s_lshl_b64 s[0:1], s[2:3], 1
	s_add_u32 s4, s10, s0
	s_addc_u32 s5, s11, s1
	v_lshlrev_b32_e32 v1, 4, v0
	global_load_dwordx4 v[2:5], v1, s[4:5]
	v_mov_b32_e32 v6, 0x7fff
	s_movk_i32 s3, 0x8000
	v_and_b32_e32 v6, s7, v6
	s_mov_b32 s4, 0x5040100
	s_add_u32 s0, s8, s0
	s_addc_u32 s1, s9, s1
	s_waitcnt vmcnt(0)
	v_and_b32_sdwa v7, v3, s3 dst_sel:DWORD dst_unused:UNUSED_PAD src0_sel:WORD_1 src1_sel:DWORD
	v_and_b32_e32 v3, 0xffff8000, v3
	v_and_b32_sdwa v8, v2, s3 dst_sel:DWORD dst_unused:UNUSED_PAD src0_sel:WORD_1 src1_sel:DWORD
	v_and_b32_e32 v2, 0xffff8000, v2
	;; [unrolled: 2-line block ×4, first 2 shown]
	v_or_b32_e32 v2, v2, v6
	v_or_b32_e32 v8, v8, v6
	v_or_b32_e32 v3, v3, v6
	v_or_b32_e32 v7, v7, v6
	v_or_b32_e32 v4, v4, v6
	v_or_b32_e32 v10, v10, v6
	v_or_b32_e32 v5, v5, v6
	v_or_b32_e32 v6, v9, v6
	v_perm_b32 v5, v6, v5, s4
	v_perm_b32 v4, v10, v4, s4
	;; [unrolled: 1-line block ×4, first 2 shown]
	global_store_dwordx4 v1, v[2:5], s[0:1]
	s_mov_b64 s[0:1], 0
.LBB24_2:
	s_andn2_b64 vcc, exec, s[0:1]
	s_cbranch_vccnz .LBB24_28
; %bb.3:
	v_cmp_gt_i32_e32 vcc, s6, v0
	v_mov_b32_e32 v1, 0
	v_or_b32_e32 v2, s2, v0
	v_mov_b32_e32 v3, 0
	v_mov_b32_e32 v9, v0
	s_and_saveexec_b64 s[4:5], vcc
	s_cbranch_execz .LBB24_5
; %bb.4:
	v_mov_b32_e32 v3, 0
	v_lshlrev_b64 v[4:5], 1, v[2:3]
	v_mov_b32_e32 v3, s11
	v_add_co_u32_e64 v4, s[0:1], s10, v4
	v_addc_co_u32_e64 v5, s[0:1], v3, v5, s[0:1]
	global_load_ushort v3, v[4:5], off
	v_or_b32_e32 v9, 0x100, v0
	s_waitcnt vmcnt(0)
	v_and_b32_e32 v3, 0xffff8000, v3
.LBB24_5:
	s_or_b64 exec, exec, s[4:5]
	v_cmp_gt_i32_e64 s[0:1], s6, v9
	s_and_saveexec_b64 s[4:5], s[0:1]
	s_cbranch_execz .LBB24_7
; %bb.6:
	v_add_u32_e32 v4, s2, v9
	v_mov_b32_e32 v5, 0
	v_lshlrev_b64 v[4:5], 1, v[4:5]
	v_mov_b32_e32 v1, s11
	v_add_co_u32_e64 v4, s[0:1], s10, v4
	v_addc_co_u32_e64 v5, s[0:1], v1, v5, s[0:1]
	global_load_ushort v1, v[4:5], off
	v_add_u32_e32 v9, 0x100, v9
	s_waitcnt vmcnt(0)
	v_and_b32_e32 v1, 0xffff8000, v1
.LBB24_7:
	s_or_b64 exec, exec, s[4:5]
	v_cmp_gt_i32_e64 s[0:1], s6, v9
	v_mov_b32_e32 v4, 0
	v_mov_b32_e32 v7, 0
	s_and_saveexec_b64 s[4:5], s[0:1]
	s_cbranch_execz .LBB24_9
; %bb.8:
	v_add_u32_e32 v6, s2, v9
	v_mov_b32_e32 v7, 0
	v_lshlrev_b64 v[6:7], 1, v[6:7]
	v_mov_b32_e32 v5, s11
	v_add_co_u32_e64 v6, s[0:1], s10, v6
	v_addc_co_u32_e64 v7, s[0:1], v5, v7, s[0:1]
	global_load_ushort v5, v[6:7], off
	v_add_u32_e32 v9, 0x100, v9
	s_waitcnt vmcnt(0)
	v_and_b32_e32 v7, 0xffff8000, v5
.LBB24_9:
	s_or_b64 exec, exec, s[4:5]
	v_cmp_gt_i32_e64 s[0:1], s6, v9
	s_and_saveexec_b64 s[4:5], s[0:1]
	s_cbranch_execz .LBB24_11
; %bb.10:
	v_add_u32_e32 v4, s2, v9
	v_mov_b32_e32 v5, 0
	v_lshlrev_b64 v[4:5], 1, v[4:5]
	v_mov_b32_e32 v6, s11
	v_add_co_u32_e64 v4, s[0:1], s10, v4
	v_addc_co_u32_e64 v5, s[0:1], v6, v5, s[0:1]
	global_load_ushort v4, v[4:5], off
	v_add_u32_e32 v9, 0x100, v9
	s_waitcnt vmcnt(0)
	v_and_b32_e32 v4, 0xffff8000, v4
.LBB24_11:
	s_or_b64 exec, exec, s[4:5]
	v_cmp_gt_i32_e64 s[0:1], s6, v9
	v_mov_b32_e32 v5, 0
	v_mov_b32_e32 v8, 0
	s_and_saveexec_b64 s[4:5], s[0:1]
	s_cbranch_execz .LBB24_13
; %bb.12:
	v_add_u32_e32 v10, s2, v9
	v_mov_b32_e32 v11, 0
	v_lshlrev_b64 v[10:11], 1, v[10:11]
	v_mov_b32_e32 v6, s11
	v_add_co_u32_e64 v10, s[0:1], s10, v10
	v_addc_co_u32_e64 v11, s[0:1], v6, v11, s[0:1]
	global_load_ushort v6, v[10:11], off
	v_add_u32_e32 v9, 0x100, v9
	s_waitcnt vmcnt(0)
	v_and_b32_e32 v8, 0xffff8000, v6
.LBB24_13:
	;; [unrolled: 34-line block ×3, first 2 shown]
	s_or_b64 exec, exec, s[4:5]
	v_cmp_gt_i32_e64 s[0:1], s6, v9
	s_and_saveexec_b64 s[4:5], s[0:1]
	s_cbranch_execz .LBB24_19
; %bb.18:
	v_add_u32_e32 v12, s2, v9
	v_mov_b32_e32 v13, 0
	v_lshlrev_b64 v[12:13], 1, v[12:13]
	v_mov_b32_e32 v6, s11
	v_add_co_u32_e64 v12, s[0:1], s10, v12
	v_addc_co_u32_e64 v13, s[0:1], v6, v13, s[0:1]
	global_load_ushort v6, v[12:13], off
	s_waitcnt vmcnt(0)
	v_and_b32_e32 v6, 0xffff8000, v6
.LBB24_19:
	s_or_b64 exec, exec, s[4:5]
	v_mov_b32_e32 v9, 0x7fff
	v_and_b32_e32 v9, s7, v9
	s_and_saveexec_b64 s[0:1], vcc
	s_cbranch_execnz .LBB24_29
; %bb.20:
	s_or_b64 exec, exec, s[0:1]
	v_cmp_gt_i32_e32 vcc, s6, v0
	s_and_saveexec_b64 s[0:1], vcc
	s_cbranch_execnz .LBB24_30
.LBB24_21:
	s_or_b64 exec, exec, s[0:1]
	v_cmp_gt_i32_e32 vcc, s6, v0
	s_and_saveexec_b64 s[0:1], vcc
	s_cbranch_execnz .LBB24_31
.LBB24_22:
	s_or_b64 exec, exec, s[0:1]
	v_cmp_gt_i32_e32 vcc, s6, v0
	s_and_saveexec_b64 s[0:1], vcc
	s_cbranch_execnz .LBB24_32
.LBB24_23:
	s_or_b64 exec, exec, s[0:1]
	v_cmp_gt_i32_e32 vcc, s6, v0
	s_and_saveexec_b64 s[0:1], vcc
	s_cbranch_execnz .LBB24_33
.LBB24_24:
	s_or_b64 exec, exec, s[0:1]
	v_cmp_gt_i32_e32 vcc, s6, v0
	s_and_saveexec_b64 s[0:1], vcc
	s_cbranch_execnz .LBB24_34
.LBB24_25:
	s_or_b64 exec, exec, s[0:1]
	v_cmp_gt_i32_e32 vcc, s6, v0
	s_and_saveexec_b64 s[0:1], vcc
	s_cbranch_execnz .LBB24_35
.LBB24_26:
	s_or_b64 exec, exec, s[0:1]
	v_cmp_gt_i32_e32 vcc, s6, v0
	s_and_saveexec_b64 s[0:1], vcc
	s_cbranch_execz .LBB24_28
.LBB24_27:
	v_add_u32_e32 v0, s2, v0
	v_mov_b32_e32 v1, 0
	v_lshlrev_b64 v[0:1], 1, v[0:1]
	v_mov_b32_e32 v3, s9
	v_add_co_u32_e32 v0, vcc, s8, v0
	v_or_b32_e32 v2, v6, v9
	v_addc_co_u32_e32 v1, vcc, v3, v1, vcc
	global_store_short v[0:1], v2, off
.LBB24_28:
	s_endpgm
.LBB24_29:
	v_or_b32_e32 v11, v3, v9
	v_mov_b32_e32 v3, 0
	v_lshlrev_b64 v[2:3], 1, v[2:3]
	v_mov_b32_e32 v12, s9
	v_add_co_u32_e32 v2, vcc, s8, v2
	v_or_b32_e32 v0, 0x100, v0
	v_addc_co_u32_e32 v3, vcc, v12, v3, vcc
	global_store_short v[2:3], v11, off
	s_or_b64 exec, exec, s[0:1]
	v_cmp_gt_i32_e32 vcc, s6, v0
	s_and_saveexec_b64 s[0:1], vcc
	s_cbranch_execz .LBB24_21
.LBB24_30:
	v_add_u32_e32 v2, s2, v0
	v_mov_b32_e32 v3, 0
	v_lshlrev_b64 v[2:3], 1, v[2:3]
	v_mov_b32_e32 v11, s9
	v_add_co_u32_e32 v2, vcc, s8, v2
	v_or_b32_e32 v1, v1, v9
	v_addc_co_u32_e32 v3, vcc, v11, v3, vcc
	v_add_u32_e32 v0, 0x100, v0
	global_store_short v[2:3], v1, off
	s_or_b64 exec, exec, s[0:1]
	v_cmp_gt_i32_e32 vcc, s6, v0
	s_and_saveexec_b64 s[0:1], vcc
	s_cbranch_execz .LBB24_22
.LBB24_31:
	v_add_u32_e32 v2, s2, v0
	v_mov_b32_e32 v3, 0
	v_lshlrev_b64 v[2:3], 1, v[2:3]
	v_or_b32_e32 v1, v7, v9
	v_mov_b32_e32 v7, s9
	v_add_co_u32_e32 v2, vcc, s8, v2
	v_addc_co_u32_e32 v3, vcc, v7, v3, vcc
	v_add_u32_e32 v0, 0x100, v0
	global_store_short v[2:3], v1, off
	s_or_b64 exec, exec, s[0:1]
	v_cmp_gt_i32_e32 vcc, s6, v0
	s_and_saveexec_b64 s[0:1], vcc
	s_cbranch_execz .LBB24_23
.LBB24_32:
	v_add_u32_e32 v2, s2, v0
	v_mov_b32_e32 v3, 0
	v_lshlrev_b64 v[2:3], 1, v[2:3]
	v_or_b32_e32 v1, v4, v9
	v_mov_b32_e32 v4, s9
	v_add_co_u32_e32 v2, vcc, s8, v2
	v_addc_co_u32_e32 v3, vcc, v4, v3, vcc
	v_add_u32_e32 v0, 0x100, v0
	global_store_short v[2:3], v1, off
	s_or_b64 exec, exec, s[0:1]
	v_cmp_gt_i32_e32 vcc, s6, v0
	s_and_saveexec_b64 s[0:1], vcc
	s_cbranch_execz .LBB24_24
.LBB24_33:
	v_add_u32_e32 v2, s2, v0
	v_mov_b32_e32 v3, 0
	v_lshlrev_b64 v[2:3], 1, v[2:3]
	v_mov_b32_e32 v4, s9
	v_add_co_u32_e32 v2, vcc, s8, v2
	v_or_b32_e32 v1, v8, v9
	v_addc_co_u32_e32 v3, vcc, v4, v3, vcc
	v_add_u32_e32 v0, 0x100, v0
	global_store_short v[2:3], v1, off
	s_or_b64 exec, exec, s[0:1]
	v_cmp_gt_i32_e32 vcc, s6, v0
	s_and_saveexec_b64 s[0:1], vcc
	s_cbranch_execz .LBB24_25
.LBB24_34:
	v_add_u32_e32 v2, s2, v0
	v_mov_b32_e32 v3, 0
	v_lshlrev_b64 v[2:3], 1, v[2:3]
	v_mov_b32_e32 v4, s9
	v_add_co_u32_e32 v2, vcc, s8, v2
	v_or_b32_e32 v1, v5, v9
	v_addc_co_u32_e32 v3, vcc, v4, v3, vcc
	v_add_u32_e32 v0, 0x100, v0
	global_store_short v[2:3], v1, off
	s_or_b64 exec, exec, s[0:1]
	v_cmp_gt_i32_e32 vcc, s6, v0
	s_and_saveexec_b64 s[0:1], vcc
	s_cbranch_execz .LBB24_26
.LBB24_35:
	v_add_u32_e32 v2, s2, v0
	v_mov_b32_e32 v3, 0
	v_lshlrev_b64 v[2:3], 1, v[2:3]
	v_mov_b32_e32 v4, s9
	v_add_co_u32_e32 v2, vcc, s8, v2
	v_or_b32_e32 v1, v10, v9
	v_addc_co_u32_e32 v3, vcc, v4, v3, vcc
	v_add_u32_e32 v0, 0x100, v0
	global_store_short v[2:3], v1, off
	s_or_b64 exec, exec, s[0:1]
	v_cmp_gt_i32_e32 vcc, s6, v0
	s_and_saveexec_b64 s[0:1], vcc
	s_cbranch_execnz .LBB24_27
	s_branch .LBB24_28
	.section	.rodata,"a",@progbits
	.p2align	6, 0x0
	.amdhsa_kernel _ZN2at6native29vectorized_elementwise_kernelILi16ENS0_13AUnaryFunctorIN3c108BFloat16ES4_S4_ZNS0_20copysign_kernel_cudaERNS_18TensorIteratorBaseEEUlS4_S4_E_EESt5arrayIPcLm2EEEEviT0_T1_
		.amdhsa_group_segment_fixed_size 0
		.amdhsa_private_segment_fixed_size 0
		.amdhsa_kernarg_size 24
		.amdhsa_user_sgpr_count 6
		.amdhsa_user_sgpr_private_segment_buffer 1
		.amdhsa_user_sgpr_dispatch_ptr 0
		.amdhsa_user_sgpr_queue_ptr 0
		.amdhsa_user_sgpr_kernarg_segment_ptr 1
		.amdhsa_user_sgpr_dispatch_id 0
		.amdhsa_user_sgpr_flat_scratch_init 0
		.amdhsa_user_sgpr_kernarg_preload_length 0
		.amdhsa_user_sgpr_kernarg_preload_offset 0
		.amdhsa_user_sgpr_private_segment_size 0
		.amdhsa_uses_dynamic_stack 0
		.amdhsa_system_sgpr_private_segment_wavefront_offset 0
		.amdhsa_system_sgpr_workgroup_id_x 1
		.amdhsa_system_sgpr_workgroup_id_y 0
		.amdhsa_system_sgpr_workgroup_id_z 0
		.amdhsa_system_sgpr_workgroup_info 0
		.amdhsa_system_vgpr_workitem_id 0
		.amdhsa_next_free_vgpr 14
		.amdhsa_next_free_sgpr 12
		.amdhsa_accum_offset 16
		.amdhsa_reserve_vcc 1
		.amdhsa_reserve_flat_scratch 0
		.amdhsa_float_round_mode_32 0
		.amdhsa_float_round_mode_16_64 0
		.amdhsa_float_denorm_mode_32 3
		.amdhsa_float_denorm_mode_16_64 3
		.amdhsa_dx10_clamp 1
		.amdhsa_ieee_mode 1
		.amdhsa_fp16_overflow 0
		.amdhsa_tg_split 0
		.amdhsa_exception_fp_ieee_invalid_op 0
		.amdhsa_exception_fp_denorm_src 0
		.amdhsa_exception_fp_ieee_div_zero 0
		.amdhsa_exception_fp_ieee_overflow 0
		.amdhsa_exception_fp_ieee_underflow 0
		.amdhsa_exception_fp_ieee_inexact 0
		.amdhsa_exception_int_div_zero 0
	.end_amdhsa_kernel
	.section	.text._ZN2at6native29vectorized_elementwise_kernelILi16ENS0_13AUnaryFunctorIN3c108BFloat16ES4_S4_ZNS0_20copysign_kernel_cudaERNS_18TensorIteratorBaseEEUlS4_S4_E_EESt5arrayIPcLm2EEEEviT0_T1_,"axG",@progbits,_ZN2at6native29vectorized_elementwise_kernelILi16ENS0_13AUnaryFunctorIN3c108BFloat16ES4_S4_ZNS0_20copysign_kernel_cudaERNS_18TensorIteratorBaseEEUlS4_S4_E_EESt5arrayIPcLm2EEEEviT0_T1_,comdat
.Lfunc_end24:
	.size	_ZN2at6native29vectorized_elementwise_kernelILi16ENS0_13AUnaryFunctorIN3c108BFloat16ES4_S4_ZNS0_20copysign_kernel_cudaERNS_18TensorIteratorBaseEEUlS4_S4_E_EESt5arrayIPcLm2EEEEviT0_T1_, .Lfunc_end24-_ZN2at6native29vectorized_elementwise_kernelILi16ENS0_13AUnaryFunctorIN3c108BFloat16ES4_S4_ZNS0_20copysign_kernel_cudaERNS_18TensorIteratorBaseEEUlS4_S4_E_EESt5arrayIPcLm2EEEEviT0_T1_
                                        ; -- End function
	.section	.AMDGPU.csdata,"",@progbits
; Kernel info:
; codeLenInByte = 1576
; NumSgprs: 16
; NumVgprs: 14
; NumAgprs: 0
; TotalNumVgprs: 14
; ScratchSize: 0
; MemoryBound: 0
; FloatMode: 240
; IeeeMode: 1
; LDSByteSize: 0 bytes/workgroup (compile time only)
; SGPRBlocks: 1
; VGPRBlocks: 1
; NumSGPRsForWavesPerEU: 16
; NumVGPRsForWavesPerEU: 14
; AccumOffset: 16
; Occupancy: 8
; WaveLimiterHint : 0
; COMPUTE_PGM_RSRC2:SCRATCH_EN: 0
; COMPUTE_PGM_RSRC2:USER_SGPR: 6
; COMPUTE_PGM_RSRC2:TRAP_HANDLER: 0
; COMPUTE_PGM_RSRC2:TGID_X_EN: 1
; COMPUTE_PGM_RSRC2:TGID_Y_EN: 0
; COMPUTE_PGM_RSRC2:TGID_Z_EN: 0
; COMPUTE_PGM_RSRC2:TIDIG_COMP_CNT: 0
; COMPUTE_PGM_RSRC3_GFX90A:ACCUM_OFFSET: 3
; COMPUTE_PGM_RSRC3_GFX90A:TG_SPLIT: 0
	.section	.text._ZN2at6native29vectorized_elementwise_kernelILi8ENS0_13AUnaryFunctorIN3c108BFloat16ES4_S4_ZNS0_20copysign_kernel_cudaERNS_18TensorIteratorBaseEEUlS4_S4_E_EESt5arrayIPcLm2EEEEviT0_T1_,"axG",@progbits,_ZN2at6native29vectorized_elementwise_kernelILi8ENS0_13AUnaryFunctorIN3c108BFloat16ES4_S4_ZNS0_20copysign_kernel_cudaERNS_18TensorIteratorBaseEEUlS4_S4_E_EESt5arrayIPcLm2EEEEviT0_T1_,comdat
	.globl	_ZN2at6native29vectorized_elementwise_kernelILi8ENS0_13AUnaryFunctorIN3c108BFloat16ES4_S4_ZNS0_20copysign_kernel_cudaERNS_18TensorIteratorBaseEEUlS4_S4_E_EESt5arrayIPcLm2EEEEviT0_T1_ ; -- Begin function _ZN2at6native29vectorized_elementwise_kernelILi8ENS0_13AUnaryFunctorIN3c108BFloat16ES4_S4_ZNS0_20copysign_kernel_cudaERNS_18TensorIteratorBaseEEUlS4_S4_E_EESt5arrayIPcLm2EEEEviT0_T1_
	.p2align	8
	.type	_ZN2at6native29vectorized_elementwise_kernelILi8ENS0_13AUnaryFunctorIN3c108BFloat16ES4_S4_ZNS0_20copysign_kernel_cudaERNS_18TensorIteratorBaseEEUlS4_S4_E_EESt5arrayIPcLm2EEEEviT0_T1_,@function
_ZN2at6native29vectorized_elementwise_kernelILi8ENS0_13AUnaryFunctorIN3c108BFloat16ES4_S4_ZNS0_20copysign_kernel_cudaERNS_18TensorIteratorBaseEEUlS4_S4_E_EESt5arrayIPcLm2EEEEviT0_T1_: ; @_ZN2at6native29vectorized_elementwise_kernelILi8ENS0_13AUnaryFunctorIN3c108BFloat16ES4_S4_ZNS0_20copysign_kernel_cudaERNS_18TensorIteratorBaseEEUlS4_S4_E_EESt5arrayIPcLm2EEEEviT0_T1_
; %bb.0:
	s_load_dwordx2 s[0:1], s[4:5], 0x0
	s_load_dwordx4 s[8:11], s[4:5], 0x8
	s_lshl_b32 s2, s6, 11
	s_waitcnt lgkmcnt(0)
	s_sub_i32 s6, s0, s2
	s_lshr_b32 s7, s1, 16
	s_cmpk_gt_i32 s6, 0x7ff
	s_mov_b64 s[0:1], -1
	s_cbranch_scc0 .LBB25_2
; %bb.1:
	s_ashr_i32 s3, s2, 31
	s_lshl_b64 s[0:1], s[2:3], 1
	s_add_u32 s4, s10, s0
	s_addc_u32 s5, s11, s1
	v_lshlrev_b32_e32 v1, 4, v0
	global_load_dwordx4 v[2:5], v1, s[4:5]
	v_mov_b32_e32 v6, 0x7fff
	s_movk_i32 s3, 0x8000
	v_and_b32_e32 v6, s7, v6
	s_mov_b32 s4, 0x5040100
	s_add_u32 s0, s8, s0
	s_addc_u32 s1, s9, s1
	s_waitcnt vmcnt(0)
	v_and_b32_sdwa v7, v3, s3 dst_sel:DWORD dst_unused:UNUSED_PAD src0_sel:WORD_1 src1_sel:DWORD
	v_and_b32_e32 v3, 0xffff8000, v3
	v_and_b32_sdwa v8, v2, s3 dst_sel:DWORD dst_unused:UNUSED_PAD src0_sel:WORD_1 src1_sel:DWORD
	v_and_b32_e32 v2, 0xffff8000, v2
	;; [unrolled: 2-line block ×4, first 2 shown]
	v_or_b32_e32 v2, v2, v6
	v_or_b32_e32 v8, v8, v6
	;; [unrolled: 1-line block ×8, first 2 shown]
	v_perm_b32 v5, v6, v5, s4
	v_perm_b32 v4, v10, v4, s4
	;; [unrolled: 1-line block ×4, first 2 shown]
	global_store_dwordx4 v1, v[2:5], s[0:1]
	s_mov_b64 s[0:1], 0
.LBB25_2:
	s_andn2_b64 vcc, exec, s[0:1]
	s_cbranch_vccnz .LBB25_28
; %bb.3:
	v_cmp_gt_i32_e32 vcc, s6, v0
	v_mov_b32_e32 v1, 0
	v_or_b32_e32 v2, s2, v0
	v_mov_b32_e32 v3, 0
	v_mov_b32_e32 v9, v0
	s_and_saveexec_b64 s[4:5], vcc
	s_cbranch_execz .LBB25_5
; %bb.4:
	v_mov_b32_e32 v3, 0
	v_lshlrev_b64 v[4:5], 1, v[2:3]
	v_mov_b32_e32 v3, s11
	v_add_co_u32_e64 v4, s[0:1], s10, v4
	v_addc_co_u32_e64 v5, s[0:1], v3, v5, s[0:1]
	global_load_ushort v3, v[4:5], off
	v_or_b32_e32 v9, 0x100, v0
	s_waitcnt vmcnt(0)
	v_and_b32_e32 v3, 0xffff8000, v3
.LBB25_5:
	s_or_b64 exec, exec, s[4:5]
	v_cmp_gt_i32_e64 s[0:1], s6, v9
	s_and_saveexec_b64 s[4:5], s[0:1]
	s_cbranch_execz .LBB25_7
; %bb.6:
	v_add_u32_e32 v4, s2, v9
	v_mov_b32_e32 v5, 0
	v_lshlrev_b64 v[4:5], 1, v[4:5]
	v_mov_b32_e32 v1, s11
	v_add_co_u32_e64 v4, s[0:1], s10, v4
	v_addc_co_u32_e64 v5, s[0:1], v1, v5, s[0:1]
	global_load_ushort v1, v[4:5], off
	v_add_u32_e32 v9, 0x100, v9
	s_waitcnt vmcnt(0)
	v_and_b32_e32 v1, 0xffff8000, v1
.LBB25_7:
	s_or_b64 exec, exec, s[4:5]
	v_cmp_gt_i32_e64 s[0:1], s6, v9
	v_mov_b32_e32 v4, 0
	v_mov_b32_e32 v7, 0
	s_and_saveexec_b64 s[4:5], s[0:1]
	s_cbranch_execz .LBB25_9
; %bb.8:
	v_add_u32_e32 v6, s2, v9
	v_mov_b32_e32 v7, 0
	v_lshlrev_b64 v[6:7], 1, v[6:7]
	v_mov_b32_e32 v5, s11
	v_add_co_u32_e64 v6, s[0:1], s10, v6
	v_addc_co_u32_e64 v7, s[0:1], v5, v7, s[0:1]
	global_load_ushort v5, v[6:7], off
	v_add_u32_e32 v9, 0x100, v9
	s_waitcnt vmcnt(0)
	v_and_b32_e32 v7, 0xffff8000, v5
.LBB25_9:
	s_or_b64 exec, exec, s[4:5]
	v_cmp_gt_i32_e64 s[0:1], s6, v9
	s_and_saveexec_b64 s[4:5], s[0:1]
	s_cbranch_execz .LBB25_11
; %bb.10:
	v_add_u32_e32 v4, s2, v9
	v_mov_b32_e32 v5, 0
	v_lshlrev_b64 v[4:5], 1, v[4:5]
	v_mov_b32_e32 v6, s11
	v_add_co_u32_e64 v4, s[0:1], s10, v4
	v_addc_co_u32_e64 v5, s[0:1], v6, v5, s[0:1]
	global_load_ushort v4, v[4:5], off
	v_add_u32_e32 v9, 0x100, v9
	s_waitcnt vmcnt(0)
	v_and_b32_e32 v4, 0xffff8000, v4
.LBB25_11:
	s_or_b64 exec, exec, s[4:5]
	v_cmp_gt_i32_e64 s[0:1], s6, v9
	v_mov_b32_e32 v5, 0
	v_mov_b32_e32 v8, 0
	s_and_saveexec_b64 s[4:5], s[0:1]
	s_cbranch_execz .LBB25_13
; %bb.12:
	v_add_u32_e32 v10, s2, v9
	v_mov_b32_e32 v11, 0
	v_lshlrev_b64 v[10:11], 1, v[10:11]
	v_mov_b32_e32 v6, s11
	v_add_co_u32_e64 v10, s[0:1], s10, v10
	v_addc_co_u32_e64 v11, s[0:1], v6, v11, s[0:1]
	global_load_ushort v6, v[10:11], off
	v_add_u32_e32 v9, 0x100, v9
	s_waitcnt vmcnt(0)
	v_and_b32_e32 v8, 0xffff8000, v6
.LBB25_13:
	;; [unrolled: 34-line block ×3, first 2 shown]
	s_or_b64 exec, exec, s[4:5]
	v_cmp_gt_i32_e64 s[0:1], s6, v9
	s_and_saveexec_b64 s[4:5], s[0:1]
	s_cbranch_execz .LBB25_19
; %bb.18:
	v_add_u32_e32 v12, s2, v9
	v_mov_b32_e32 v13, 0
	v_lshlrev_b64 v[12:13], 1, v[12:13]
	v_mov_b32_e32 v6, s11
	v_add_co_u32_e64 v12, s[0:1], s10, v12
	v_addc_co_u32_e64 v13, s[0:1], v6, v13, s[0:1]
	global_load_ushort v6, v[12:13], off
	s_waitcnt vmcnt(0)
	v_and_b32_e32 v6, 0xffff8000, v6
.LBB25_19:
	s_or_b64 exec, exec, s[4:5]
	v_mov_b32_e32 v9, 0x7fff
	v_and_b32_e32 v9, s7, v9
	s_and_saveexec_b64 s[0:1], vcc
	s_cbranch_execnz .LBB25_29
; %bb.20:
	s_or_b64 exec, exec, s[0:1]
	v_cmp_gt_i32_e32 vcc, s6, v0
	s_and_saveexec_b64 s[0:1], vcc
	s_cbranch_execnz .LBB25_30
.LBB25_21:
	s_or_b64 exec, exec, s[0:1]
	v_cmp_gt_i32_e32 vcc, s6, v0
	s_and_saveexec_b64 s[0:1], vcc
	s_cbranch_execnz .LBB25_31
.LBB25_22:
	s_or_b64 exec, exec, s[0:1]
	v_cmp_gt_i32_e32 vcc, s6, v0
	s_and_saveexec_b64 s[0:1], vcc
	s_cbranch_execnz .LBB25_32
.LBB25_23:
	s_or_b64 exec, exec, s[0:1]
	v_cmp_gt_i32_e32 vcc, s6, v0
	s_and_saveexec_b64 s[0:1], vcc
	s_cbranch_execnz .LBB25_33
.LBB25_24:
	s_or_b64 exec, exec, s[0:1]
	v_cmp_gt_i32_e32 vcc, s6, v0
	s_and_saveexec_b64 s[0:1], vcc
	s_cbranch_execnz .LBB25_34
.LBB25_25:
	s_or_b64 exec, exec, s[0:1]
	v_cmp_gt_i32_e32 vcc, s6, v0
	s_and_saveexec_b64 s[0:1], vcc
	s_cbranch_execnz .LBB25_35
.LBB25_26:
	s_or_b64 exec, exec, s[0:1]
	v_cmp_gt_i32_e32 vcc, s6, v0
	s_and_saveexec_b64 s[0:1], vcc
	s_cbranch_execz .LBB25_28
.LBB25_27:
	v_add_u32_e32 v0, s2, v0
	v_mov_b32_e32 v1, 0
	v_lshlrev_b64 v[0:1], 1, v[0:1]
	v_mov_b32_e32 v3, s9
	v_add_co_u32_e32 v0, vcc, s8, v0
	v_or_b32_e32 v2, v6, v9
	v_addc_co_u32_e32 v1, vcc, v3, v1, vcc
	global_store_short v[0:1], v2, off
.LBB25_28:
	s_endpgm
.LBB25_29:
	v_or_b32_e32 v11, v3, v9
	v_mov_b32_e32 v3, 0
	v_lshlrev_b64 v[2:3], 1, v[2:3]
	v_mov_b32_e32 v12, s9
	v_add_co_u32_e32 v2, vcc, s8, v2
	v_or_b32_e32 v0, 0x100, v0
	v_addc_co_u32_e32 v3, vcc, v12, v3, vcc
	global_store_short v[2:3], v11, off
	s_or_b64 exec, exec, s[0:1]
	v_cmp_gt_i32_e32 vcc, s6, v0
	s_and_saveexec_b64 s[0:1], vcc
	s_cbranch_execz .LBB25_21
.LBB25_30:
	v_add_u32_e32 v2, s2, v0
	v_mov_b32_e32 v3, 0
	v_lshlrev_b64 v[2:3], 1, v[2:3]
	v_mov_b32_e32 v11, s9
	v_add_co_u32_e32 v2, vcc, s8, v2
	v_or_b32_e32 v1, v1, v9
	v_addc_co_u32_e32 v3, vcc, v11, v3, vcc
	v_add_u32_e32 v0, 0x100, v0
	global_store_short v[2:3], v1, off
	s_or_b64 exec, exec, s[0:1]
	v_cmp_gt_i32_e32 vcc, s6, v0
	s_and_saveexec_b64 s[0:1], vcc
	s_cbranch_execz .LBB25_22
.LBB25_31:
	v_add_u32_e32 v2, s2, v0
	v_mov_b32_e32 v3, 0
	v_lshlrev_b64 v[2:3], 1, v[2:3]
	v_or_b32_e32 v1, v7, v9
	v_mov_b32_e32 v7, s9
	v_add_co_u32_e32 v2, vcc, s8, v2
	v_addc_co_u32_e32 v3, vcc, v7, v3, vcc
	v_add_u32_e32 v0, 0x100, v0
	global_store_short v[2:3], v1, off
	s_or_b64 exec, exec, s[0:1]
	v_cmp_gt_i32_e32 vcc, s6, v0
	s_and_saveexec_b64 s[0:1], vcc
	s_cbranch_execz .LBB25_23
.LBB25_32:
	v_add_u32_e32 v2, s2, v0
	v_mov_b32_e32 v3, 0
	v_lshlrev_b64 v[2:3], 1, v[2:3]
	v_or_b32_e32 v1, v4, v9
	v_mov_b32_e32 v4, s9
	v_add_co_u32_e32 v2, vcc, s8, v2
	v_addc_co_u32_e32 v3, vcc, v4, v3, vcc
	v_add_u32_e32 v0, 0x100, v0
	global_store_short v[2:3], v1, off
	s_or_b64 exec, exec, s[0:1]
	v_cmp_gt_i32_e32 vcc, s6, v0
	s_and_saveexec_b64 s[0:1], vcc
	s_cbranch_execz .LBB25_24
.LBB25_33:
	v_add_u32_e32 v2, s2, v0
	v_mov_b32_e32 v3, 0
	v_lshlrev_b64 v[2:3], 1, v[2:3]
	v_mov_b32_e32 v4, s9
	v_add_co_u32_e32 v2, vcc, s8, v2
	v_or_b32_e32 v1, v8, v9
	v_addc_co_u32_e32 v3, vcc, v4, v3, vcc
	v_add_u32_e32 v0, 0x100, v0
	global_store_short v[2:3], v1, off
	s_or_b64 exec, exec, s[0:1]
	v_cmp_gt_i32_e32 vcc, s6, v0
	s_and_saveexec_b64 s[0:1], vcc
	s_cbranch_execz .LBB25_25
.LBB25_34:
	v_add_u32_e32 v2, s2, v0
	v_mov_b32_e32 v3, 0
	v_lshlrev_b64 v[2:3], 1, v[2:3]
	v_mov_b32_e32 v4, s9
	v_add_co_u32_e32 v2, vcc, s8, v2
	v_or_b32_e32 v1, v5, v9
	v_addc_co_u32_e32 v3, vcc, v4, v3, vcc
	v_add_u32_e32 v0, 0x100, v0
	global_store_short v[2:3], v1, off
	s_or_b64 exec, exec, s[0:1]
	v_cmp_gt_i32_e32 vcc, s6, v0
	s_and_saveexec_b64 s[0:1], vcc
	s_cbranch_execz .LBB25_26
.LBB25_35:
	v_add_u32_e32 v2, s2, v0
	v_mov_b32_e32 v3, 0
	v_lshlrev_b64 v[2:3], 1, v[2:3]
	v_mov_b32_e32 v4, s9
	v_add_co_u32_e32 v2, vcc, s8, v2
	v_or_b32_e32 v1, v10, v9
	v_addc_co_u32_e32 v3, vcc, v4, v3, vcc
	v_add_u32_e32 v0, 0x100, v0
	global_store_short v[2:3], v1, off
	s_or_b64 exec, exec, s[0:1]
	v_cmp_gt_i32_e32 vcc, s6, v0
	s_and_saveexec_b64 s[0:1], vcc
	s_cbranch_execnz .LBB25_27
	s_branch .LBB25_28
	.section	.rodata,"a",@progbits
	.p2align	6, 0x0
	.amdhsa_kernel _ZN2at6native29vectorized_elementwise_kernelILi8ENS0_13AUnaryFunctorIN3c108BFloat16ES4_S4_ZNS0_20copysign_kernel_cudaERNS_18TensorIteratorBaseEEUlS4_S4_E_EESt5arrayIPcLm2EEEEviT0_T1_
		.amdhsa_group_segment_fixed_size 0
		.amdhsa_private_segment_fixed_size 0
		.amdhsa_kernarg_size 24
		.amdhsa_user_sgpr_count 6
		.amdhsa_user_sgpr_private_segment_buffer 1
		.amdhsa_user_sgpr_dispatch_ptr 0
		.amdhsa_user_sgpr_queue_ptr 0
		.amdhsa_user_sgpr_kernarg_segment_ptr 1
		.amdhsa_user_sgpr_dispatch_id 0
		.amdhsa_user_sgpr_flat_scratch_init 0
		.amdhsa_user_sgpr_kernarg_preload_length 0
		.amdhsa_user_sgpr_kernarg_preload_offset 0
		.amdhsa_user_sgpr_private_segment_size 0
		.amdhsa_uses_dynamic_stack 0
		.amdhsa_system_sgpr_private_segment_wavefront_offset 0
		.amdhsa_system_sgpr_workgroup_id_x 1
		.amdhsa_system_sgpr_workgroup_id_y 0
		.amdhsa_system_sgpr_workgroup_id_z 0
		.amdhsa_system_sgpr_workgroup_info 0
		.amdhsa_system_vgpr_workitem_id 0
		.amdhsa_next_free_vgpr 14
		.amdhsa_next_free_sgpr 12
		.amdhsa_accum_offset 16
		.amdhsa_reserve_vcc 1
		.amdhsa_reserve_flat_scratch 0
		.amdhsa_float_round_mode_32 0
		.amdhsa_float_round_mode_16_64 0
		.amdhsa_float_denorm_mode_32 3
		.amdhsa_float_denorm_mode_16_64 3
		.amdhsa_dx10_clamp 1
		.amdhsa_ieee_mode 1
		.amdhsa_fp16_overflow 0
		.amdhsa_tg_split 0
		.amdhsa_exception_fp_ieee_invalid_op 0
		.amdhsa_exception_fp_denorm_src 0
		.amdhsa_exception_fp_ieee_div_zero 0
		.amdhsa_exception_fp_ieee_overflow 0
		.amdhsa_exception_fp_ieee_underflow 0
		.amdhsa_exception_fp_ieee_inexact 0
		.amdhsa_exception_int_div_zero 0
	.end_amdhsa_kernel
	.section	.text._ZN2at6native29vectorized_elementwise_kernelILi8ENS0_13AUnaryFunctorIN3c108BFloat16ES4_S4_ZNS0_20copysign_kernel_cudaERNS_18TensorIteratorBaseEEUlS4_S4_E_EESt5arrayIPcLm2EEEEviT0_T1_,"axG",@progbits,_ZN2at6native29vectorized_elementwise_kernelILi8ENS0_13AUnaryFunctorIN3c108BFloat16ES4_S4_ZNS0_20copysign_kernel_cudaERNS_18TensorIteratorBaseEEUlS4_S4_E_EESt5arrayIPcLm2EEEEviT0_T1_,comdat
.Lfunc_end25:
	.size	_ZN2at6native29vectorized_elementwise_kernelILi8ENS0_13AUnaryFunctorIN3c108BFloat16ES4_S4_ZNS0_20copysign_kernel_cudaERNS_18TensorIteratorBaseEEUlS4_S4_E_EESt5arrayIPcLm2EEEEviT0_T1_, .Lfunc_end25-_ZN2at6native29vectorized_elementwise_kernelILi8ENS0_13AUnaryFunctorIN3c108BFloat16ES4_S4_ZNS0_20copysign_kernel_cudaERNS_18TensorIteratorBaseEEUlS4_S4_E_EESt5arrayIPcLm2EEEEviT0_T1_
                                        ; -- End function
	.section	.AMDGPU.csdata,"",@progbits
; Kernel info:
; codeLenInByte = 1576
; NumSgprs: 16
; NumVgprs: 14
; NumAgprs: 0
; TotalNumVgprs: 14
; ScratchSize: 0
; MemoryBound: 0
; FloatMode: 240
; IeeeMode: 1
; LDSByteSize: 0 bytes/workgroup (compile time only)
; SGPRBlocks: 1
; VGPRBlocks: 1
; NumSGPRsForWavesPerEU: 16
; NumVGPRsForWavesPerEU: 14
; AccumOffset: 16
; Occupancy: 8
; WaveLimiterHint : 0
; COMPUTE_PGM_RSRC2:SCRATCH_EN: 0
; COMPUTE_PGM_RSRC2:USER_SGPR: 6
; COMPUTE_PGM_RSRC2:TRAP_HANDLER: 0
; COMPUTE_PGM_RSRC2:TGID_X_EN: 1
; COMPUTE_PGM_RSRC2:TGID_Y_EN: 0
; COMPUTE_PGM_RSRC2:TGID_Z_EN: 0
; COMPUTE_PGM_RSRC2:TIDIG_COMP_CNT: 0
; COMPUTE_PGM_RSRC3_GFX90A:ACCUM_OFFSET: 3
; COMPUTE_PGM_RSRC3_GFX90A:TG_SPLIT: 0
	.section	.text._ZN2at6native29vectorized_elementwise_kernelILi4ENS0_13AUnaryFunctorIN3c108BFloat16ES4_S4_ZNS0_20copysign_kernel_cudaERNS_18TensorIteratorBaseEEUlS4_S4_E_EESt5arrayIPcLm2EEEEviT0_T1_,"axG",@progbits,_ZN2at6native29vectorized_elementwise_kernelILi4ENS0_13AUnaryFunctorIN3c108BFloat16ES4_S4_ZNS0_20copysign_kernel_cudaERNS_18TensorIteratorBaseEEUlS4_S4_E_EESt5arrayIPcLm2EEEEviT0_T1_,comdat
	.globl	_ZN2at6native29vectorized_elementwise_kernelILi4ENS0_13AUnaryFunctorIN3c108BFloat16ES4_S4_ZNS0_20copysign_kernel_cudaERNS_18TensorIteratorBaseEEUlS4_S4_E_EESt5arrayIPcLm2EEEEviT0_T1_ ; -- Begin function _ZN2at6native29vectorized_elementwise_kernelILi4ENS0_13AUnaryFunctorIN3c108BFloat16ES4_S4_ZNS0_20copysign_kernel_cudaERNS_18TensorIteratorBaseEEUlS4_S4_E_EESt5arrayIPcLm2EEEEviT0_T1_
	.p2align	8
	.type	_ZN2at6native29vectorized_elementwise_kernelILi4ENS0_13AUnaryFunctorIN3c108BFloat16ES4_S4_ZNS0_20copysign_kernel_cudaERNS_18TensorIteratorBaseEEUlS4_S4_E_EESt5arrayIPcLm2EEEEviT0_T1_,@function
_ZN2at6native29vectorized_elementwise_kernelILi4ENS0_13AUnaryFunctorIN3c108BFloat16ES4_S4_ZNS0_20copysign_kernel_cudaERNS_18TensorIteratorBaseEEUlS4_S4_E_EESt5arrayIPcLm2EEEEviT0_T1_: ; @_ZN2at6native29vectorized_elementwise_kernelILi4ENS0_13AUnaryFunctorIN3c108BFloat16ES4_S4_ZNS0_20copysign_kernel_cudaERNS_18TensorIteratorBaseEEUlS4_S4_E_EESt5arrayIPcLm2EEEEviT0_T1_
; %bb.0:
	s_load_dwordx2 s[0:1], s[4:5], 0x0
	s_load_dwordx4 s[8:11], s[4:5], 0x8
	s_lshl_b32 s2, s6, 11
	s_waitcnt lgkmcnt(0)
	s_sub_i32 s6, s0, s2
	s_lshr_b32 s7, s1, 16
	s_cmpk_gt_i32 s6, 0x7ff
	s_mov_b64 s[0:1], -1
	s_cbranch_scc0 .LBB26_2
; %bb.1:
	s_ashr_i32 s3, s2, 31
	s_lshl_b64 s[0:1], s[2:3], 1
	s_add_u32 s4, s10, s0
	s_addc_u32 s5, s11, s1
	v_lshlrev_b32_e32 v1, 3, v0
	global_load_dwordx2 v[2:3], v1, s[4:5]
	global_load_dwordx2 v[4:5], v1, s[4:5] offset:2048
	v_mov_b32_e32 v6, 0x7fff
	s_movk_i32 s3, 0x8000
	v_and_b32_e32 v6, s7, v6
	s_add_u32 s0, s8, s0
	s_addc_u32 s1, s9, s1
	s_waitcnt vmcnt(1)
	v_and_b32_e32 v7, 0xffff8000, v2
	v_and_b32_sdwa v2, v2, s3 dst_sel:DWORD dst_unused:UNUSED_PAD src0_sel:WORD_1 src1_sel:DWORD
	v_and_b32_e32 v8, 0xffff8000, v3
	s_waitcnt vmcnt(0)
	v_and_b32_e32 v9, 0xffff8000, v4
	v_or_b32_e32 v7, v7, v6
	v_and_b32_sdwa v3, v3, s3 dst_sel:DWORD dst_unused:UNUSED_PAD src0_sel:WORD_1 src1_sel:DWORD
	v_and_b32_sdwa v4, v4, s3 dst_sel:DWORD dst_unused:UNUSED_PAD src0_sel:WORD_1 src1_sel:DWORD
	v_and_b32_e32 v10, 0xffff8000, v5
	v_and_b32_sdwa v5, v5, s3 dst_sel:DWORD dst_unused:UNUSED_PAD src0_sel:WORD_1 src1_sel:DWORD
	v_or_b32_sdwa v2, v2, v6 dst_sel:WORD_1 dst_unused:UNUSED_PAD src0_sel:DWORD src1_sel:DWORD
	v_or_b32_e32 v8, v8, v6
	v_or_b32_e32 v9, v9, v6
	v_and_b32_e32 v7, 0xffff, v7
	v_or_b32_sdwa v3, v3, v6 dst_sel:WORD_1 dst_unused:UNUSED_PAD src0_sel:DWORD src1_sel:DWORD
	v_or_b32_sdwa v4, v4, v6 dst_sel:WORD_1 dst_unused:UNUSED_PAD src0_sel:DWORD src1_sel:DWORD
	v_or_b32_e32 v10, v10, v6
	v_or_b32_sdwa v5, v5, v6 dst_sel:WORD_1 dst_unused:UNUSED_PAD src0_sel:DWORD src1_sel:DWORD
	v_and_b32_e32 v6, 0xffff, v8
	v_and_b32_e32 v9, 0xffff, v9
	v_or_b32_e32 v2, v2, v7
	v_and_b32_e32 v8, 0xffff, v10
	v_or3_b32 v3, 0, v6, v3
	v_or_b32_e32 v4, v4, v9
	v_or3_b32 v2, v2, 0, 0
	v_or3_b32 v5, 0, v8, v5
	;; [unrolled: 1-line block ×3, first 2 shown]
	global_store_dwordx2 v1, v[2:3], s[0:1]
	global_store_dwordx2 v1, v[4:5], s[0:1] offset:2048
	s_mov_b64 s[0:1], 0
.LBB26_2:
	s_andn2_b64 vcc, exec, s[0:1]
	s_cbranch_vccnz .LBB26_28
; %bb.3:
	v_cmp_gt_i32_e32 vcc, s6, v0
	v_mov_b32_e32 v1, 0
	v_or_b32_e32 v2, s2, v0
	v_mov_b32_e32 v3, 0
	v_mov_b32_e32 v9, v0
	s_and_saveexec_b64 s[4:5], vcc
	s_cbranch_execz .LBB26_5
; %bb.4:
	v_mov_b32_e32 v3, 0
	v_lshlrev_b64 v[4:5], 1, v[2:3]
	v_mov_b32_e32 v3, s11
	v_add_co_u32_e64 v4, s[0:1], s10, v4
	v_addc_co_u32_e64 v5, s[0:1], v3, v5, s[0:1]
	global_load_ushort v3, v[4:5], off
	v_or_b32_e32 v9, 0x100, v0
	s_waitcnt vmcnt(0)
	v_and_b32_e32 v3, 0xffff8000, v3
.LBB26_5:
	s_or_b64 exec, exec, s[4:5]
	v_cmp_gt_i32_e64 s[0:1], s6, v9
	s_and_saveexec_b64 s[4:5], s[0:1]
	s_cbranch_execz .LBB26_7
; %bb.6:
	v_add_u32_e32 v4, s2, v9
	v_mov_b32_e32 v5, 0
	v_lshlrev_b64 v[4:5], 1, v[4:5]
	v_mov_b32_e32 v1, s11
	v_add_co_u32_e64 v4, s[0:1], s10, v4
	v_addc_co_u32_e64 v5, s[0:1], v1, v5, s[0:1]
	global_load_ushort v1, v[4:5], off
	v_add_u32_e32 v9, 0x100, v9
	s_waitcnt vmcnt(0)
	v_and_b32_e32 v1, 0xffff8000, v1
.LBB26_7:
	s_or_b64 exec, exec, s[4:5]
	v_cmp_gt_i32_e64 s[0:1], s6, v9
	v_mov_b32_e32 v4, 0
	v_mov_b32_e32 v7, 0
	s_and_saveexec_b64 s[4:5], s[0:1]
	s_cbranch_execz .LBB26_9
; %bb.8:
	v_add_u32_e32 v6, s2, v9
	v_mov_b32_e32 v7, 0
	v_lshlrev_b64 v[6:7], 1, v[6:7]
	v_mov_b32_e32 v5, s11
	v_add_co_u32_e64 v6, s[0:1], s10, v6
	v_addc_co_u32_e64 v7, s[0:1], v5, v7, s[0:1]
	global_load_ushort v5, v[6:7], off
	v_add_u32_e32 v9, 0x100, v9
	s_waitcnt vmcnt(0)
	v_and_b32_e32 v7, 0xffff8000, v5
.LBB26_9:
	s_or_b64 exec, exec, s[4:5]
	v_cmp_gt_i32_e64 s[0:1], s6, v9
	s_and_saveexec_b64 s[4:5], s[0:1]
	s_cbranch_execz .LBB26_11
; %bb.10:
	v_add_u32_e32 v4, s2, v9
	v_mov_b32_e32 v5, 0
	v_lshlrev_b64 v[4:5], 1, v[4:5]
	v_mov_b32_e32 v6, s11
	v_add_co_u32_e64 v4, s[0:1], s10, v4
	v_addc_co_u32_e64 v5, s[0:1], v6, v5, s[0:1]
	global_load_ushort v4, v[4:5], off
	v_add_u32_e32 v9, 0x100, v9
	s_waitcnt vmcnt(0)
	v_and_b32_e32 v4, 0xffff8000, v4
.LBB26_11:
	s_or_b64 exec, exec, s[4:5]
	v_cmp_gt_i32_e64 s[0:1], s6, v9
	v_mov_b32_e32 v5, 0
	v_mov_b32_e32 v8, 0
	s_and_saveexec_b64 s[4:5], s[0:1]
	s_cbranch_execz .LBB26_13
; %bb.12:
	v_add_u32_e32 v10, s2, v9
	v_mov_b32_e32 v11, 0
	v_lshlrev_b64 v[10:11], 1, v[10:11]
	v_mov_b32_e32 v6, s11
	v_add_co_u32_e64 v10, s[0:1], s10, v10
	v_addc_co_u32_e64 v11, s[0:1], v6, v11, s[0:1]
	global_load_ushort v6, v[10:11], off
	v_add_u32_e32 v9, 0x100, v9
	s_waitcnt vmcnt(0)
	v_and_b32_e32 v8, 0xffff8000, v6
.LBB26_13:
	;; [unrolled: 34-line block ×3, first 2 shown]
	s_or_b64 exec, exec, s[4:5]
	v_cmp_gt_i32_e64 s[0:1], s6, v9
	s_and_saveexec_b64 s[4:5], s[0:1]
	s_cbranch_execz .LBB26_19
; %bb.18:
	v_add_u32_e32 v12, s2, v9
	v_mov_b32_e32 v13, 0
	v_lshlrev_b64 v[12:13], 1, v[12:13]
	v_mov_b32_e32 v6, s11
	v_add_co_u32_e64 v12, s[0:1], s10, v12
	v_addc_co_u32_e64 v13, s[0:1], v6, v13, s[0:1]
	global_load_ushort v6, v[12:13], off
	s_waitcnt vmcnt(0)
	v_and_b32_e32 v6, 0xffff8000, v6
.LBB26_19:
	s_or_b64 exec, exec, s[4:5]
	v_mov_b32_e32 v9, 0x7fff
	v_and_b32_e32 v9, s7, v9
	s_and_saveexec_b64 s[0:1], vcc
	s_cbranch_execnz .LBB26_29
; %bb.20:
	s_or_b64 exec, exec, s[0:1]
	v_cmp_gt_i32_e32 vcc, s6, v0
	s_and_saveexec_b64 s[0:1], vcc
	s_cbranch_execnz .LBB26_30
.LBB26_21:
	s_or_b64 exec, exec, s[0:1]
	v_cmp_gt_i32_e32 vcc, s6, v0
	s_and_saveexec_b64 s[0:1], vcc
	s_cbranch_execnz .LBB26_31
.LBB26_22:
	s_or_b64 exec, exec, s[0:1]
	v_cmp_gt_i32_e32 vcc, s6, v0
	s_and_saveexec_b64 s[0:1], vcc
	s_cbranch_execnz .LBB26_32
.LBB26_23:
	s_or_b64 exec, exec, s[0:1]
	v_cmp_gt_i32_e32 vcc, s6, v0
	s_and_saveexec_b64 s[0:1], vcc
	s_cbranch_execnz .LBB26_33
.LBB26_24:
	s_or_b64 exec, exec, s[0:1]
	v_cmp_gt_i32_e32 vcc, s6, v0
	s_and_saveexec_b64 s[0:1], vcc
	s_cbranch_execnz .LBB26_34
.LBB26_25:
	s_or_b64 exec, exec, s[0:1]
	v_cmp_gt_i32_e32 vcc, s6, v0
	s_and_saveexec_b64 s[0:1], vcc
	s_cbranch_execnz .LBB26_35
.LBB26_26:
	s_or_b64 exec, exec, s[0:1]
	v_cmp_gt_i32_e32 vcc, s6, v0
	s_and_saveexec_b64 s[0:1], vcc
	s_cbranch_execz .LBB26_28
.LBB26_27:
	v_add_u32_e32 v0, s2, v0
	v_mov_b32_e32 v1, 0
	v_lshlrev_b64 v[0:1], 1, v[0:1]
	v_mov_b32_e32 v3, s9
	v_add_co_u32_e32 v0, vcc, s8, v0
	v_or_b32_e32 v2, v6, v9
	v_addc_co_u32_e32 v1, vcc, v3, v1, vcc
	global_store_short v[0:1], v2, off
.LBB26_28:
	s_endpgm
.LBB26_29:
	v_or_b32_e32 v11, v3, v9
	v_mov_b32_e32 v3, 0
	v_lshlrev_b64 v[2:3], 1, v[2:3]
	v_mov_b32_e32 v12, s9
	v_add_co_u32_e32 v2, vcc, s8, v2
	v_or_b32_e32 v0, 0x100, v0
	v_addc_co_u32_e32 v3, vcc, v12, v3, vcc
	global_store_short v[2:3], v11, off
	s_or_b64 exec, exec, s[0:1]
	v_cmp_gt_i32_e32 vcc, s6, v0
	s_and_saveexec_b64 s[0:1], vcc
	s_cbranch_execz .LBB26_21
.LBB26_30:
	v_add_u32_e32 v2, s2, v0
	v_mov_b32_e32 v3, 0
	v_lshlrev_b64 v[2:3], 1, v[2:3]
	v_mov_b32_e32 v11, s9
	v_add_co_u32_e32 v2, vcc, s8, v2
	v_or_b32_e32 v1, v1, v9
	v_addc_co_u32_e32 v3, vcc, v11, v3, vcc
	v_add_u32_e32 v0, 0x100, v0
	global_store_short v[2:3], v1, off
	s_or_b64 exec, exec, s[0:1]
	v_cmp_gt_i32_e32 vcc, s6, v0
	s_and_saveexec_b64 s[0:1], vcc
	s_cbranch_execz .LBB26_22
.LBB26_31:
	v_add_u32_e32 v2, s2, v0
	v_mov_b32_e32 v3, 0
	v_lshlrev_b64 v[2:3], 1, v[2:3]
	v_or_b32_e32 v1, v7, v9
	v_mov_b32_e32 v7, s9
	v_add_co_u32_e32 v2, vcc, s8, v2
	v_addc_co_u32_e32 v3, vcc, v7, v3, vcc
	v_add_u32_e32 v0, 0x100, v0
	global_store_short v[2:3], v1, off
	s_or_b64 exec, exec, s[0:1]
	v_cmp_gt_i32_e32 vcc, s6, v0
	s_and_saveexec_b64 s[0:1], vcc
	s_cbranch_execz .LBB26_23
.LBB26_32:
	v_add_u32_e32 v2, s2, v0
	v_mov_b32_e32 v3, 0
	v_lshlrev_b64 v[2:3], 1, v[2:3]
	v_or_b32_e32 v1, v4, v9
	v_mov_b32_e32 v4, s9
	v_add_co_u32_e32 v2, vcc, s8, v2
	v_addc_co_u32_e32 v3, vcc, v4, v3, vcc
	v_add_u32_e32 v0, 0x100, v0
	global_store_short v[2:3], v1, off
	s_or_b64 exec, exec, s[0:1]
	v_cmp_gt_i32_e32 vcc, s6, v0
	s_and_saveexec_b64 s[0:1], vcc
	s_cbranch_execz .LBB26_24
.LBB26_33:
	v_add_u32_e32 v2, s2, v0
	v_mov_b32_e32 v3, 0
	v_lshlrev_b64 v[2:3], 1, v[2:3]
	v_mov_b32_e32 v4, s9
	v_add_co_u32_e32 v2, vcc, s8, v2
	v_or_b32_e32 v1, v8, v9
	v_addc_co_u32_e32 v3, vcc, v4, v3, vcc
	v_add_u32_e32 v0, 0x100, v0
	global_store_short v[2:3], v1, off
	s_or_b64 exec, exec, s[0:1]
	v_cmp_gt_i32_e32 vcc, s6, v0
	s_and_saveexec_b64 s[0:1], vcc
	s_cbranch_execz .LBB26_25
.LBB26_34:
	v_add_u32_e32 v2, s2, v0
	v_mov_b32_e32 v3, 0
	v_lshlrev_b64 v[2:3], 1, v[2:3]
	v_mov_b32_e32 v4, s9
	v_add_co_u32_e32 v2, vcc, s8, v2
	v_or_b32_e32 v1, v5, v9
	v_addc_co_u32_e32 v3, vcc, v4, v3, vcc
	v_add_u32_e32 v0, 0x100, v0
	global_store_short v[2:3], v1, off
	s_or_b64 exec, exec, s[0:1]
	v_cmp_gt_i32_e32 vcc, s6, v0
	s_and_saveexec_b64 s[0:1], vcc
	s_cbranch_execz .LBB26_26
.LBB26_35:
	v_add_u32_e32 v2, s2, v0
	v_mov_b32_e32 v3, 0
	v_lshlrev_b64 v[2:3], 1, v[2:3]
	v_mov_b32_e32 v4, s9
	v_add_co_u32_e32 v2, vcc, s8, v2
	v_or_b32_e32 v1, v10, v9
	v_addc_co_u32_e32 v3, vcc, v4, v3, vcc
	v_add_u32_e32 v0, 0x100, v0
	global_store_short v[2:3], v1, off
	s_or_b64 exec, exec, s[0:1]
	v_cmp_gt_i32_e32 vcc, s6, v0
	s_and_saveexec_b64 s[0:1], vcc
	s_cbranch_execnz .LBB26_27
	s_branch .LBB26_28
	.section	.rodata,"a",@progbits
	.p2align	6, 0x0
	.amdhsa_kernel _ZN2at6native29vectorized_elementwise_kernelILi4ENS0_13AUnaryFunctorIN3c108BFloat16ES4_S4_ZNS0_20copysign_kernel_cudaERNS_18TensorIteratorBaseEEUlS4_S4_E_EESt5arrayIPcLm2EEEEviT0_T1_
		.amdhsa_group_segment_fixed_size 0
		.amdhsa_private_segment_fixed_size 0
		.amdhsa_kernarg_size 24
		.amdhsa_user_sgpr_count 6
		.amdhsa_user_sgpr_private_segment_buffer 1
		.amdhsa_user_sgpr_dispatch_ptr 0
		.amdhsa_user_sgpr_queue_ptr 0
		.amdhsa_user_sgpr_kernarg_segment_ptr 1
		.amdhsa_user_sgpr_dispatch_id 0
		.amdhsa_user_sgpr_flat_scratch_init 0
		.amdhsa_user_sgpr_kernarg_preload_length 0
		.amdhsa_user_sgpr_kernarg_preload_offset 0
		.amdhsa_user_sgpr_private_segment_size 0
		.amdhsa_uses_dynamic_stack 0
		.amdhsa_system_sgpr_private_segment_wavefront_offset 0
		.amdhsa_system_sgpr_workgroup_id_x 1
		.amdhsa_system_sgpr_workgroup_id_y 0
		.amdhsa_system_sgpr_workgroup_id_z 0
		.amdhsa_system_sgpr_workgroup_info 0
		.amdhsa_system_vgpr_workitem_id 0
		.amdhsa_next_free_vgpr 14
		.amdhsa_next_free_sgpr 12
		.amdhsa_accum_offset 16
		.amdhsa_reserve_vcc 1
		.amdhsa_reserve_flat_scratch 0
		.amdhsa_float_round_mode_32 0
		.amdhsa_float_round_mode_16_64 0
		.amdhsa_float_denorm_mode_32 3
		.amdhsa_float_denorm_mode_16_64 3
		.amdhsa_dx10_clamp 1
		.amdhsa_ieee_mode 1
		.amdhsa_fp16_overflow 0
		.amdhsa_tg_split 0
		.amdhsa_exception_fp_ieee_invalid_op 0
		.amdhsa_exception_fp_denorm_src 0
		.amdhsa_exception_fp_ieee_div_zero 0
		.amdhsa_exception_fp_ieee_overflow 0
		.amdhsa_exception_fp_ieee_underflow 0
		.amdhsa_exception_fp_ieee_inexact 0
		.amdhsa_exception_int_div_zero 0
	.end_amdhsa_kernel
	.section	.text._ZN2at6native29vectorized_elementwise_kernelILi4ENS0_13AUnaryFunctorIN3c108BFloat16ES4_S4_ZNS0_20copysign_kernel_cudaERNS_18TensorIteratorBaseEEUlS4_S4_E_EESt5arrayIPcLm2EEEEviT0_T1_,"axG",@progbits,_ZN2at6native29vectorized_elementwise_kernelILi4ENS0_13AUnaryFunctorIN3c108BFloat16ES4_S4_ZNS0_20copysign_kernel_cudaERNS_18TensorIteratorBaseEEUlS4_S4_E_EESt5arrayIPcLm2EEEEviT0_T1_,comdat
.Lfunc_end26:
	.size	_ZN2at6native29vectorized_elementwise_kernelILi4ENS0_13AUnaryFunctorIN3c108BFloat16ES4_S4_ZNS0_20copysign_kernel_cudaERNS_18TensorIteratorBaseEEUlS4_S4_E_EESt5arrayIPcLm2EEEEviT0_T1_, .Lfunc_end26-_ZN2at6native29vectorized_elementwise_kernelILi4ENS0_13AUnaryFunctorIN3c108BFloat16ES4_S4_ZNS0_20copysign_kernel_cudaERNS_18TensorIteratorBaseEEUlS4_S4_E_EESt5arrayIPcLm2EEEEviT0_T1_
                                        ; -- End function
	.section	.AMDGPU.csdata,"",@progbits
; Kernel info:
; codeLenInByte = 1644
; NumSgprs: 16
; NumVgprs: 14
; NumAgprs: 0
; TotalNumVgprs: 14
; ScratchSize: 0
; MemoryBound: 0
; FloatMode: 240
; IeeeMode: 1
; LDSByteSize: 0 bytes/workgroup (compile time only)
; SGPRBlocks: 1
; VGPRBlocks: 1
; NumSGPRsForWavesPerEU: 16
; NumVGPRsForWavesPerEU: 14
; AccumOffset: 16
; Occupancy: 8
; WaveLimiterHint : 1
; COMPUTE_PGM_RSRC2:SCRATCH_EN: 0
; COMPUTE_PGM_RSRC2:USER_SGPR: 6
; COMPUTE_PGM_RSRC2:TRAP_HANDLER: 0
; COMPUTE_PGM_RSRC2:TGID_X_EN: 1
; COMPUTE_PGM_RSRC2:TGID_Y_EN: 0
; COMPUTE_PGM_RSRC2:TGID_Z_EN: 0
; COMPUTE_PGM_RSRC2:TIDIG_COMP_CNT: 0
; COMPUTE_PGM_RSRC3_GFX90A:ACCUM_OFFSET: 3
; COMPUTE_PGM_RSRC3_GFX90A:TG_SPLIT: 0
	.section	.text._ZN2at6native29vectorized_elementwise_kernelILi2ENS0_13AUnaryFunctorIN3c108BFloat16ES4_S4_ZNS0_20copysign_kernel_cudaERNS_18TensorIteratorBaseEEUlS4_S4_E_EESt5arrayIPcLm2EEEEviT0_T1_,"axG",@progbits,_ZN2at6native29vectorized_elementwise_kernelILi2ENS0_13AUnaryFunctorIN3c108BFloat16ES4_S4_ZNS0_20copysign_kernel_cudaERNS_18TensorIteratorBaseEEUlS4_S4_E_EESt5arrayIPcLm2EEEEviT0_T1_,comdat
	.globl	_ZN2at6native29vectorized_elementwise_kernelILi2ENS0_13AUnaryFunctorIN3c108BFloat16ES4_S4_ZNS0_20copysign_kernel_cudaERNS_18TensorIteratorBaseEEUlS4_S4_E_EESt5arrayIPcLm2EEEEviT0_T1_ ; -- Begin function _ZN2at6native29vectorized_elementwise_kernelILi2ENS0_13AUnaryFunctorIN3c108BFloat16ES4_S4_ZNS0_20copysign_kernel_cudaERNS_18TensorIteratorBaseEEUlS4_S4_E_EESt5arrayIPcLm2EEEEviT0_T1_
	.p2align	8
	.type	_ZN2at6native29vectorized_elementwise_kernelILi2ENS0_13AUnaryFunctorIN3c108BFloat16ES4_S4_ZNS0_20copysign_kernel_cudaERNS_18TensorIteratorBaseEEUlS4_S4_E_EESt5arrayIPcLm2EEEEviT0_T1_,@function
_ZN2at6native29vectorized_elementwise_kernelILi2ENS0_13AUnaryFunctorIN3c108BFloat16ES4_S4_ZNS0_20copysign_kernel_cudaERNS_18TensorIteratorBaseEEUlS4_S4_E_EESt5arrayIPcLm2EEEEviT0_T1_: ; @_ZN2at6native29vectorized_elementwise_kernelILi2ENS0_13AUnaryFunctorIN3c108BFloat16ES4_S4_ZNS0_20copysign_kernel_cudaERNS_18TensorIteratorBaseEEUlS4_S4_E_EESt5arrayIPcLm2EEEEviT0_T1_
; %bb.0:
	s_load_dwordx2 s[0:1], s[4:5], 0x0
	s_load_dwordx4 s[8:11], s[4:5], 0x8
	s_lshl_b32 s2, s6, 11
	s_waitcnt lgkmcnt(0)
	s_sub_i32 s6, s0, s2
	s_lshr_b32 s7, s1, 16
	s_cmpk_gt_i32 s6, 0x7ff
	s_mov_b64 s[0:1], -1
	s_cbranch_scc0 .LBB27_2
; %bb.1:
	s_ashr_i32 s3, s2, 31
	s_lshl_b64 s[0:1], s[2:3], 1
	s_add_u32 s4, s10, s0
	s_addc_u32 s5, s11, s1
	v_lshlrev_b32_e32 v1, 2, v0
	global_load_dword v2, v1, s[4:5]
	global_load_dword v3, v1, s[4:5] offset:1024
	global_load_dword v4, v1, s[4:5] offset:2048
	;; [unrolled: 1-line block ×3, first 2 shown]
	v_mov_b32_e32 v6, 0x7fff
	s_movk_i32 s3, 0x8000
	v_and_b32_e32 v6, s7, v6
	s_add_u32 s0, s8, s0
	s_addc_u32 s1, s9, s1
	s_waitcnt vmcnt(3)
	v_and_b32_e32 v7, 0xffff8000, v2
	v_and_b32_sdwa v2, v2, s3 dst_sel:DWORD dst_unused:UNUSED_PAD src0_sel:WORD_1 src1_sel:DWORD
	s_waitcnt vmcnt(2)
	v_and_b32_e32 v8, 0xffff8000, v3
	v_and_b32_sdwa v3, v3, s3 dst_sel:DWORD dst_unused:UNUSED_PAD src0_sel:WORD_1 src1_sel:DWORD
	s_waitcnt vmcnt(1)
	v_and_b32_e32 v9, 0xffff8000, v4
	v_and_b32_sdwa v4, v4, s3 dst_sel:DWORD dst_unused:UNUSED_PAD src0_sel:WORD_1 src1_sel:DWORD
	s_waitcnt vmcnt(0)
	v_and_b32_e32 v10, 0xffff8000, v5
	v_and_b32_sdwa v5, v5, s3 dst_sel:DWORD dst_unused:UNUSED_PAD src0_sel:WORD_1 src1_sel:DWORD
	v_or_b32_e32 v7, v7, v6
	v_or_b32_sdwa v2, v2, v6 dst_sel:WORD_1 dst_unused:UNUSED_PAD src0_sel:DWORD src1_sel:DWORD
	v_or_b32_e32 v8, v8, v6
	v_or_b32_sdwa v3, v3, v6 dst_sel:WORD_1 dst_unused:UNUSED_PAD src0_sel:DWORD src1_sel:DWORD
	;; [unrolled: 2-line block ×4, first 2 shown]
	v_or_b32_sdwa v2, v2, v7 dst_sel:DWORD dst_unused:UNUSED_PAD src0_sel:DWORD src1_sel:WORD_0
	v_or_b32_sdwa v3, v3, v8 dst_sel:DWORD dst_unused:UNUSED_PAD src0_sel:DWORD src1_sel:WORD_0
	;; [unrolled: 1-line block ×4, first 2 shown]
	global_store_dword v1, v2, s[0:1]
	global_store_dword v1, v3, s[0:1] offset:1024
	global_store_dword v1, v4, s[0:1] offset:2048
	global_store_dword v1, v5, s[0:1] offset:3072
	s_mov_b64 s[0:1], 0
.LBB27_2:
	s_andn2_b64 vcc, exec, s[0:1]
	s_cbranch_vccnz .LBB27_28
; %bb.3:
	v_cmp_gt_i32_e32 vcc, s6, v0
	v_mov_b32_e32 v1, 0
	v_or_b32_e32 v2, s2, v0
	v_mov_b32_e32 v3, 0
	v_mov_b32_e32 v9, v0
	s_and_saveexec_b64 s[4:5], vcc
	s_cbranch_execz .LBB27_5
; %bb.4:
	v_mov_b32_e32 v3, 0
	v_lshlrev_b64 v[4:5], 1, v[2:3]
	v_mov_b32_e32 v3, s11
	v_add_co_u32_e64 v4, s[0:1], s10, v4
	v_addc_co_u32_e64 v5, s[0:1], v3, v5, s[0:1]
	global_load_ushort v3, v[4:5], off
	v_or_b32_e32 v9, 0x100, v0
	s_waitcnt vmcnt(0)
	v_and_b32_e32 v3, 0xffff8000, v3
.LBB27_5:
	s_or_b64 exec, exec, s[4:5]
	v_cmp_gt_i32_e64 s[0:1], s6, v9
	s_and_saveexec_b64 s[4:5], s[0:1]
	s_cbranch_execz .LBB27_7
; %bb.6:
	v_add_u32_e32 v4, s2, v9
	v_mov_b32_e32 v5, 0
	v_lshlrev_b64 v[4:5], 1, v[4:5]
	v_mov_b32_e32 v1, s11
	v_add_co_u32_e64 v4, s[0:1], s10, v4
	v_addc_co_u32_e64 v5, s[0:1], v1, v5, s[0:1]
	global_load_ushort v1, v[4:5], off
	v_add_u32_e32 v9, 0x100, v9
	s_waitcnt vmcnt(0)
	v_and_b32_e32 v1, 0xffff8000, v1
.LBB27_7:
	s_or_b64 exec, exec, s[4:5]
	v_cmp_gt_i32_e64 s[0:1], s6, v9
	v_mov_b32_e32 v4, 0
	v_mov_b32_e32 v7, 0
	s_and_saveexec_b64 s[4:5], s[0:1]
	s_cbranch_execz .LBB27_9
; %bb.8:
	v_add_u32_e32 v6, s2, v9
	v_mov_b32_e32 v7, 0
	v_lshlrev_b64 v[6:7], 1, v[6:7]
	v_mov_b32_e32 v5, s11
	v_add_co_u32_e64 v6, s[0:1], s10, v6
	v_addc_co_u32_e64 v7, s[0:1], v5, v7, s[0:1]
	global_load_ushort v5, v[6:7], off
	v_add_u32_e32 v9, 0x100, v9
	s_waitcnt vmcnt(0)
	v_and_b32_e32 v7, 0xffff8000, v5
.LBB27_9:
	s_or_b64 exec, exec, s[4:5]
	v_cmp_gt_i32_e64 s[0:1], s6, v9
	s_and_saveexec_b64 s[4:5], s[0:1]
	s_cbranch_execz .LBB27_11
; %bb.10:
	v_add_u32_e32 v4, s2, v9
	v_mov_b32_e32 v5, 0
	v_lshlrev_b64 v[4:5], 1, v[4:5]
	v_mov_b32_e32 v6, s11
	v_add_co_u32_e64 v4, s[0:1], s10, v4
	v_addc_co_u32_e64 v5, s[0:1], v6, v5, s[0:1]
	global_load_ushort v4, v[4:5], off
	v_add_u32_e32 v9, 0x100, v9
	s_waitcnt vmcnt(0)
	v_and_b32_e32 v4, 0xffff8000, v4
.LBB27_11:
	s_or_b64 exec, exec, s[4:5]
	v_cmp_gt_i32_e64 s[0:1], s6, v9
	v_mov_b32_e32 v5, 0
	v_mov_b32_e32 v8, 0
	s_and_saveexec_b64 s[4:5], s[0:1]
	s_cbranch_execz .LBB27_13
; %bb.12:
	v_add_u32_e32 v10, s2, v9
	v_mov_b32_e32 v11, 0
	v_lshlrev_b64 v[10:11], 1, v[10:11]
	v_mov_b32_e32 v6, s11
	v_add_co_u32_e64 v10, s[0:1], s10, v10
	v_addc_co_u32_e64 v11, s[0:1], v6, v11, s[0:1]
	global_load_ushort v6, v[10:11], off
	v_add_u32_e32 v9, 0x100, v9
	s_waitcnt vmcnt(0)
	v_and_b32_e32 v8, 0xffff8000, v6
.LBB27_13:
	;; [unrolled: 34-line block ×3, first 2 shown]
	s_or_b64 exec, exec, s[4:5]
	v_cmp_gt_i32_e64 s[0:1], s6, v9
	s_and_saveexec_b64 s[4:5], s[0:1]
	s_cbranch_execz .LBB27_19
; %bb.18:
	v_add_u32_e32 v12, s2, v9
	v_mov_b32_e32 v13, 0
	v_lshlrev_b64 v[12:13], 1, v[12:13]
	v_mov_b32_e32 v6, s11
	v_add_co_u32_e64 v12, s[0:1], s10, v12
	v_addc_co_u32_e64 v13, s[0:1], v6, v13, s[0:1]
	global_load_ushort v6, v[12:13], off
	s_waitcnt vmcnt(0)
	v_and_b32_e32 v6, 0xffff8000, v6
.LBB27_19:
	s_or_b64 exec, exec, s[4:5]
	v_mov_b32_e32 v9, 0x7fff
	v_and_b32_e32 v9, s7, v9
	s_and_saveexec_b64 s[0:1], vcc
	s_cbranch_execnz .LBB27_29
; %bb.20:
	s_or_b64 exec, exec, s[0:1]
	v_cmp_gt_i32_e32 vcc, s6, v0
	s_and_saveexec_b64 s[0:1], vcc
	s_cbranch_execnz .LBB27_30
.LBB27_21:
	s_or_b64 exec, exec, s[0:1]
	v_cmp_gt_i32_e32 vcc, s6, v0
	s_and_saveexec_b64 s[0:1], vcc
	s_cbranch_execnz .LBB27_31
.LBB27_22:
	s_or_b64 exec, exec, s[0:1]
	v_cmp_gt_i32_e32 vcc, s6, v0
	s_and_saveexec_b64 s[0:1], vcc
	s_cbranch_execnz .LBB27_32
.LBB27_23:
	s_or_b64 exec, exec, s[0:1]
	v_cmp_gt_i32_e32 vcc, s6, v0
	s_and_saveexec_b64 s[0:1], vcc
	s_cbranch_execnz .LBB27_33
.LBB27_24:
	s_or_b64 exec, exec, s[0:1]
	v_cmp_gt_i32_e32 vcc, s6, v0
	s_and_saveexec_b64 s[0:1], vcc
	s_cbranch_execnz .LBB27_34
.LBB27_25:
	s_or_b64 exec, exec, s[0:1]
	v_cmp_gt_i32_e32 vcc, s6, v0
	s_and_saveexec_b64 s[0:1], vcc
	s_cbranch_execnz .LBB27_35
.LBB27_26:
	s_or_b64 exec, exec, s[0:1]
	v_cmp_gt_i32_e32 vcc, s6, v0
	s_and_saveexec_b64 s[0:1], vcc
	s_cbranch_execz .LBB27_28
.LBB27_27:
	v_add_u32_e32 v0, s2, v0
	v_mov_b32_e32 v1, 0
	v_lshlrev_b64 v[0:1], 1, v[0:1]
	v_mov_b32_e32 v3, s9
	v_add_co_u32_e32 v0, vcc, s8, v0
	v_or_b32_e32 v2, v6, v9
	v_addc_co_u32_e32 v1, vcc, v3, v1, vcc
	global_store_short v[0:1], v2, off
.LBB27_28:
	s_endpgm
.LBB27_29:
	v_or_b32_e32 v11, v3, v9
	v_mov_b32_e32 v3, 0
	v_lshlrev_b64 v[2:3], 1, v[2:3]
	v_mov_b32_e32 v12, s9
	v_add_co_u32_e32 v2, vcc, s8, v2
	v_or_b32_e32 v0, 0x100, v0
	v_addc_co_u32_e32 v3, vcc, v12, v3, vcc
	global_store_short v[2:3], v11, off
	s_or_b64 exec, exec, s[0:1]
	v_cmp_gt_i32_e32 vcc, s6, v0
	s_and_saveexec_b64 s[0:1], vcc
	s_cbranch_execz .LBB27_21
.LBB27_30:
	v_add_u32_e32 v2, s2, v0
	v_mov_b32_e32 v3, 0
	v_lshlrev_b64 v[2:3], 1, v[2:3]
	v_mov_b32_e32 v11, s9
	v_add_co_u32_e32 v2, vcc, s8, v2
	v_or_b32_e32 v1, v1, v9
	v_addc_co_u32_e32 v3, vcc, v11, v3, vcc
	v_add_u32_e32 v0, 0x100, v0
	global_store_short v[2:3], v1, off
	s_or_b64 exec, exec, s[0:1]
	v_cmp_gt_i32_e32 vcc, s6, v0
	s_and_saveexec_b64 s[0:1], vcc
	s_cbranch_execz .LBB27_22
.LBB27_31:
	v_add_u32_e32 v2, s2, v0
	v_mov_b32_e32 v3, 0
	v_lshlrev_b64 v[2:3], 1, v[2:3]
	v_or_b32_e32 v1, v7, v9
	v_mov_b32_e32 v7, s9
	v_add_co_u32_e32 v2, vcc, s8, v2
	v_addc_co_u32_e32 v3, vcc, v7, v3, vcc
	v_add_u32_e32 v0, 0x100, v0
	global_store_short v[2:3], v1, off
	s_or_b64 exec, exec, s[0:1]
	v_cmp_gt_i32_e32 vcc, s6, v0
	s_and_saveexec_b64 s[0:1], vcc
	s_cbranch_execz .LBB27_23
.LBB27_32:
	v_add_u32_e32 v2, s2, v0
	v_mov_b32_e32 v3, 0
	v_lshlrev_b64 v[2:3], 1, v[2:3]
	v_or_b32_e32 v1, v4, v9
	v_mov_b32_e32 v4, s9
	v_add_co_u32_e32 v2, vcc, s8, v2
	v_addc_co_u32_e32 v3, vcc, v4, v3, vcc
	v_add_u32_e32 v0, 0x100, v0
	global_store_short v[2:3], v1, off
	s_or_b64 exec, exec, s[0:1]
	v_cmp_gt_i32_e32 vcc, s6, v0
	s_and_saveexec_b64 s[0:1], vcc
	s_cbranch_execz .LBB27_24
.LBB27_33:
	v_add_u32_e32 v2, s2, v0
	v_mov_b32_e32 v3, 0
	v_lshlrev_b64 v[2:3], 1, v[2:3]
	v_mov_b32_e32 v4, s9
	v_add_co_u32_e32 v2, vcc, s8, v2
	v_or_b32_e32 v1, v8, v9
	v_addc_co_u32_e32 v3, vcc, v4, v3, vcc
	v_add_u32_e32 v0, 0x100, v0
	global_store_short v[2:3], v1, off
	s_or_b64 exec, exec, s[0:1]
	v_cmp_gt_i32_e32 vcc, s6, v0
	s_and_saveexec_b64 s[0:1], vcc
	s_cbranch_execz .LBB27_25
.LBB27_34:
	v_add_u32_e32 v2, s2, v0
	v_mov_b32_e32 v3, 0
	v_lshlrev_b64 v[2:3], 1, v[2:3]
	v_mov_b32_e32 v4, s9
	v_add_co_u32_e32 v2, vcc, s8, v2
	v_or_b32_e32 v1, v5, v9
	v_addc_co_u32_e32 v3, vcc, v4, v3, vcc
	v_add_u32_e32 v0, 0x100, v0
	global_store_short v[2:3], v1, off
	s_or_b64 exec, exec, s[0:1]
	v_cmp_gt_i32_e32 vcc, s6, v0
	s_and_saveexec_b64 s[0:1], vcc
	s_cbranch_execz .LBB27_26
.LBB27_35:
	v_add_u32_e32 v2, s2, v0
	v_mov_b32_e32 v3, 0
	v_lshlrev_b64 v[2:3], 1, v[2:3]
	v_mov_b32_e32 v4, s9
	v_add_co_u32_e32 v2, vcc, s8, v2
	v_or_b32_e32 v1, v10, v9
	v_addc_co_u32_e32 v3, vcc, v4, v3, vcc
	v_add_u32_e32 v0, 0x100, v0
	global_store_short v[2:3], v1, off
	s_or_b64 exec, exec, s[0:1]
	v_cmp_gt_i32_e32 vcc, s6, v0
	s_and_saveexec_b64 s[0:1], vcc
	s_cbranch_execnz .LBB27_27
	s_branch .LBB27_28
	.section	.rodata,"a",@progbits
	.p2align	6, 0x0
	.amdhsa_kernel _ZN2at6native29vectorized_elementwise_kernelILi2ENS0_13AUnaryFunctorIN3c108BFloat16ES4_S4_ZNS0_20copysign_kernel_cudaERNS_18TensorIteratorBaseEEUlS4_S4_E_EESt5arrayIPcLm2EEEEviT0_T1_
		.amdhsa_group_segment_fixed_size 0
		.amdhsa_private_segment_fixed_size 0
		.amdhsa_kernarg_size 24
		.amdhsa_user_sgpr_count 6
		.amdhsa_user_sgpr_private_segment_buffer 1
		.amdhsa_user_sgpr_dispatch_ptr 0
		.amdhsa_user_sgpr_queue_ptr 0
		.amdhsa_user_sgpr_kernarg_segment_ptr 1
		.amdhsa_user_sgpr_dispatch_id 0
		.amdhsa_user_sgpr_flat_scratch_init 0
		.amdhsa_user_sgpr_kernarg_preload_length 0
		.amdhsa_user_sgpr_kernarg_preload_offset 0
		.amdhsa_user_sgpr_private_segment_size 0
		.amdhsa_uses_dynamic_stack 0
		.amdhsa_system_sgpr_private_segment_wavefront_offset 0
		.amdhsa_system_sgpr_workgroup_id_x 1
		.amdhsa_system_sgpr_workgroup_id_y 0
		.amdhsa_system_sgpr_workgroup_id_z 0
		.amdhsa_system_sgpr_workgroup_info 0
		.amdhsa_system_vgpr_workitem_id 0
		.amdhsa_next_free_vgpr 14
		.amdhsa_next_free_sgpr 12
		.amdhsa_accum_offset 16
		.amdhsa_reserve_vcc 1
		.amdhsa_reserve_flat_scratch 0
		.amdhsa_float_round_mode_32 0
		.amdhsa_float_round_mode_16_64 0
		.amdhsa_float_denorm_mode_32 3
		.amdhsa_float_denorm_mode_16_64 3
		.amdhsa_dx10_clamp 1
		.amdhsa_ieee_mode 1
		.amdhsa_fp16_overflow 0
		.amdhsa_tg_split 0
		.amdhsa_exception_fp_ieee_invalid_op 0
		.amdhsa_exception_fp_denorm_src 0
		.amdhsa_exception_fp_ieee_div_zero 0
		.amdhsa_exception_fp_ieee_overflow 0
		.amdhsa_exception_fp_ieee_underflow 0
		.amdhsa_exception_fp_ieee_inexact 0
		.amdhsa_exception_int_div_zero 0
	.end_amdhsa_kernel
	.section	.text._ZN2at6native29vectorized_elementwise_kernelILi2ENS0_13AUnaryFunctorIN3c108BFloat16ES4_S4_ZNS0_20copysign_kernel_cudaERNS_18TensorIteratorBaseEEUlS4_S4_E_EESt5arrayIPcLm2EEEEviT0_T1_,"axG",@progbits,_ZN2at6native29vectorized_elementwise_kernelILi2ENS0_13AUnaryFunctorIN3c108BFloat16ES4_S4_ZNS0_20copysign_kernel_cudaERNS_18TensorIteratorBaseEEUlS4_S4_E_EESt5arrayIPcLm2EEEEviT0_T1_,comdat
.Lfunc_end27:
	.size	_ZN2at6native29vectorized_elementwise_kernelILi2ENS0_13AUnaryFunctorIN3c108BFloat16ES4_S4_ZNS0_20copysign_kernel_cudaERNS_18TensorIteratorBaseEEUlS4_S4_E_EESt5arrayIPcLm2EEEEviT0_T1_, .Lfunc_end27-_ZN2at6native29vectorized_elementwise_kernelILi2ENS0_13AUnaryFunctorIN3c108BFloat16ES4_S4_ZNS0_20copysign_kernel_cudaERNS_18TensorIteratorBaseEEUlS4_S4_E_EESt5arrayIPcLm2EEEEviT0_T1_
                                        ; -- End function
	.section	.AMDGPU.csdata,"",@progbits
; Kernel info:
; codeLenInByte = 1644
; NumSgprs: 16
; NumVgprs: 14
; NumAgprs: 0
; TotalNumVgprs: 14
; ScratchSize: 0
; MemoryBound: 0
; FloatMode: 240
; IeeeMode: 1
; LDSByteSize: 0 bytes/workgroup (compile time only)
; SGPRBlocks: 1
; VGPRBlocks: 1
; NumSGPRsForWavesPerEU: 16
; NumVGPRsForWavesPerEU: 14
; AccumOffset: 16
; Occupancy: 8
; WaveLimiterHint : 1
; COMPUTE_PGM_RSRC2:SCRATCH_EN: 0
; COMPUTE_PGM_RSRC2:USER_SGPR: 6
; COMPUTE_PGM_RSRC2:TRAP_HANDLER: 0
; COMPUTE_PGM_RSRC2:TGID_X_EN: 1
; COMPUTE_PGM_RSRC2:TGID_Y_EN: 0
; COMPUTE_PGM_RSRC2:TGID_Z_EN: 0
; COMPUTE_PGM_RSRC2:TIDIG_COMP_CNT: 0
; COMPUTE_PGM_RSRC3_GFX90A:ACCUM_OFFSET: 3
; COMPUTE_PGM_RSRC3_GFX90A:TG_SPLIT: 0
	.section	.text._ZN2at6native27unrolled_elementwise_kernelINS0_13AUnaryFunctorIN3c108BFloat16ES4_S4_ZNS0_20copysign_kernel_cudaERNS_18TensorIteratorBaseEEUlS4_S4_E_EESt5arrayIPcLm2EELi4E23TrivialOffsetCalculatorILi1EjESD_NS0_6memory15LoadWithoutCastENSE_16StoreWithoutCastEEEviT_T0_T2_T3_T4_T5_,"axG",@progbits,_ZN2at6native27unrolled_elementwise_kernelINS0_13AUnaryFunctorIN3c108BFloat16ES4_S4_ZNS0_20copysign_kernel_cudaERNS_18TensorIteratorBaseEEUlS4_S4_E_EESt5arrayIPcLm2EELi4E23TrivialOffsetCalculatorILi1EjESD_NS0_6memory15LoadWithoutCastENSE_16StoreWithoutCastEEEviT_T0_T2_T3_T4_T5_,comdat
	.globl	_ZN2at6native27unrolled_elementwise_kernelINS0_13AUnaryFunctorIN3c108BFloat16ES4_S4_ZNS0_20copysign_kernel_cudaERNS_18TensorIteratorBaseEEUlS4_S4_E_EESt5arrayIPcLm2EELi4E23TrivialOffsetCalculatorILi1EjESD_NS0_6memory15LoadWithoutCastENSE_16StoreWithoutCastEEEviT_T0_T2_T3_T4_T5_ ; -- Begin function _ZN2at6native27unrolled_elementwise_kernelINS0_13AUnaryFunctorIN3c108BFloat16ES4_S4_ZNS0_20copysign_kernel_cudaERNS_18TensorIteratorBaseEEUlS4_S4_E_EESt5arrayIPcLm2EELi4E23TrivialOffsetCalculatorILi1EjESD_NS0_6memory15LoadWithoutCastENSE_16StoreWithoutCastEEEviT_T0_T2_T3_T4_T5_
	.p2align	8
	.type	_ZN2at6native27unrolled_elementwise_kernelINS0_13AUnaryFunctorIN3c108BFloat16ES4_S4_ZNS0_20copysign_kernel_cudaERNS_18TensorIteratorBaseEEUlS4_S4_E_EESt5arrayIPcLm2EELi4E23TrivialOffsetCalculatorILi1EjESD_NS0_6memory15LoadWithoutCastENSE_16StoreWithoutCastEEEviT_T0_T2_T3_T4_T5_,@function
_ZN2at6native27unrolled_elementwise_kernelINS0_13AUnaryFunctorIN3c108BFloat16ES4_S4_ZNS0_20copysign_kernel_cudaERNS_18TensorIteratorBaseEEUlS4_S4_E_EESt5arrayIPcLm2EELi4E23TrivialOffsetCalculatorILi1EjESD_NS0_6memory15LoadWithoutCastENSE_16StoreWithoutCastEEEviT_T0_T2_T3_T4_T5_: ; @_ZN2at6native27unrolled_elementwise_kernelINS0_13AUnaryFunctorIN3c108BFloat16ES4_S4_ZNS0_20copysign_kernel_cudaERNS_18TensorIteratorBaseEEUlS4_S4_E_EESt5arrayIPcLm2EELi4E23TrivialOffsetCalculatorILi1EjESD_NS0_6memory15LoadWithoutCastENSE_16StoreWithoutCastEEEviT_T0_T2_T3_T4_T5_
; %bb.0:
	s_load_dwordx2 s[2:3], s[4:5], 0x0
	s_load_dwordx4 s[8:11], s[4:5], 0x8
	s_lshl_b32 s6, s6, 10
	v_mov_b32_e32 v1, 0
	v_or_b32_e32 v2, s6, v0
	s_waitcnt lgkmcnt(0)
	s_sub_i32 s2, s2, s6
	v_cmp_gt_i32_e32 vcc, s2, v0
	v_mov_b32_e32 v5, 0
	v_mov_b32_e32 v3, v0
	s_and_saveexec_b64 s[4:5], vcc
	s_cbranch_execz .LBB28_2
; %bb.1:
	v_mov_b32_e32 v3, 0
	v_lshlrev_b64 v[4:5], 1, v[2:3]
	v_mov_b32_e32 v3, s11
	v_add_co_u32_e64 v4, s[0:1], s10, v4
	v_addc_co_u32_e64 v5, s[0:1], v3, v5, s[0:1]
	global_load_ushort v4, v[4:5], off
	v_or_b32_e32 v3, 0x100, v0
	s_waitcnt vmcnt(0)
	v_and_b32_e32 v5, 0xffff8000, v4
.LBB28_2:
	s_or_b64 exec, exec, s[4:5]
	v_cmp_gt_i32_e64 s[0:1], s2, v3
	s_and_saveexec_b64 s[4:5], s[0:1]
	s_cbranch_execz .LBB28_4
; %bb.3:
	v_add_u32_e32 v6, s6, v3
	v_mov_b32_e32 v7, 0
	v_lshlrev_b64 v[6:7], 1, v[6:7]
	v_mov_b32_e32 v1, s11
	v_add_co_u32_e64 v6, s[0:1], s10, v6
	v_addc_co_u32_e64 v7, s[0:1], v1, v7, s[0:1]
	global_load_ushort v1, v[6:7], off
	v_add_u32_e32 v3, 0x100, v3
	s_waitcnt vmcnt(0)
	v_and_b32_e32 v1, 0xffff8000, v1
.LBB28_4:
	s_or_b64 exec, exec, s[4:5]
	v_cmp_gt_i32_e64 s[0:1], s2, v3
	v_mov_b32_e32 v4, 0
	v_mov_b32_e32 v6, 0
	s_and_saveexec_b64 s[4:5], s[0:1]
	s_cbranch_execz .LBB28_6
; %bb.5:
	v_add_u32_e32 v6, s6, v3
	v_mov_b32_e32 v7, 0
	v_lshlrev_b64 v[6:7], 1, v[6:7]
	v_mov_b32_e32 v8, s11
	v_add_co_u32_e64 v6, s[0:1], s10, v6
	v_addc_co_u32_e64 v7, s[0:1], v8, v7, s[0:1]
	global_load_ushort v6, v[6:7], off
	v_add_u32_e32 v3, 0x100, v3
	s_waitcnt vmcnt(0)
	v_and_b32_e32 v6, 0xffff8000, v6
.LBB28_6:
	s_or_b64 exec, exec, s[4:5]
	v_cmp_gt_i32_e64 s[0:1], s2, v3
	s_and_saveexec_b64 s[4:5], s[0:1]
	s_cbranch_execz .LBB28_8
; %bb.7:
	v_add_u32_e32 v8, s6, v3
	v_mov_b32_e32 v9, 0
	v_lshlrev_b64 v[8:9], 1, v[8:9]
	v_mov_b32_e32 v3, s11
	v_add_co_u32_e64 v8, s[0:1], s10, v8
	v_addc_co_u32_e64 v9, s[0:1], v3, v9, s[0:1]
	global_load_ushort v3, v[8:9], off
	s_waitcnt vmcnt(0)
	v_and_b32_e32 v4, 0xffff8000, v3
.LBB28_8:
	s_or_b64 exec, exec, s[4:5]
	s_lshr_b32 s0, s3, 16
	v_mov_b32_e32 v3, 0x7fff
	v_and_b32_e32 v7, s0, v3
	s_and_saveexec_b64 s[0:1], vcc
	s_cbranch_execnz .LBB28_13
; %bb.9:
	s_or_b64 exec, exec, s[0:1]
	v_cmp_gt_i32_e32 vcc, s2, v0
	s_and_saveexec_b64 s[0:1], vcc
	s_cbranch_execnz .LBB28_14
.LBB28_10:
	s_or_b64 exec, exec, s[0:1]
	v_cmp_gt_i32_e32 vcc, s2, v0
	s_and_saveexec_b64 s[0:1], vcc
	s_cbranch_execnz .LBB28_15
.LBB28_11:
	s_or_b64 exec, exec, s[0:1]
	v_cmp_gt_i32_e32 vcc, s2, v0
	s_and_saveexec_b64 s[0:1], vcc
	s_cbranch_execnz .LBB28_16
.LBB28_12:
	s_endpgm
.LBB28_13:
	v_mov_b32_e32 v3, 0
	v_lshlrev_b64 v[2:3], 1, v[2:3]
	v_mov_b32_e32 v8, s9
	v_add_co_u32_e32 v2, vcc, s8, v2
	v_or_b32_e32 v0, 0x100, v0
	v_addc_co_u32_e32 v3, vcc, v8, v3, vcc
	v_or_b32_e32 v5, v5, v7
	global_store_short v[2:3], v5, off
	s_or_b64 exec, exec, s[0:1]
	v_cmp_gt_i32_e32 vcc, s2, v0
	s_and_saveexec_b64 s[0:1], vcc
	s_cbranch_execz .LBB28_10
.LBB28_14:
	v_or_b32_e32 v2, v1, v7
	v_add_u32_e32 v3, 0x100, v0
	v_add_u32_e32 v0, s6, v0
	v_mov_b32_e32 v1, 0
	v_lshlrev_b64 v[0:1], 1, v[0:1]
	v_mov_b32_e32 v5, s9
	v_add_co_u32_e32 v0, vcc, s8, v0
	v_addc_co_u32_e32 v1, vcc, v5, v1, vcc
	global_store_short v[0:1], v2, off
	v_mov_b32_e32 v0, v3
	s_or_b64 exec, exec, s[0:1]
	v_cmp_gt_i32_e32 vcc, s2, v0
	s_and_saveexec_b64 s[0:1], vcc
	s_cbranch_execz .LBB28_11
.LBB28_15:
	v_add_u32_e32 v3, 0x100, v0
	v_add_u32_e32 v0, s6, v0
	v_mov_b32_e32 v1, 0
	v_lshlrev_b64 v[0:1], 1, v[0:1]
	v_mov_b32_e32 v5, s9
	v_add_co_u32_e32 v0, vcc, s8, v0
	v_or_b32_e32 v2, v6, v7
	v_addc_co_u32_e32 v1, vcc, v5, v1, vcc
	global_store_short v[0:1], v2, off
	v_mov_b32_e32 v0, v3
	s_or_b64 exec, exec, s[0:1]
	v_cmp_gt_i32_e32 vcc, s2, v0
	s_and_saveexec_b64 s[0:1], vcc
	s_cbranch_execz .LBB28_12
.LBB28_16:
	v_add_u32_e32 v0, s6, v0
	v_mov_b32_e32 v1, 0
	v_lshlrev_b64 v[0:1], 1, v[0:1]
	v_mov_b32_e32 v3, s9
	v_add_co_u32_e32 v0, vcc, s8, v0
	v_or_b32_e32 v2, v4, v7
	v_addc_co_u32_e32 v1, vcc, v3, v1, vcc
	global_store_short v[0:1], v2, off
	s_endpgm
	.section	.rodata,"a",@progbits
	.p2align	6, 0x0
	.amdhsa_kernel _ZN2at6native27unrolled_elementwise_kernelINS0_13AUnaryFunctorIN3c108BFloat16ES4_S4_ZNS0_20copysign_kernel_cudaERNS_18TensorIteratorBaseEEUlS4_S4_E_EESt5arrayIPcLm2EELi4E23TrivialOffsetCalculatorILi1EjESD_NS0_6memory15LoadWithoutCastENSE_16StoreWithoutCastEEEviT_T0_T2_T3_T4_T5_
		.amdhsa_group_segment_fixed_size 0
		.amdhsa_private_segment_fixed_size 0
		.amdhsa_kernarg_size 28
		.amdhsa_user_sgpr_count 6
		.amdhsa_user_sgpr_private_segment_buffer 1
		.amdhsa_user_sgpr_dispatch_ptr 0
		.amdhsa_user_sgpr_queue_ptr 0
		.amdhsa_user_sgpr_kernarg_segment_ptr 1
		.amdhsa_user_sgpr_dispatch_id 0
		.amdhsa_user_sgpr_flat_scratch_init 0
		.amdhsa_user_sgpr_kernarg_preload_length 0
		.amdhsa_user_sgpr_kernarg_preload_offset 0
		.amdhsa_user_sgpr_private_segment_size 0
		.amdhsa_uses_dynamic_stack 0
		.amdhsa_system_sgpr_private_segment_wavefront_offset 0
		.amdhsa_system_sgpr_workgroup_id_x 1
		.amdhsa_system_sgpr_workgroup_id_y 0
		.amdhsa_system_sgpr_workgroup_id_z 0
		.amdhsa_system_sgpr_workgroup_info 0
		.amdhsa_system_vgpr_workitem_id 0
		.amdhsa_next_free_vgpr 10
		.amdhsa_next_free_sgpr 12
		.amdhsa_accum_offset 12
		.amdhsa_reserve_vcc 1
		.amdhsa_reserve_flat_scratch 0
		.amdhsa_float_round_mode_32 0
		.amdhsa_float_round_mode_16_64 0
		.amdhsa_float_denorm_mode_32 3
		.amdhsa_float_denorm_mode_16_64 3
		.amdhsa_dx10_clamp 1
		.amdhsa_ieee_mode 1
		.amdhsa_fp16_overflow 0
		.amdhsa_tg_split 0
		.amdhsa_exception_fp_ieee_invalid_op 0
		.amdhsa_exception_fp_denorm_src 0
		.amdhsa_exception_fp_ieee_div_zero 0
		.amdhsa_exception_fp_ieee_overflow 0
		.amdhsa_exception_fp_ieee_underflow 0
		.amdhsa_exception_fp_ieee_inexact 0
		.amdhsa_exception_int_div_zero 0
	.end_amdhsa_kernel
	.section	.text._ZN2at6native27unrolled_elementwise_kernelINS0_13AUnaryFunctorIN3c108BFloat16ES4_S4_ZNS0_20copysign_kernel_cudaERNS_18TensorIteratorBaseEEUlS4_S4_E_EESt5arrayIPcLm2EELi4E23TrivialOffsetCalculatorILi1EjESD_NS0_6memory15LoadWithoutCastENSE_16StoreWithoutCastEEEviT_T0_T2_T3_T4_T5_,"axG",@progbits,_ZN2at6native27unrolled_elementwise_kernelINS0_13AUnaryFunctorIN3c108BFloat16ES4_S4_ZNS0_20copysign_kernel_cudaERNS_18TensorIteratorBaseEEUlS4_S4_E_EESt5arrayIPcLm2EELi4E23TrivialOffsetCalculatorILi1EjESD_NS0_6memory15LoadWithoutCastENSE_16StoreWithoutCastEEEviT_T0_T2_T3_T4_T5_,comdat
.Lfunc_end28:
	.size	_ZN2at6native27unrolled_elementwise_kernelINS0_13AUnaryFunctorIN3c108BFloat16ES4_S4_ZNS0_20copysign_kernel_cudaERNS_18TensorIteratorBaseEEUlS4_S4_E_EESt5arrayIPcLm2EELi4E23TrivialOffsetCalculatorILi1EjESD_NS0_6memory15LoadWithoutCastENSE_16StoreWithoutCastEEEviT_T0_T2_T3_T4_T5_, .Lfunc_end28-_ZN2at6native27unrolled_elementwise_kernelINS0_13AUnaryFunctorIN3c108BFloat16ES4_S4_ZNS0_20copysign_kernel_cudaERNS_18TensorIteratorBaseEEUlS4_S4_E_EESt5arrayIPcLm2EELi4E23TrivialOffsetCalculatorILi1EjESD_NS0_6memory15LoadWithoutCastENSE_16StoreWithoutCastEEEviT_T0_T2_T3_T4_T5_
                                        ; -- End function
	.section	.AMDGPU.csdata,"",@progbits
; Kernel info:
; codeLenInByte = 688
; NumSgprs: 16
; NumVgprs: 10
; NumAgprs: 0
; TotalNumVgprs: 10
; ScratchSize: 0
; MemoryBound: 0
; FloatMode: 240
; IeeeMode: 1
; LDSByteSize: 0 bytes/workgroup (compile time only)
; SGPRBlocks: 1
; VGPRBlocks: 1
; NumSGPRsForWavesPerEU: 16
; NumVGPRsForWavesPerEU: 10
; AccumOffset: 12
; Occupancy: 8
; WaveLimiterHint : 0
; COMPUTE_PGM_RSRC2:SCRATCH_EN: 0
; COMPUTE_PGM_RSRC2:USER_SGPR: 6
; COMPUTE_PGM_RSRC2:TRAP_HANDLER: 0
; COMPUTE_PGM_RSRC2:TGID_X_EN: 1
; COMPUTE_PGM_RSRC2:TGID_Y_EN: 0
; COMPUTE_PGM_RSRC2:TGID_Z_EN: 0
; COMPUTE_PGM_RSRC2:TIDIG_COMP_CNT: 0
; COMPUTE_PGM_RSRC3_GFX90A:ACCUM_OFFSET: 2
; COMPUTE_PGM_RSRC3_GFX90A:TG_SPLIT: 0
	.section	.text._ZN2at6native32elementwise_kernel_manual_unrollILi128ELi8EZNS0_22gpu_kernel_impl_nocastINS0_13AUnaryFunctorIN3c108BFloat16ES5_S5_ZNS0_20copysign_kernel_cudaERNS_18TensorIteratorBaseEEUlS5_S5_E_EEEEvS7_RKT_EUlibE_EEviT1_,"axG",@progbits,_ZN2at6native32elementwise_kernel_manual_unrollILi128ELi8EZNS0_22gpu_kernel_impl_nocastINS0_13AUnaryFunctorIN3c108BFloat16ES5_S5_ZNS0_20copysign_kernel_cudaERNS_18TensorIteratorBaseEEUlS5_S5_E_EEEEvS7_RKT_EUlibE_EEviT1_,comdat
	.globl	_ZN2at6native32elementwise_kernel_manual_unrollILi128ELi8EZNS0_22gpu_kernel_impl_nocastINS0_13AUnaryFunctorIN3c108BFloat16ES5_S5_ZNS0_20copysign_kernel_cudaERNS_18TensorIteratorBaseEEUlS5_S5_E_EEEEvS7_RKT_EUlibE_EEviT1_ ; -- Begin function _ZN2at6native32elementwise_kernel_manual_unrollILi128ELi8EZNS0_22gpu_kernel_impl_nocastINS0_13AUnaryFunctorIN3c108BFloat16ES5_S5_ZNS0_20copysign_kernel_cudaERNS_18TensorIteratorBaseEEUlS5_S5_E_EEEEvS7_RKT_EUlibE_EEviT1_
	.p2align	8
	.type	_ZN2at6native32elementwise_kernel_manual_unrollILi128ELi8EZNS0_22gpu_kernel_impl_nocastINS0_13AUnaryFunctorIN3c108BFloat16ES5_S5_ZNS0_20copysign_kernel_cudaERNS_18TensorIteratorBaseEEUlS5_S5_E_EEEEvS7_RKT_EUlibE_EEviT1_,@function
_ZN2at6native32elementwise_kernel_manual_unrollILi128ELi8EZNS0_22gpu_kernel_impl_nocastINS0_13AUnaryFunctorIN3c108BFloat16ES5_S5_ZNS0_20copysign_kernel_cudaERNS_18TensorIteratorBaseEEUlS5_S5_E_EEEEvS7_RKT_EUlibE_EEviT1_: ; @_ZN2at6native32elementwise_kernel_manual_unrollILi128ELi8EZNS0_22gpu_kernel_impl_nocastINS0_13AUnaryFunctorIN3c108BFloat16ES5_S5_ZNS0_20copysign_kernel_cudaERNS_18TensorIteratorBaseEEUlS5_S5_E_EEEEvS7_RKT_EUlibE_EEviT1_
; %bb.0:
	s_load_dword s59, s[4:5], 0x0
	s_load_dword s33, s[4:5], 0x8
	s_or_b32 s34, s4, 8
	v_lshl_or_b32 v24, s6, 10, v0
	v_or_b32_e32 v31, 0x380, v24
	s_mov_b32 s35, s5
	s_waitcnt lgkmcnt(0)
	s_add_i32 s58, s33, -1
	s_cmp_gt_u32 s58, 1
	v_cmp_le_i32_e32 vcc, s59, v31
	s_cselect_b64 s[6:7], -1, 0
	s_and_saveexec_b64 s[0:1], vcc
	s_xor_b64 s[40:41], exec, s[0:1]
	s_cbranch_execz .LBB29_8
; %bb.1:
	s_load_dwordx4 s[24:27], s[34:35], 0x4
	s_load_dwordx2 s[42:43], s[34:35], 0x14
	s_load_dword s8, s[4:5], 0x160
	s_cmp_lg_u32 s33, 0
	s_cselect_b64 s[48:49], -1, 0
	s_add_u32 s46, s34, 0xc4
	s_load_dwordx4 s[28:31], s[34:35], 0xc4
	s_load_dwordx4 s[0:3], s[34:35], 0x148
	s_addc_u32 s47, s35, 0
	s_min_u32 s60, s58, 15
	s_cmp_gt_u32 s33, 1
	s_cselect_b64 s[44:45], -1, 0
	s_waitcnt lgkmcnt(0)
	s_lshr_b32 s8, s8, 16
	v_mov_b32_e32 v0, 0x7fff
	v_and_b32_e32 v4, s8, v0
	v_cmp_gt_i32_e32 vcc, s59, v24
	s_and_saveexec_b64 s[50:51], vcc
	s_cbranch_execz .LBB29_16
; %bb.2:
	s_andn2_b64 vcc, exec, s[6:7]
	s_cbranch_vccnz .LBB29_24
; %bb.3:
	s_mov_b32 s52, 0
	s_andn2_b64 vcc, exec, s[48:49]
	v_mov_b32_e32 v2, 0
	v_mov_b32_e32 v0, 0
	s_cbranch_vccnz .LBB29_136
; %bb.4:
	s_add_i32 s61, s60, 1
	s_cmp_eq_u32 s58, 2
	s_cbranch_scc1 .LBB29_131
; %bb.5:
	s_and_b32 s52, s61, 28
	s_mov_b32 s53, 0
	v_mov_b32_e32 v0, 0
	s_mov_b64 s[54:55], s[34:35]
	s_mov_b64 s[56:57], s[46:47]
	v_mov_b32_e32 v3, v24
	v_mov_b32_e32 v2, 0
.LBB29_6:                               ; =>This Inner Loop Header: Depth=1
	s_load_dwordx8 s[16:23], s[54:55], 0x4
	s_load_dwordx4 s[36:39], s[54:55], 0x24
	s_load_dwordx8 s[8:15], s[56:57], 0x0
	s_add_u32 s54, s54, 48
	s_addc_u32 s55, s55, 0
	s_waitcnt lgkmcnt(0)
	v_mul_hi_u32 v1, s17, v3
	v_add_u32_e32 v1, v3, v1
	v_lshrrev_b32_e32 v1, s18, v1
	v_mul_lo_u32 v5, v1, s16
	v_mul_hi_u32 v6, s20, v1
	v_sub_u32_e32 v3, v3, v5
	v_add_u32_e32 v5, v1, v6
	v_lshrrev_b32_e32 v5, s21, v5
	v_mul_lo_u32 v7, v5, s19
	v_mul_hi_u32 v8, s23, v5
	v_sub_u32_e32 v1, v1, v7
	v_add_u32_e32 v7, v5, v8
	v_mul_lo_u32 v6, v3, s9
	v_mul_lo_u32 v3, v3, s8
	;; [unrolled: 1-line block ×4, first 2 shown]
	v_lshrrev_b32_e32 v7, s36, v7
	v_add3_u32 v0, v3, v0, v1
	v_mul_hi_u32 v3, s38, v7
	v_add_u32_e32 v3, v7, v3
	v_lshrrev_b32_e32 v3, s39, v3
	s_add_i32 s53, s53, 4
	v_add3_u32 v1, v6, v2, v8
	v_mul_lo_u32 v2, v7, s22
	v_mul_lo_u32 v6, v3, s37
	s_add_u32 s56, s56, 32
	v_sub_u32_e32 v2, v5, v2
	v_sub_u32_e32 v6, v7, v6
	s_addc_u32 s57, s57, 0
	v_mul_lo_u32 v5, v2, s12
	v_mul_lo_u32 v2, v2, s13
	;; [unrolled: 1-line block ×4, first 2 shown]
	s_cmp_lg_u32 s52, s53
	v_add3_u32 v2, v2, v1, v6
	v_add3_u32 v0, v5, v0, v7
	s_cbranch_scc1 .LBB29_6
; %bb.7:
	v_mov_b32_e32 v1, v2
	s_branch .LBB29_132
.LBB29_8:
	s_andn2_saveexec_b64 s[0:1], s[40:41]
	s_cbranch_execz .LBB29_227
.LBB29_9:
	v_cndmask_b32_e64 v0, 0, 1, s[6:7]
	v_cmp_ne_u32_e64 s[0:1], 1, v0
	s_andn2_b64 vcc, exec, s[6:7]
	s_cbranch_vccnz .LBB29_23
; %bb.10:
	s_mov_b32 s2, 0
	s_cmp_lg_u32 s33, 0
	v_mov_b32_e32 v2, 0
	v_mov_b32_e32 v0, 0
	s_cbranch_scc0 .LBB29_15
; %bb.11:
	s_min_u32 s30, s58, 15
	s_add_i32 s30, s30, 1
	s_cmp_eq_u32 s58, 2
	s_cbranch_scc1 .LBB29_26
; %bb.12:
	s_add_u32 s6, s34, 0xc4
	s_addc_u32 s7, s35, 0
	s_and_b32 s2, s30, 28
	s_mov_b32 s3, 0
	v_mov_b32_e32 v0, 0
	s_mov_b64 s[28:29], s[34:35]
	v_mov_b32_e32 v3, v24
	v_mov_b32_e32 v2, 0
.LBB29_13:                              ; =>This Inner Loop Header: Depth=1
	s_load_dwordx8 s[16:23], s[28:29], 0x4
	s_load_dwordx4 s[24:27], s[28:29], 0x24
	s_load_dwordx8 s[8:15], s[6:7], 0x0
	s_add_u32 s28, s28, 48
	s_addc_u32 s29, s29, 0
	s_waitcnt lgkmcnt(0)
	v_mul_hi_u32 v1, s17, v3
	v_add_u32_e32 v1, v3, v1
	v_lshrrev_b32_e32 v1, s18, v1
	v_mul_lo_u32 v4, v1, s16
	v_mul_hi_u32 v5, s20, v1
	v_sub_u32_e32 v3, v3, v4
	v_add_u32_e32 v4, v1, v5
	v_lshrrev_b32_e32 v4, s21, v4
	v_mul_lo_u32 v6, v4, s19
	v_mul_hi_u32 v7, s23, v4
	v_sub_u32_e32 v1, v1, v6
	v_add_u32_e32 v6, v4, v7
	v_mul_lo_u32 v5, v3, s9
	v_mul_lo_u32 v3, v3, s8
	;; [unrolled: 1-line block ×4, first 2 shown]
	v_lshrrev_b32_e32 v6, s24, v6
	v_add3_u32 v0, v3, v0, v1
	v_mul_hi_u32 v3, s26, v6
	v_add_u32_e32 v3, v6, v3
	v_lshrrev_b32_e32 v3, s27, v3
	s_add_i32 s3, s3, 4
	v_add3_u32 v1, v5, v2, v7
	v_mul_lo_u32 v2, v6, s22
	v_mul_lo_u32 v5, v3, s25
	s_add_u32 s6, s6, 32
	v_sub_u32_e32 v2, v4, v2
	v_sub_u32_e32 v5, v6, v5
	s_addc_u32 s7, s7, 0
	v_mul_lo_u32 v4, v2, s12
	v_mul_lo_u32 v2, v2, s13
	;; [unrolled: 1-line block ×4, first 2 shown]
	s_cmp_lg_u32 s2, s3
	v_add3_u32 v2, v2, v1, v5
	v_add3_u32 v0, v4, v0, v6
	s_cbranch_scc1 .LBB29_13
; %bb.14:
	v_mov_b32_e32 v1, v2
	s_and_b32 s8, s30, 3
	s_cmp_eq_u32 s8, 0
	s_cbranch_scc0 .LBB29_27
.LBB29_15:
	s_cbranch_execz .LBB29_30
	s_branch .LBB29_32
.LBB29_16:
	s_or_b64 exec, exec, s[50:51]
	v_cmp_gt_i32_e32 vcc, s59, v24
	s_and_saveexec_b64 s[50:51], vcc
	s_cbranch_execz .LBB29_140
.LBB29_17:
	s_andn2_b64 vcc, exec, s[6:7]
	s_cbranch_vccnz .LBB29_25
; %bb.18:
	s_mov_b32 s52, 0
	s_andn2_b64 vcc, exec, s[48:49]
	v_mov_b32_e32 v2, 0
	v_mov_b32_e32 v0, 0
	s_cbranch_vccnz .LBB29_153
; %bb.19:
	s_add_i32 s61, s60, 1
	s_cmp_eq_u32 s58, 2
	s_cbranch_scc1 .LBB29_148
; %bb.20:
	s_and_b32 s52, s61, 28
	s_mov_b32 s53, 0
	v_mov_b32_e32 v0, 0
	s_mov_b64 s[54:55], s[34:35]
	s_mov_b64 s[56:57], s[46:47]
	v_mov_b32_e32 v3, v24
	v_mov_b32_e32 v2, 0
.LBB29_21:                              ; =>This Inner Loop Header: Depth=1
	s_load_dwordx8 s[16:23], s[54:55], 0x4
	s_load_dwordx4 s[36:39], s[54:55], 0x24
	s_load_dwordx8 s[8:15], s[56:57], 0x0
	s_add_u32 s54, s54, 48
	s_addc_u32 s55, s55, 0
	s_waitcnt lgkmcnt(0)
	v_mul_hi_u32 v1, s17, v3
	v_add_u32_e32 v1, v3, v1
	v_lshrrev_b32_e32 v1, s18, v1
	v_mul_lo_u32 v5, v1, s16
	v_mul_hi_u32 v6, s20, v1
	v_sub_u32_e32 v3, v3, v5
	v_add_u32_e32 v5, v1, v6
	v_lshrrev_b32_e32 v5, s21, v5
	v_mul_lo_u32 v7, v5, s19
	v_mul_hi_u32 v8, s23, v5
	v_sub_u32_e32 v1, v1, v7
	v_add_u32_e32 v7, v5, v8
	v_mul_lo_u32 v6, v3, s9
	v_mul_lo_u32 v3, v3, s8
	;; [unrolled: 1-line block ×4, first 2 shown]
	v_lshrrev_b32_e32 v7, s36, v7
	v_add3_u32 v0, v3, v0, v1
	v_mul_hi_u32 v3, s38, v7
	v_add_u32_e32 v3, v7, v3
	v_lshrrev_b32_e32 v3, s39, v3
	s_add_i32 s53, s53, 4
	v_add3_u32 v1, v6, v2, v8
	v_mul_lo_u32 v2, v7, s22
	v_mul_lo_u32 v6, v3, s37
	s_add_u32 s56, s56, 32
	v_sub_u32_e32 v2, v5, v2
	v_sub_u32_e32 v6, v7, v6
	s_addc_u32 s57, s57, 0
	v_mul_lo_u32 v5, v2, s12
	v_mul_lo_u32 v2, v2, s13
	;; [unrolled: 1-line block ×4, first 2 shown]
	s_cmp_eq_u32 s52, s53
	v_add3_u32 v2, v2, v1, v6
	v_add3_u32 v0, v5, v0, v7
	s_cbranch_scc0 .LBB29_21
; %bb.22:
	v_mov_b32_e32 v1, v2
	s_branch .LBB29_149
.LBB29_23:
                                        ; implicit-def: $vgpr2
                                        ; implicit-def: $vgpr0
	s_branch .LBB29_30
.LBB29_24:
                                        ; implicit-def: $vgpr2
                                        ; implicit-def: $vgpr0
	s_branch .LBB29_137
.LBB29_25:
                                        ; implicit-def: $vgpr2
                                        ; implicit-def: $vgpr0
	s_branch .LBB29_154
.LBB29_26:
	s_mov_b32 s3, s2
	v_pk_mov_b32 v[0:1], s[2:3], s[2:3] op_sel:[0,1]
                                        ; implicit-def: $vgpr2
	v_mov_b32_e32 v3, v24
	s_and_b32 s8, s30, 3
	s_cmp_eq_u32 s8, 0
	s_cbranch_scc1 .LBB29_15
.LBB29_27:
	s_lshl_b32 s3, s2, 3
	s_add_u32 s3, s3, s34
	s_addc_u32 s7, 0, s35
	s_add_u32 s6, s3, 0xc4
	s_addc_u32 s7, s7, 0
	s_mul_i32 s2, s2, 12
	s_add_u32 s2, s34, s2
	s_addc_u32 s3, 0, s35
.LBB29_28:                              ; =>This Inner Loop Header: Depth=1
	s_load_dwordx2 s[10:11], s[2:3], 0x4
	s_load_dword s9, s[2:3], 0xc
	s_load_dwordx2 s[12:13], s[6:7], 0x0
	v_mov_b32_e32 v2, v1
	s_add_u32 s2, s2, 12
	s_waitcnt lgkmcnt(0)
	v_mul_hi_u32 v1, s11, v3
	v_add_u32_e32 v1, v3, v1
	v_lshrrev_b32_e32 v1, s9, v1
	s_addc_u32 s3, s3, 0
	v_mul_lo_u32 v4, v1, s10
	s_add_u32 s6, s6, 8
	v_sub_u32_e32 v6, v3, v4
	v_mov_b32_e32 v3, v1
	s_addc_u32 s7, s7, 0
	s_add_i32 s8, s8, -1
	v_mad_u64_u32 v[4:5], s[10:11], v6, s13, v[2:3]
	v_mad_u64_u32 v[0:1], s[10:11], v6, s12, v[0:1]
	s_cmp_lg_u32 s8, 0
	v_mov_b32_e32 v1, v4
	s_cbranch_scc1 .LBB29_28
; %bb.29:
	v_mov_b32_e32 v2, v1
	s_cbranch_execnz .LBB29_32
.LBB29_30:
	s_load_dwordx4 s[8:11], s[34:35], 0x4
	s_load_dwordx2 s[2:3], s[34:35], 0xc4
	s_cmp_lt_u32 s33, 2
	s_waitcnt lgkmcnt(0)
	v_mul_hi_u32 v0, s9, v24
	v_add_u32_e32 v0, v24, v0
	v_lshrrev_b32_e32 v1, s10, v0
	v_mul_lo_u32 v0, v1, s8
	v_sub_u32_e32 v0, v24, v0
	v_mul_lo_u32 v2, v0, s3
	v_mul_lo_u32 v0, v0, s2
	s_cbranch_scc1 .LBB29_32
; %bb.31:
	s_load_dwordx4 s[8:11], s[34:35], 0x10
	s_load_dwordx2 s[2:3], s[34:35], 0xcc
	s_waitcnt lgkmcnt(0)
	v_mul_hi_u32 v3, s9, v1
	v_add_u32_e32 v3, v1, v3
	v_lshrrev_b32_e32 v3, s10, v3
	v_mul_lo_u32 v3, v3, s8
	v_sub_u32_e32 v3, v1, v3
	v_mad_u64_u32 v[0:1], s[6:7], v3, s2, v[0:1]
	v_mad_u64_u32 v[2:3], s[2:3], v3, s3, v[2:3]
.LBB29_32:
	s_and_b64 vcc, exec, s[0:1]
	v_add_u32_e32 v1, 0x80, v24
	s_cbranch_vccnz .LBB29_39
; %bb.33:
	s_mov_b32 s2, 0
	s_cmp_lg_u32 s33, 0
	v_mov_b32_e32 v6, 0
	v_mov_b32_e32 v4, 0
	s_cbranch_scc0 .LBB29_38
; %bb.34:
	s_min_u32 s30, s58, 15
	s_add_i32 s30, s30, 1
	s_cmp_eq_u32 s58, 2
	s_cbranch_scc1 .LBB29_40
; %bb.35:
	s_add_u32 s6, s34, 0xc4
	s_addc_u32 s7, s35, 0
	s_and_b32 s2, s30, 28
	s_mov_b32 s3, 0
	v_mov_b32_e32 v4, 0
	s_mov_b64 s[28:29], s[34:35]
	v_mov_b32_e32 v3, v1
	v_mov_b32_e32 v6, 0
.LBB29_36:                              ; =>This Inner Loop Header: Depth=1
	s_load_dwordx8 s[16:23], s[28:29], 0x4
	s_load_dwordx4 s[24:27], s[28:29], 0x24
	s_load_dwordx8 s[8:15], s[6:7], 0x0
	s_add_u32 s28, s28, 48
	s_addc_u32 s29, s29, 0
	s_waitcnt lgkmcnt(0)
	v_mul_hi_u32 v5, s17, v3
	v_add_u32_e32 v5, v3, v5
	v_lshrrev_b32_e32 v5, s18, v5
	v_mul_lo_u32 v7, v5, s16
	v_mul_hi_u32 v8, s20, v5
	v_sub_u32_e32 v3, v3, v7
	v_add_u32_e32 v7, v5, v8
	v_lshrrev_b32_e32 v7, s21, v7
	v_mul_lo_u32 v9, v7, s19
	v_mul_hi_u32 v10, s23, v7
	v_sub_u32_e32 v5, v5, v9
	v_add_u32_e32 v9, v7, v10
	v_mul_lo_u32 v8, v3, s9
	v_mul_lo_u32 v3, v3, s8
	;; [unrolled: 1-line block ×4, first 2 shown]
	v_lshrrev_b32_e32 v9, s24, v9
	v_add3_u32 v4, v3, v4, v5
	v_add3_u32 v5, v8, v6, v10
	v_mul_lo_u32 v3, v9, s22
	v_mul_hi_u32 v6, s26, v9
	v_sub_u32_e32 v3, v7, v3
	v_add_u32_e32 v6, v9, v6
	v_mul_lo_u32 v7, v3, s12
	v_mul_lo_u32 v8, v3, s13
	v_lshrrev_b32_e32 v3, s27, v6
	s_add_i32 s3, s3, 4
	v_mul_lo_u32 v6, v3, s25
	s_add_u32 s6, s6, 32
	v_sub_u32_e32 v6, v9, v6
	s_addc_u32 s7, s7, 0
	v_mul_lo_u32 v9, v6, s14
	v_mul_lo_u32 v6, v6, s15
	s_cmp_lg_u32 s2, s3
	v_add3_u32 v6, v8, v5, v6
	v_add3_u32 v4, v7, v4, v9
	s_cbranch_scc1 .LBB29_36
; %bb.37:
	v_mov_b32_e32 v5, v6
	s_and_b32 s8, s30, 3
	s_cmp_eq_u32 s8, 0
	s_cbranch_scc0 .LBB29_41
.LBB29_38:
	s_cbranch_execz .LBB29_44
	s_branch .LBB29_46
.LBB29_39:
                                        ; implicit-def: $vgpr6
                                        ; implicit-def: $vgpr4
	s_branch .LBB29_44
.LBB29_40:
	s_mov_b32 s3, s2
	v_pk_mov_b32 v[4:5], s[2:3], s[2:3] op_sel:[0,1]
                                        ; implicit-def: $vgpr6
	v_mov_b32_e32 v3, v1
	s_and_b32 s8, s30, 3
	s_cmp_eq_u32 s8, 0
	s_cbranch_scc1 .LBB29_38
.LBB29_41:
	s_lshl_b32 s3, s2, 3
	s_add_u32 s3, s3, s34
	s_addc_u32 s7, 0, s35
	s_add_u32 s6, s3, 0xc4
	s_addc_u32 s7, s7, 0
	s_mul_i32 s2, s2, 12
	s_add_u32 s2, s34, s2
	s_addc_u32 s3, 0, s35
.LBB29_42:                              ; =>This Inner Loop Header: Depth=1
	s_load_dwordx2 s[10:11], s[2:3], 0x4
	s_load_dword s9, s[2:3], 0xc
	s_load_dwordx2 s[12:13], s[6:7], 0x0
	v_mov_b32_e32 v6, v5
	s_add_u32 s2, s2, 12
	s_waitcnt lgkmcnt(0)
	v_mul_hi_u32 v5, s11, v3
	v_add_u32_e32 v5, v3, v5
	v_lshrrev_b32_e32 v5, s9, v5
	s_addc_u32 s3, s3, 0
	v_mul_lo_u32 v7, v5, s10
	s_add_u32 s6, s6, 8
	v_sub_u32_e32 v8, v3, v7
	s_addc_u32 s7, s7, 0
	s_add_i32 s8, s8, -1
	v_mov_b32_e32 v3, v5
	v_mad_u64_u32 v[6:7], s[10:11], v8, s13, v[6:7]
	v_mad_u64_u32 v[4:5], s[10:11], v8, s12, v[4:5]
	s_cmp_lg_u32 s8, 0
	v_mov_b32_e32 v5, v6
	s_cbranch_scc1 .LBB29_42
; %bb.43:
	v_mov_b32_e32 v6, v5
	s_cbranch_execnz .LBB29_46
.LBB29_44:
	s_load_dwordx4 s[8:11], s[34:35], 0x4
	s_load_dwordx2 s[2:3], s[34:35], 0xc4
	s_cmp_lt_u32 s33, 2
	s_waitcnt lgkmcnt(0)
	v_mul_hi_u32 v3, s9, v1
	v_add_u32_e32 v3, v1, v3
	v_lshrrev_b32_e32 v3, s10, v3
	v_mul_lo_u32 v4, v3, s8
	v_sub_u32_e32 v1, v1, v4
	v_mul_lo_u32 v6, v1, s3
	v_mul_lo_u32 v4, v1, s2
	s_cbranch_scc1 .LBB29_46
; %bb.45:
	s_load_dwordx4 s[8:11], s[34:35], 0x10
	s_load_dwordx2 s[2:3], s[34:35], 0xcc
	s_waitcnt lgkmcnt(0)
	v_mul_hi_u32 v1, s9, v3
	v_add_u32_e32 v1, v3, v1
	v_lshrrev_b32_e32 v1, s10, v1
	v_mul_lo_u32 v1, v1, s8
	v_sub_u32_e32 v1, v3, v1
	v_mad_u64_u32 v[4:5], s[6:7], v1, s2, v[4:5]
	v_mad_u64_u32 v[6:7], s[2:3], v1, s3, v[6:7]
.LBB29_46:
	s_and_b64 vcc, exec, s[0:1]
	v_add_u32_e32 v1, 0x100, v24
	s_cbranch_vccnz .LBB29_53
; %bb.47:
	s_mov_b32 s2, 0
	s_cmp_lg_u32 s33, 0
	v_mov_b32_e32 v10, 0
	v_mov_b32_e32 v8, 0
	s_cbranch_scc0 .LBB29_52
; %bb.48:
	s_min_u32 s30, s58, 15
	s_add_i32 s30, s30, 1
	s_cmp_eq_u32 s58, 2
	s_cbranch_scc1 .LBB29_54
; %bb.49:
	s_add_u32 s6, s34, 0xc4
	s_addc_u32 s7, s35, 0
	s_and_b32 s2, s30, 28
	s_mov_b32 s3, 0
	v_mov_b32_e32 v8, 0
	s_mov_b64 s[28:29], s[34:35]
	v_mov_b32_e32 v3, v1
	v_mov_b32_e32 v10, 0
.LBB29_50:                              ; =>This Inner Loop Header: Depth=1
	s_load_dwordx8 s[16:23], s[28:29], 0x4
	s_load_dwordx4 s[24:27], s[28:29], 0x24
	s_load_dwordx8 s[8:15], s[6:7], 0x0
	s_add_u32 s28, s28, 48
	s_addc_u32 s29, s29, 0
	s_waitcnt lgkmcnt(0)
	v_mul_hi_u32 v5, s17, v3
	v_add_u32_e32 v5, v3, v5
	v_lshrrev_b32_e32 v5, s18, v5
	v_mul_lo_u32 v7, v5, s16
	v_mul_hi_u32 v9, s20, v5
	v_sub_u32_e32 v3, v3, v7
	v_add_u32_e32 v7, v5, v9
	v_lshrrev_b32_e32 v7, s21, v7
	v_mul_lo_u32 v11, v7, s19
	v_mul_hi_u32 v12, s23, v7
	v_sub_u32_e32 v5, v5, v11
	v_add_u32_e32 v11, v7, v12
	v_mul_lo_u32 v9, v3, s9
	v_mul_lo_u32 v3, v3, s8
	;; [unrolled: 1-line block ×4, first 2 shown]
	v_lshrrev_b32_e32 v11, s24, v11
	v_add3_u32 v5, v3, v8, v5
	v_add3_u32 v8, v9, v10, v12
	v_mul_lo_u32 v3, v11, s22
	v_mul_hi_u32 v9, s26, v11
	v_sub_u32_e32 v3, v7, v3
	v_add_u32_e32 v7, v11, v9
	v_mul_lo_u32 v9, v3, s12
	v_mul_lo_u32 v10, v3, s13
	v_lshrrev_b32_e32 v3, s27, v7
	s_add_i32 s3, s3, 4
	v_mul_lo_u32 v7, v3, s25
	s_add_u32 s6, s6, 32
	v_sub_u32_e32 v7, v11, v7
	s_addc_u32 s7, s7, 0
	v_mul_lo_u32 v11, v7, s14
	v_mul_lo_u32 v7, v7, s15
	s_cmp_lg_u32 s2, s3
	v_add3_u32 v10, v10, v8, v7
	v_add3_u32 v8, v9, v5, v11
	s_cbranch_scc1 .LBB29_50
; %bb.51:
	v_mov_b32_e32 v9, v10
	s_and_b32 s8, s30, 3
	s_cmp_eq_u32 s8, 0
	s_cbranch_scc0 .LBB29_55
.LBB29_52:
	s_cbranch_execz .LBB29_58
	s_branch .LBB29_60
.LBB29_53:
                                        ; implicit-def: $vgpr10
                                        ; implicit-def: $vgpr8
	s_branch .LBB29_58
.LBB29_54:
	s_mov_b32 s3, s2
	v_pk_mov_b32 v[8:9], s[2:3], s[2:3] op_sel:[0,1]
                                        ; implicit-def: $vgpr10
	v_mov_b32_e32 v3, v1
	s_and_b32 s8, s30, 3
	s_cmp_eq_u32 s8, 0
	s_cbranch_scc1 .LBB29_52
.LBB29_55:
	s_lshl_b32 s3, s2, 3
	s_add_u32 s3, s3, s34
	s_addc_u32 s7, 0, s35
	s_add_u32 s6, s3, 0xc4
	s_addc_u32 s7, s7, 0
	s_mul_i32 s2, s2, 12
	s_add_u32 s2, s34, s2
	s_addc_u32 s3, 0, s35
.LBB29_56:                              ; =>This Inner Loop Header: Depth=1
	s_load_dwordx2 s[10:11], s[2:3], 0x4
	s_load_dword s9, s[2:3], 0xc
	s_load_dwordx2 s[12:13], s[6:7], 0x0
	s_add_u32 s2, s2, 12
	s_addc_u32 s3, s3, 0
	s_waitcnt lgkmcnt(0)
	v_mul_hi_u32 v5, s11, v3
	v_add_u32_e32 v5, v3, v5
	v_lshrrev_b32_e32 v5, s9, v5
	v_mul_lo_u32 v7, v5, s10
	v_mov_b32_e32 v10, v9
	s_add_u32 s6, s6, 8
	v_sub_u32_e32 v7, v3, v7
	s_addc_u32 s7, s7, 0
	s_add_i32 s8, s8, -1
	v_mad_u64_u32 v[10:11], s[10:11], v7, s13, v[10:11]
	v_mad_u64_u32 v[8:9], s[10:11], v7, s12, v[8:9]
	s_cmp_lg_u32 s8, 0
	v_mov_b32_e32 v3, v5
	v_mov_b32_e32 v9, v10
	s_cbranch_scc1 .LBB29_56
; %bb.57:
	v_mov_b32_e32 v10, v9
	s_cbranch_execnz .LBB29_60
.LBB29_58:
	s_load_dwordx4 s[8:11], s[34:35], 0x4
	s_load_dwordx2 s[2:3], s[34:35], 0xc4
	s_cmp_lt_u32 s33, 2
	s_waitcnt lgkmcnt(0)
	v_mul_hi_u32 v3, s9, v1
	v_add_u32_e32 v3, v1, v3
	v_lshrrev_b32_e32 v3, s10, v3
	v_mul_lo_u32 v5, v3, s8
	v_sub_u32_e32 v1, v1, v5
	v_mul_lo_u32 v10, v1, s3
	v_mul_lo_u32 v8, v1, s2
	s_cbranch_scc1 .LBB29_60
; %bb.59:
	s_load_dwordx4 s[8:11], s[34:35], 0x10
	s_load_dwordx2 s[2:3], s[34:35], 0xcc
	s_waitcnt lgkmcnt(0)
	v_mul_hi_u32 v1, s9, v3
	v_add_u32_e32 v1, v3, v1
	v_lshrrev_b32_e32 v1, s10, v1
	v_mul_lo_u32 v1, v1, s8
	v_sub_u32_e32 v1, v3, v1
	v_mad_u64_u32 v[8:9], s[6:7], v1, s2, v[8:9]
	v_mad_u64_u32 v[10:11], s[2:3], v1, s3, v[10:11]
.LBB29_60:
	s_and_b64 vcc, exec, s[0:1]
	v_add_u32_e32 v1, 0x180, v24
	s_cbranch_vccnz .LBB29_67
; %bb.61:
	s_mov_b32 s2, 0
	s_cmp_lg_u32 s33, 0
	v_mov_b32_e32 v14, 0
	v_mov_b32_e32 v12, 0
	s_cbranch_scc0 .LBB29_66
; %bb.62:
	s_min_u32 s30, s58, 15
	s_add_i32 s30, s30, 1
	s_cmp_eq_u32 s58, 2
	s_cbranch_scc1 .LBB29_68
; %bb.63:
	s_add_u32 s6, s34, 0xc4
	s_addc_u32 s7, s35, 0
	s_and_b32 s2, s30, 28
	s_mov_b32 s3, 0
	v_mov_b32_e32 v12, 0
	s_mov_b64 s[28:29], s[34:35]
	v_mov_b32_e32 v3, v1
	v_mov_b32_e32 v14, 0
.LBB29_64:                              ; =>This Inner Loop Header: Depth=1
	s_load_dwordx8 s[16:23], s[28:29], 0x4
	s_load_dwordx4 s[24:27], s[28:29], 0x24
	s_load_dwordx8 s[8:15], s[6:7], 0x0
	s_add_u32 s28, s28, 48
	s_addc_u32 s29, s29, 0
	s_waitcnt lgkmcnt(0)
	v_mul_hi_u32 v5, s17, v3
	v_add_u32_e32 v5, v3, v5
	v_lshrrev_b32_e32 v5, s18, v5
	v_mul_lo_u32 v7, v5, s16
	v_mul_hi_u32 v9, s20, v5
	v_sub_u32_e32 v3, v3, v7
	v_add_u32_e32 v7, v5, v9
	v_lshrrev_b32_e32 v7, s21, v7
	v_mul_lo_u32 v11, v7, s19
	v_mul_hi_u32 v13, s23, v7
	v_sub_u32_e32 v5, v5, v11
	v_add_u32_e32 v11, v7, v13
	v_mul_lo_u32 v9, v3, s9
	v_mul_lo_u32 v3, v3, s8
	v_mul_lo_u32 v13, v5, s11
	v_mul_lo_u32 v5, v5, s10
	v_lshrrev_b32_e32 v11, s24, v11
	v_add3_u32 v5, v3, v12, v5
	v_mul_lo_u32 v3, v11, s22
	v_mul_hi_u32 v12, s26, v11
	v_sub_u32_e32 v3, v7, v3
	v_add_u32_e32 v7, v11, v12
	v_add3_u32 v9, v9, v14, v13
	v_mul_lo_u32 v12, v3, s12
	v_mul_lo_u32 v13, v3, s13
	v_lshrrev_b32_e32 v3, s27, v7
	s_add_i32 s3, s3, 4
	v_mul_lo_u32 v7, v3, s25
	s_add_u32 s6, s6, 32
	v_sub_u32_e32 v7, v11, v7
	s_addc_u32 s7, s7, 0
	v_mul_lo_u32 v11, v7, s14
	v_mul_lo_u32 v7, v7, s15
	s_cmp_lg_u32 s2, s3
	v_add3_u32 v14, v13, v9, v7
	v_add3_u32 v12, v12, v5, v11
	s_cbranch_scc1 .LBB29_64
; %bb.65:
	v_mov_b32_e32 v13, v14
	s_and_b32 s8, s30, 3
	s_cmp_eq_u32 s8, 0
	s_cbranch_scc0 .LBB29_69
.LBB29_66:
	s_cbranch_execz .LBB29_72
	s_branch .LBB29_74
.LBB29_67:
                                        ; implicit-def: $vgpr14
                                        ; implicit-def: $vgpr12
	s_branch .LBB29_72
.LBB29_68:
	s_mov_b32 s3, s2
	v_pk_mov_b32 v[12:13], s[2:3], s[2:3] op_sel:[0,1]
                                        ; implicit-def: $vgpr14
	v_mov_b32_e32 v3, v1
	s_and_b32 s8, s30, 3
	s_cmp_eq_u32 s8, 0
	s_cbranch_scc1 .LBB29_66
.LBB29_69:
	s_lshl_b32 s3, s2, 3
	s_add_u32 s3, s3, s34
	s_addc_u32 s7, 0, s35
	s_add_u32 s6, s3, 0xc4
	s_addc_u32 s7, s7, 0
	s_mul_i32 s2, s2, 12
	s_add_u32 s2, s34, s2
	s_addc_u32 s3, 0, s35
.LBB29_70:                              ; =>This Inner Loop Header: Depth=1
	s_load_dwordx2 s[10:11], s[2:3], 0x4
	s_load_dword s9, s[2:3], 0xc
	s_load_dwordx2 s[12:13], s[6:7], 0x0
	s_add_u32 s2, s2, 12
	s_addc_u32 s3, s3, 0
	s_waitcnt lgkmcnt(0)
	v_mul_hi_u32 v5, s11, v3
	v_add_u32_e32 v5, v3, v5
	v_lshrrev_b32_e32 v5, s9, v5
	v_mul_lo_u32 v7, v5, s10
	v_mov_b32_e32 v14, v13
	s_add_u32 s6, s6, 8
	v_sub_u32_e32 v7, v3, v7
	s_addc_u32 s7, s7, 0
	s_add_i32 s8, s8, -1
	v_mad_u64_u32 v[14:15], s[10:11], v7, s13, v[14:15]
	v_mad_u64_u32 v[12:13], s[10:11], v7, s12, v[12:13]
	s_cmp_lg_u32 s8, 0
	v_mov_b32_e32 v3, v5
	v_mov_b32_e32 v13, v14
	s_cbranch_scc1 .LBB29_70
; %bb.71:
	v_mov_b32_e32 v14, v13
	s_cbranch_execnz .LBB29_74
.LBB29_72:
	s_load_dwordx4 s[8:11], s[34:35], 0x4
	s_load_dwordx2 s[2:3], s[34:35], 0xc4
	s_cmp_lt_u32 s33, 2
	s_waitcnt lgkmcnt(0)
	v_mul_hi_u32 v3, s9, v1
	v_add_u32_e32 v3, v1, v3
	v_lshrrev_b32_e32 v3, s10, v3
	v_mul_lo_u32 v5, v3, s8
	v_sub_u32_e32 v1, v1, v5
	v_mul_lo_u32 v14, v1, s3
	v_mul_lo_u32 v12, v1, s2
	s_cbranch_scc1 .LBB29_74
; %bb.73:
	s_load_dwordx4 s[8:11], s[34:35], 0x10
	s_load_dwordx2 s[2:3], s[34:35], 0xcc
	s_waitcnt lgkmcnt(0)
	v_mul_hi_u32 v1, s9, v3
	v_add_u32_e32 v1, v3, v1
	v_lshrrev_b32_e32 v1, s10, v1
	v_mul_lo_u32 v1, v1, s8
	v_sub_u32_e32 v1, v3, v1
	v_mad_u64_u32 v[12:13], s[6:7], v1, s2, v[12:13]
	v_mad_u64_u32 v[14:15], s[2:3], v1, s3, v[14:15]
.LBB29_74:
	s_and_b64 vcc, exec, s[0:1]
	v_add_u32_e32 v1, 0x200, v24
	s_cbranch_vccnz .LBB29_81
; %bb.75:
	s_mov_b32 s2, 0
	s_cmp_lg_u32 s33, 0
	v_mov_b32_e32 v18, 0
	v_mov_b32_e32 v16, 0
	s_cbranch_scc0 .LBB29_80
; %bb.76:
	s_min_u32 s30, s58, 15
	s_add_i32 s30, s30, 1
	s_cmp_eq_u32 s58, 2
	s_cbranch_scc1 .LBB29_82
; %bb.77:
	s_add_u32 s6, s34, 0xc4
	s_addc_u32 s7, s35, 0
	s_and_b32 s2, s30, 28
	s_mov_b32 s3, 0
	v_mov_b32_e32 v16, 0
	s_mov_b64 s[28:29], s[34:35]
	v_mov_b32_e32 v3, v1
	v_mov_b32_e32 v18, 0
.LBB29_78:                              ; =>This Inner Loop Header: Depth=1
	s_load_dwordx8 s[16:23], s[28:29], 0x4
	s_load_dwordx4 s[24:27], s[28:29], 0x24
	s_load_dwordx8 s[8:15], s[6:7], 0x0
	s_add_u32 s28, s28, 48
	s_addc_u32 s29, s29, 0
	s_waitcnt lgkmcnt(0)
	v_mul_hi_u32 v5, s17, v3
	v_add_u32_e32 v5, v3, v5
	v_lshrrev_b32_e32 v5, s18, v5
	v_mul_lo_u32 v7, v5, s16
	v_mul_hi_u32 v9, s20, v5
	v_sub_u32_e32 v3, v3, v7
	v_add_u32_e32 v7, v5, v9
	v_lshrrev_b32_e32 v7, s21, v7
	v_mul_lo_u32 v11, v7, s19
	v_mul_hi_u32 v13, s23, v7
	v_sub_u32_e32 v5, v5, v11
	v_add_u32_e32 v11, v7, v13
	v_mul_lo_u32 v9, v3, s9
	v_mul_lo_u32 v3, v3, s8
	;; [unrolled: 1-line block ×4, first 2 shown]
	v_lshrrev_b32_e32 v11, s24, v11
	v_add3_u32 v5, v3, v16, v5
	v_add3_u32 v9, v9, v18, v13
	v_mul_lo_u32 v3, v11, s22
	v_mul_hi_u32 v13, s26, v11
	v_sub_u32_e32 v3, v7, v3
	v_add_u32_e32 v7, v11, v13
	v_mul_lo_u32 v13, v3, s12
	v_mul_lo_u32 v15, v3, s13
	v_lshrrev_b32_e32 v3, s27, v7
	s_add_i32 s3, s3, 4
	v_mul_lo_u32 v7, v3, s25
	s_add_u32 s6, s6, 32
	v_sub_u32_e32 v7, v11, v7
	s_addc_u32 s7, s7, 0
	v_mul_lo_u32 v11, v7, s14
	v_mul_lo_u32 v7, v7, s15
	s_cmp_lg_u32 s2, s3
	v_add3_u32 v18, v15, v9, v7
	v_add3_u32 v16, v13, v5, v11
	s_cbranch_scc1 .LBB29_78
; %bb.79:
	v_mov_b32_e32 v17, v18
	s_and_b32 s8, s30, 3
	s_cmp_eq_u32 s8, 0
	s_cbranch_scc0 .LBB29_83
.LBB29_80:
	s_cbranch_execz .LBB29_86
	s_branch .LBB29_88
.LBB29_81:
                                        ; implicit-def: $vgpr18
                                        ; implicit-def: $vgpr16
	s_branch .LBB29_86
.LBB29_82:
	s_mov_b32 s3, s2
	v_pk_mov_b32 v[16:17], s[2:3], s[2:3] op_sel:[0,1]
                                        ; implicit-def: $vgpr18
	v_mov_b32_e32 v3, v1
	s_and_b32 s8, s30, 3
	s_cmp_eq_u32 s8, 0
	s_cbranch_scc1 .LBB29_80
.LBB29_83:
	s_lshl_b32 s3, s2, 3
	s_add_u32 s3, s3, s34
	s_addc_u32 s7, 0, s35
	s_add_u32 s6, s3, 0xc4
	s_addc_u32 s7, s7, 0
	s_mul_i32 s2, s2, 12
	s_add_u32 s2, s34, s2
	s_addc_u32 s3, 0, s35
.LBB29_84:                              ; =>This Inner Loop Header: Depth=1
	s_load_dwordx2 s[10:11], s[2:3], 0x4
	s_load_dword s9, s[2:3], 0xc
	s_load_dwordx2 s[12:13], s[6:7], 0x0
	s_add_u32 s2, s2, 12
	s_addc_u32 s3, s3, 0
	s_waitcnt lgkmcnt(0)
	v_mul_hi_u32 v5, s11, v3
	v_add_u32_e32 v5, v3, v5
	v_lshrrev_b32_e32 v5, s9, v5
	v_mul_lo_u32 v7, v5, s10
	v_mov_b32_e32 v18, v17
	s_add_u32 s6, s6, 8
	v_sub_u32_e32 v7, v3, v7
	s_addc_u32 s7, s7, 0
	s_add_i32 s8, s8, -1
	v_mad_u64_u32 v[18:19], s[10:11], v7, s13, v[18:19]
	v_mad_u64_u32 v[16:17], s[10:11], v7, s12, v[16:17]
	s_cmp_lg_u32 s8, 0
	v_mov_b32_e32 v3, v5
	v_mov_b32_e32 v17, v18
	s_cbranch_scc1 .LBB29_84
; %bb.85:
	v_mov_b32_e32 v18, v17
	s_cbranch_execnz .LBB29_88
.LBB29_86:
	s_load_dwordx4 s[8:11], s[34:35], 0x4
	s_load_dwordx2 s[2:3], s[34:35], 0xc4
	s_cmp_lt_u32 s33, 2
	s_waitcnt lgkmcnt(0)
	v_mul_hi_u32 v3, s9, v1
	v_add_u32_e32 v3, v1, v3
	v_lshrrev_b32_e32 v3, s10, v3
	v_mul_lo_u32 v5, v3, s8
	v_sub_u32_e32 v1, v1, v5
	v_mul_lo_u32 v18, v1, s3
	v_mul_lo_u32 v16, v1, s2
	s_cbranch_scc1 .LBB29_88
; %bb.87:
	s_load_dwordx4 s[8:11], s[34:35], 0x10
	s_load_dwordx2 s[2:3], s[34:35], 0xcc
	s_waitcnt lgkmcnt(0)
	v_mul_hi_u32 v1, s9, v3
	v_add_u32_e32 v1, v3, v1
	v_lshrrev_b32_e32 v1, s10, v1
	v_mul_lo_u32 v1, v1, s8
	v_sub_u32_e32 v1, v3, v1
	v_mad_u64_u32 v[16:17], s[6:7], v1, s2, v[16:17]
	v_mad_u64_u32 v[18:19], s[2:3], v1, s3, v[18:19]
.LBB29_88:
	s_and_b64 vcc, exec, s[0:1]
	v_add_u32_e32 v1, 0x280, v24
	s_cbranch_vccnz .LBB29_95
; %bb.89:
	s_mov_b32 s2, 0
	s_cmp_lg_u32 s33, 0
	v_mov_b32_e32 v22, 0
	v_mov_b32_e32 v20, 0
	s_cbranch_scc0 .LBB29_94
; %bb.90:
	s_min_u32 s30, s58, 15
	s_add_i32 s30, s30, 1
	s_cmp_eq_u32 s58, 2
	s_cbranch_scc1 .LBB29_96
; %bb.91:
	s_add_u32 s6, s34, 0xc4
	s_addc_u32 s7, s35, 0
	s_and_b32 s2, s30, 28
	s_mov_b32 s3, 0
	v_mov_b32_e32 v20, 0
	s_mov_b64 s[28:29], s[34:35]
	v_mov_b32_e32 v3, v1
	v_mov_b32_e32 v22, 0
.LBB29_92:                              ; =>This Inner Loop Header: Depth=1
	s_load_dwordx8 s[16:23], s[28:29], 0x4
	s_load_dwordx4 s[24:27], s[28:29], 0x24
	s_load_dwordx8 s[8:15], s[6:7], 0x0
	s_add_u32 s28, s28, 48
	s_addc_u32 s29, s29, 0
	s_waitcnt lgkmcnt(0)
	v_mul_hi_u32 v5, s17, v3
	v_add_u32_e32 v5, v3, v5
	v_lshrrev_b32_e32 v5, s18, v5
	v_mul_lo_u32 v7, v5, s16
	v_mul_hi_u32 v9, s20, v5
	v_sub_u32_e32 v3, v3, v7
	v_add_u32_e32 v7, v5, v9
	v_lshrrev_b32_e32 v7, s21, v7
	v_mul_lo_u32 v11, v7, s19
	v_mul_hi_u32 v13, s23, v7
	v_sub_u32_e32 v5, v5, v11
	v_add_u32_e32 v11, v7, v13
	v_mul_lo_u32 v9, v3, s9
	v_mul_lo_u32 v3, v3, s8
	;; [unrolled: 1-line block ×4, first 2 shown]
	v_lshrrev_b32_e32 v11, s24, v11
	v_add3_u32 v5, v3, v20, v5
	v_add3_u32 v9, v9, v22, v13
	v_mul_lo_u32 v3, v11, s22
	v_mul_hi_u32 v13, s26, v11
	v_sub_u32_e32 v3, v7, v3
	v_add_u32_e32 v7, v11, v13
	v_mul_lo_u32 v13, v3, s12
	v_mul_lo_u32 v15, v3, s13
	v_lshrrev_b32_e32 v3, s27, v7
	s_add_i32 s3, s3, 4
	v_mul_lo_u32 v7, v3, s25
	s_add_u32 s6, s6, 32
	v_sub_u32_e32 v7, v11, v7
	s_addc_u32 s7, s7, 0
	v_mul_lo_u32 v11, v7, s14
	v_mul_lo_u32 v7, v7, s15
	s_cmp_lg_u32 s2, s3
	v_add3_u32 v22, v15, v9, v7
	v_add3_u32 v20, v13, v5, v11
	s_cbranch_scc1 .LBB29_92
; %bb.93:
	v_mov_b32_e32 v21, v22
	s_and_b32 s8, s30, 3
	s_cmp_eq_u32 s8, 0
	s_cbranch_scc0 .LBB29_97
.LBB29_94:
	s_cbranch_execz .LBB29_100
	s_branch .LBB29_102
.LBB29_95:
                                        ; implicit-def: $vgpr22
                                        ; implicit-def: $vgpr20
	s_branch .LBB29_100
.LBB29_96:
	s_mov_b32 s3, s2
	v_pk_mov_b32 v[20:21], s[2:3], s[2:3] op_sel:[0,1]
                                        ; implicit-def: $vgpr22
	v_mov_b32_e32 v3, v1
	s_and_b32 s8, s30, 3
	s_cmp_eq_u32 s8, 0
	s_cbranch_scc1 .LBB29_94
.LBB29_97:
	s_lshl_b32 s3, s2, 3
	s_add_u32 s3, s3, s34
	s_addc_u32 s7, 0, s35
	s_add_u32 s6, s3, 0xc4
	s_addc_u32 s7, s7, 0
	s_mul_i32 s2, s2, 12
	s_add_u32 s2, s34, s2
	s_addc_u32 s3, 0, s35
.LBB29_98:                              ; =>This Inner Loop Header: Depth=1
	s_load_dwordx2 s[10:11], s[2:3], 0x4
	s_load_dword s9, s[2:3], 0xc
	s_load_dwordx2 s[12:13], s[6:7], 0x0
	s_add_u32 s2, s2, 12
	s_addc_u32 s3, s3, 0
	s_waitcnt lgkmcnt(0)
	v_mul_hi_u32 v5, s11, v3
	v_add_u32_e32 v5, v3, v5
	v_lshrrev_b32_e32 v5, s9, v5
	v_mul_lo_u32 v7, v5, s10
	v_mov_b32_e32 v22, v21
	s_add_u32 s6, s6, 8
	v_sub_u32_e32 v7, v3, v7
	s_addc_u32 s7, s7, 0
	s_add_i32 s8, s8, -1
	v_mad_u64_u32 v[22:23], s[10:11], v7, s13, v[22:23]
	v_mad_u64_u32 v[20:21], s[10:11], v7, s12, v[20:21]
	s_cmp_lg_u32 s8, 0
	v_mov_b32_e32 v3, v5
	v_mov_b32_e32 v21, v22
	s_cbranch_scc1 .LBB29_98
; %bb.99:
	v_mov_b32_e32 v22, v21
	s_cbranch_execnz .LBB29_102
.LBB29_100:
	s_load_dwordx4 s[8:11], s[34:35], 0x4
	s_load_dwordx2 s[2:3], s[34:35], 0xc4
	s_cmp_lt_u32 s33, 2
	s_waitcnt lgkmcnt(0)
	v_mul_hi_u32 v3, s9, v1
	v_add_u32_e32 v3, v1, v3
	v_lshrrev_b32_e32 v3, s10, v3
	v_mul_lo_u32 v5, v3, s8
	v_sub_u32_e32 v1, v1, v5
	v_mul_lo_u32 v22, v1, s3
	v_mul_lo_u32 v20, v1, s2
	s_cbranch_scc1 .LBB29_102
; %bb.101:
	s_load_dwordx4 s[8:11], s[34:35], 0x10
	s_load_dwordx2 s[2:3], s[34:35], 0xcc
	s_waitcnt lgkmcnt(0)
	v_mul_hi_u32 v1, s9, v3
	v_add_u32_e32 v1, v3, v1
	v_lshrrev_b32_e32 v1, s10, v1
	v_mul_lo_u32 v1, v1, s8
	v_sub_u32_e32 v1, v3, v1
	v_mad_u64_u32 v[20:21], s[6:7], v1, s2, v[20:21]
	v_mad_u64_u32 v[22:23], s[2:3], v1, s3, v[22:23]
.LBB29_102:
	s_and_b64 vcc, exec, s[0:1]
	v_add_u32_e32 v1, 0x300, v24
	s_cbranch_vccnz .LBB29_109
; %bb.103:
	s_mov_b32 s2, 0
	s_cmp_lg_u32 s33, 0
	v_mov_b32_e32 v26, 0
	v_mov_b32_e32 v24, 0
	s_cbranch_scc0 .LBB29_108
; %bb.104:
	s_min_u32 s30, s58, 15
	s_add_i32 s30, s30, 1
	s_cmp_eq_u32 s58, 2
	s_cbranch_scc1 .LBB29_110
; %bb.105:
	s_add_u32 s6, s34, 0xc4
	s_addc_u32 s7, s35, 0
	s_and_b32 s2, s30, 28
	s_mov_b32 s3, 0
	v_mov_b32_e32 v24, 0
	s_mov_b64 s[28:29], s[34:35]
	v_mov_b32_e32 v3, v1
	v_mov_b32_e32 v26, 0
.LBB29_106:                             ; =>This Inner Loop Header: Depth=1
	s_load_dwordx8 s[16:23], s[28:29], 0x4
	s_load_dwordx4 s[24:27], s[28:29], 0x24
	s_load_dwordx8 s[8:15], s[6:7], 0x0
	s_add_u32 s28, s28, 48
	s_addc_u32 s29, s29, 0
	s_waitcnt lgkmcnt(0)
	v_mul_hi_u32 v5, s17, v3
	v_add_u32_e32 v5, v3, v5
	v_lshrrev_b32_e32 v5, s18, v5
	v_mul_lo_u32 v7, v5, s16
	v_mul_hi_u32 v9, s20, v5
	v_sub_u32_e32 v3, v3, v7
	v_add_u32_e32 v7, v5, v9
	v_lshrrev_b32_e32 v7, s21, v7
	v_mul_lo_u32 v11, v7, s19
	v_mul_hi_u32 v13, s23, v7
	v_sub_u32_e32 v5, v5, v11
	v_add_u32_e32 v11, v7, v13
	v_mul_lo_u32 v9, v3, s9
	v_mul_lo_u32 v3, v3, s8
	;; [unrolled: 1-line block ×4, first 2 shown]
	v_lshrrev_b32_e32 v11, s24, v11
	v_add3_u32 v5, v3, v24, v5
	v_add3_u32 v9, v9, v26, v13
	v_mul_lo_u32 v3, v11, s22
	v_mul_hi_u32 v13, s26, v11
	v_sub_u32_e32 v3, v7, v3
	v_add_u32_e32 v7, v11, v13
	v_mul_lo_u32 v13, v3, s12
	v_mul_lo_u32 v15, v3, s13
	v_lshrrev_b32_e32 v3, s27, v7
	s_add_i32 s3, s3, 4
	v_mul_lo_u32 v7, v3, s25
	s_add_u32 s6, s6, 32
	v_sub_u32_e32 v7, v11, v7
	s_addc_u32 s7, s7, 0
	v_mul_lo_u32 v11, v7, s14
	v_mul_lo_u32 v7, v7, s15
	s_cmp_lg_u32 s2, s3
	v_add3_u32 v26, v15, v9, v7
	v_add3_u32 v24, v13, v5, v11
	s_cbranch_scc1 .LBB29_106
; %bb.107:
	v_mov_b32_e32 v25, v26
	s_and_b32 s8, s30, 3
	s_cmp_eq_u32 s8, 0
	s_cbranch_scc0 .LBB29_111
.LBB29_108:
	s_cbranch_execz .LBB29_114
	s_branch .LBB29_116
.LBB29_109:
                                        ; implicit-def: $vgpr26
                                        ; implicit-def: $vgpr24
	s_branch .LBB29_114
.LBB29_110:
	s_mov_b32 s3, s2
	v_pk_mov_b32 v[24:25], s[2:3], s[2:3] op_sel:[0,1]
                                        ; implicit-def: $vgpr26
	v_mov_b32_e32 v3, v1
	s_and_b32 s8, s30, 3
	s_cmp_eq_u32 s8, 0
	s_cbranch_scc1 .LBB29_108
.LBB29_111:
	s_lshl_b32 s3, s2, 3
	s_add_u32 s3, s3, s34
	s_addc_u32 s7, 0, s35
	s_add_u32 s6, s3, 0xc4
	s_addc_u32 s7, s7, 0
	s_mul_i32 s2, s2, 12
	s_add_u32 s2, s34, s2
	s_addc_u32 s3, 0, s35
.LBB29_112:                             ; =>This Inner Loop Header: Depth=1
	s_load_dwordx2 s[10:11], s[2:3], 0x4
	s_load_dword s9, s[2:3], 0xc
	s_load_dwordx2 s[12:13], s[6:7], 0x0
	s_add_u32 s2, s2, 12
	s_addc_u32 s3, s3, 0
	s_waitcnt lgkmcnt(0)
	v_mul_hi_u32 v5, s11, v3
	v_add_u32_e32 v5, v3, v5
	v_lshrrev_b32_e32 v5, s9, v5
	v_mul_lo_u32 v7, v5, s10
	v_mov_b32_e32 v26, v25
	s_add_u32 s6, s6, 8
	v_sub_u32_e32 v7, v3, v7
	s_addc_u32 s7, s7, 0
	s_add_i32 s8, s8, -1
	v_mad_u64_u32 v[26:27], s[10:11], v7, s13, v[26:27]
	v_mad_u64_u32 v[24:25], s[10:11], v7, s12, v[24:25]
	s_cmp_lg_u32 s8, 0
	v_mov_b32_e32 v3, v5
	v_mov_b32_e32 v25, v26
	s_cbranch_scc1 .LBB29_112
; %bb.113:
	v_mov_b32_e32 v26, v25
	s_cbranch_execnz .LBB29_116
.LBB29_114:
	s_load_dwordx4 s[8:11], s[34:35], 0x4
	s_load_dwordx2 s[2:3], s[34:35], 0xc4
	s_cmp_lt_u32 s33, 2
	s_waitcnt lgkmcnt(0)
	v_mul_hi_u32 v3, s9, v1
	v_add_u32_e32 v3, v1, v3
	v_lshrrev_b32_e32 v3, s10, v3
	v_mul_lo_u32 v5, v3, s8
	v_sub_u32_e32 v1, v1, v5
	v_mul_lo_u32 v26, v1, s3
	v_mul_lo_u32 v24, v1, s2
	s_cbranch_scc1 .LBB29_116
; %bb.115:
	s_load_dwordx4 s[8:11], s[34:35], 0x10
	s_load_dwordx2 s[2:3], s[34:35], 0xcc
	s_waitcnt lgkmcnt(0)
	v_mul_hi_u32 v1, s9, v3
	v_add_u32_e32 v1, v3, v1
	v_lshrrev_b32_e32 v1, s10, v1
	v_mul_lo_u32 v1, v1, s8
	v_sub_u32_e32 v1, v3, v1
	v_mad_u64_u32 v[24:25], s[6:7], v1, s2, v[24:25]
	v_mad_u64_u32 v[26:27], s[2:3], v1, s3, v[26:27]
.LBB29_116:
	s_and_b64 vcc, exec, s[0:1]
	s_cbranch_vccnz .LBB29_123
; %bb.117:
	s_mov_b32 s6, 0
	s_cmp_lg_u32 s33, 0
	v_mov_b32_e32 v30, 0
	v_mov_b32_e32 v28, 0
	s_cbranch_scc0 .LBB29_122
; %bb.118:
	s_min_u32 s28, s58, 15
	s_add_i32 s28, s28, 1
	s_cmp_eq_u32 s58, 2
	s_cbranch_scc1 .LBB29_124
; %bb.119:
	s_add_u32 s24, s34, 0xc4
	s_addc_u32 s25, s35, 0
	s_and_b32 s6, s28, 28
	s_mov_b32 s7, 0
	v_mov_b32_e32 v28, 0
	s_mov_b64 s[26:27], s[34:35]
	v_mov_b32_e32 v1, v31
	v_mov_b32_e32 v30, 0
.LBB29_120:                             ; =>This Inner Loop Header: Depth=1
	s_load_dwordx8 s[16:23], s[26:27], 0x4
	s_load_dwordx4 s[0:3], s[26:27], 0x24
	s_load_dwordx8 s[8:15], s[24:25], 0x0
	s_add_u32 s26, s26, 48
	s_addc_u32 s27, s27, 0
	s_waitcnt lgkmcnt(0)
	v_mul_hi_u32 v3, s17, v1
	v_add_u32_e32 v3, v1, v3
	v_lshrrev_b32_e32 v3, s18, v3
	v_mul_lo_u32 v5, v3, s16
	v_mul_hi_u32 v7, s20, v3
	v_sub_u32_e32 v1, v1, v5
	v_add_u32_e32 v5, v3, v7
	v_lshrrev_b32_e32 v5, s21, v5
	v_mul_lo_u32 v9, v5, s19
	v_mul_hi_u32 v11, s23, v5
	v_sub_u32_e32 v3, v3, v9
	v_add_u32_e32 v9, v5, v11
	v_mul_lo_u32 v7, v1, s9
	v_mul_lo_u32 v1, v1, s8
	v_mul_lo_u32 v11, v3, s11
	v_mul_lo_u32 v3, v3, s10
	v_lshrrev_b32_e32 v9, s0, v9
	v_add3_u32 v3, v1, v28, v3
	v_add3_u32 v7, v7, v30, v11
	v_mul_lo_u32 v1, v9, s22
	v_mul_hi_u32 v11, s2, v9
	v_sub_u32_e32 v1, v5, v1
	v_add_u32_e32 v5, v9, v11
	v_mul_lo_u32 v11, v1, s12
	v_mul_lo_u32 v13, v1, s13
	v_lshrrev_b32_e32 v1, s3, v5
	s_add_i32 s7, s7, 4
	v_mul_lo_u32 v5, v1, s1
	s_add_u32 s24, s24, 32
	v_sub_u32_e32 v5, v9, v5
	s_addc_u32 s25, s25, 0
	v_mul_lo_u32 v9, v5, s14
	v_mul_lo_u32 v5, v5, s15
	s_cmp_lg_u32 s6, s7
	v_add3_u32 v30, v13, v7, v5
	v_add3_u32 v28, v11, v3, v9
	s_cbranch_scc1 .LBB29_120
; %bb.121:
	v_mov_b32_e32 v29, v30
	s_and_b32 s7, s28, 3
	s_cmp_eq_u32 s7, 0
	s_cbranch_scc0 .LBB29_125
.LBB29_122:
	s_cbranch_execz .LBB29_128
	s_branch .LBB29_130
.LBB29_123:
                                        ; implicit-def: $vgpr30
                                        ; implicit-def: $vgpr28
	s_branch .LBB29_128
.LBB29_124:
	s_mov_b32 s7, s6
	v_pk_mov_b32 v[28:29], s[6:7], s[6:7] op_sel:[0,1]
                                        ; implicit-def: $vgpr30
	v_mov_b32_e32 v1, v31
	s_and_b32 s7, s28, 3
	s_cmp_eq_u32 s7, 0
	s_cbranch_scc1 .LBB29_122
.LBB29_125:
	s_lshl_b32 s0, s6, 3
	s_add_u32 s0, s0, s34
	s_addc_u32 s1, 0, s35
	s_add_u32 s0, s0, 0xc4
	s_addc_u32 s1, s1, 0
	s_mul_i32 s2, s6, 12
	s_add_u32 s2, s34, s2
	s_addc_u32 s3, 0, s35
.LBB29_126:                             ; =>This Inner Loop Header: Depth=1
	s_load_dwordx2 s[8:9], s[2:3], 0x4
	s_load_dword s6, s[2:3], 0xc
	s_load_dwordx2 s[10:11], s[0:1], 0x0
	s_add_u32 s2, s2, 12
	s_addc_u32 s3, s3, 0
	s_waitcnt lgkmcnt(0)
	v_mul_hi_u32 v3, s9, v1
	v_add_u32_e32 v3, v1, v3
	v_lshrrev_b32_e32 v3, s6, v3
	v_mul_lo_u32 v5, v3, s8
	v_mov_b32_e32 v30, v29
	s_add_u32 s0, s0, 8
	v_sub_u32_e32 v5, v1, v5
	s_addc_u32 s1, s1, 0
	s_add_i32 s7, s7, -1
	v_mad_u64_u32 v[32:33], s[8:9], v5, s11, v[30:31]
	v_mad_u64_u32 v[28:29], s[8:9], v5, s10, v[28:29]
	s_cmp_lg_u32 s7, 0
	v_mov_b32_e32 v1, v3
	v_mov_b32_e32 v29, v32
	s_cbranch_scc1 .LBB29_126
; %bb.127:
	v_mov_b32_e32 v30, v29
	s_cbranch_execnz .LBB29_130
.LBB29_128:
	s_load_dwordx4 s[0:3], s[34:35], 0x4
	s_load_dwordx2 s[6:7], s[34:35], 0xc4
	s_cmp_lt_u32 s33, 2
	s_waitcnt lgkmcnt(0)
	v_mul_hi_u32 v1, s1, v31
	v_add_u32_e32 v1, v31, v1
	v_lshrrev_b32_e32 v1, s2, v1
	v_mul_lo_u32 v3, v1, s0
	v_sub_u32_e32 v3, v31, v3
	v_mul_lo_u32 v30, v3, s7
	v_mul_lo_u32 v28, v3, s6
	s_cbranch_scc1 .LBB29_130
; %bb.129:
	s_load_dwordx4 s[0:3], s[34:35], 0x10
	s_load_dwordx2 s[6:7], s[34:35], 0xcc
	s_waitcnt lgkmcnt(0)
	v_mul_hi_u32 v3, s1, v1
	v_add_u32_e32 v3, v1, v3
	v_lshrrev_b32_e32 v3, s2, v3
	v_mul_lo_u32 v3, v3, s0
	v_sub_u32_e32 v1, v1, v3
	v_mad_u64_u32 v[28:29], s[0:1], v1, s6, v[28:29]
	v_mad_u64_u32 v[30:31], s[0:1], v1, s7, v[30:31]
.LBB29_130:
	s_load_dwordx4 s[0:3], s[34:35], 0x148
	s_load_dword s6, s[4:5], 0x160
	s_waitcnt lgkmcnt(0)
	global_load_ushort v1, v2, s[2:3]
	global_load_ushort v3, v6, s[2:3]
	;; [unrolled: 1-line block ×8, first 2 shown]
	v_mov_b32_e32 v2, 0x7fff
	s_lshr_b32 s2, s6, 16
	v_and_b32_e32 v2, s2, v2
	s_waitcnt vmcnt(7)
	v_and_b32_e32 v1, 0xffff8000, v1
	s_waitcnt vmcnt(6)
	;; [unrolled: 2-line block ×8, first 2 shown]
	v_and_b32_e32 v11, 0xffff8000, v15
	v_or_b32_e32 v1, v1, v2
	v_or_b32_e32 v3, v3, v2
	;; [unrolled: 1-line block ×8, first 2 shown]
	global_store_short v0, v1, s[0:1]
	global_store_short v4, v3, s[0:1]
	;; [unrolled: 1-line block ×8, first 2 shown]
	s_endpgm
.LBB29_131:
	s_mov_b32 s53, s52
	v_pk_mov_b32 v[0:1], s[52:53], s[52:53] op_sel:[0,1]
                                        ; implicit-def: $vgpr2
	v_mov_b32_e32 v3, v24
.LBB29_132:
	s_and_b32 s12, s61, 3
	s_cmp_eq_u32 s12, 0
	s_cbranch_scc1 .LBB29_136
; %bb.133:
	s_lshl_b32 s8, s52, 3
	s_add_u32 s8, s8, s34
	s_addc_u32 s9, s35, 0
	s_add_u32 s8, s8, 0xc4
	s_addc_u32 s9, s9, 0
	s_mul_i32 s10, s52, 12
	s_add_u32 s10, s34, s10
	s_addc_u32 s11, s35, 0
.LBB29_134:                             ; =>This Inner Loop Header: Depth=1
	s_load_dwordx2 s[14:15], s[10:11], 0x4
	s_load_dword s13, s[10:11], 0xc
	s_load_dwordx2 s[16:17], s[8:9], 0x0
	v_mov_b32_e32 v2, v1
	s_add_u32 s10, s10, 12
	s_waitcnt lgkmcnt(0)
	v_mul_hi_u32 v1, s15, v3
	v_add_u32_e32 v1, v3, v1
	v_lshrrev_b32_e32 v1, s13, v1
	s_addc_u32 s11, s11, 0
	v_mul_lo_u32 v5, v1, s14
	s_add_u32 s8, s8, 8
	v_sub_u32_e32 v5, v3, v5
	v_mov_b32_e32 v3, v1
	s_addc_u32 s9, s9, 0
	s_add_i32 s12, s12, -1
	v_mad_u64_u32 v[6:7], s[14:15], v5, s17, v[2:3]
	v_mad_u64_u32 v[0:1], s[14:15], v5, s16, v[0:1]
	s_cmp_lg_u32 s12, 0
	v_mov_b32_e32 v1, v6
	s_cbranch_scc1 .LBB29_134
; %bb.135:
	v_mov_b32_e32 v2, v1
.LBB29_136:
	s_cbranch_execnz .LBB29_139
.LBB29_137:
	v_mul_hi_u32 v0, s25, v24
	v_add_u32_e32 v0, v24, v0
	v_lshrrev_b32_e32 v1, s26, v0
	v_mul_lo_u32 v0, v1, s24
	v_sub_u32_e32 v0, v24, v0
	v_mul_lo_u32 v2, v0, s29
	s_andn2_b64 vcc, exec, s[44:45]
	v_mul_lo_u32 v0, v0, s28
	s_cbranch_vccnz .LBB29_139
; %bb.138:
	v_mul_hi_u32 v3, s42, v1
	v_add_u32_e32 v3, v1, v3
	v_lshrrev_b32_e32 v3, s43, v3
	v_mul_lo_u32 v3, v3, s27
	v_sub_u32_e32 v3, v1, v3
	v_mad_u64_u32 v[0:1], s[8:9], v3, s30, v[0:1]
	v_mad_u64_u32 v[2:3], s[8:9], v3, s31, v[2:3]
.LBB29_139:
	global_load_ushort v1, v2, s[2:3]
	v_add_u32_e32 v24, 0x80, v24
	s_waitcnt vmcnt(0)
	v_and_b32_e32 v1, 0xffff8000, v1
	v_or_b32_e32 v1, v1, v4
	global_store_short v0, v1, s[0:1]
	s_or_b64 exec, exec, s[50:51]
	v_cmp_gt_i32_e32 vcc, s59, v24
	s_and_saveexec_b64 s[50:51], vcc
	s_cbranch_execnz .LBB29_17
.LBB29_140:
	s_or_b64 exec, exec, s[50:51]
	v_cmp_gt_i32_e32 vcc, s59, v24
	s_and_saveexec_b64 s[50:51], vcc
	s_cbranch_execz .LBB29_157
.LBB29_141:
	s_andn2_b64 vcc, exec, s[6:7]
	s_cbranch_vccnz .LBB29_147
; %bb.142:
	s_mov_b32 s52, 0
	s_andn2_b64 vcc, exec, s[48:49]
	v_mov_b32_e32 v2, 0
	v_mov_b32_e32 v0, 0
	s_cbranch_vccnz .LBB29_170
; %bb.143:
	s_add_i32 s61, s60, 1
	s_cmp_eq_u32 s58, 2
	s_cbranch_scc1 .LBB29_165
; %bb.144:
	s_and_b32 s52, s61, 28
	s_mov_b32 s53, 0
	v_mov_b32_e32 v0, 0
	s_mov_b64 s[54:55], s[34:35]
	s_mov_b64 s[56:57], s[46:47]
	v_mov_b32_e32 v3, v24
	v_mov_b32_e32 v2, 0
.LBB29_145:                             ; =>This Inner Loop Header: Depth=1
	s_load_dwordx8 s[16:23], s[54:55], 0x4
	s_load_dwordx4 s[36:39], s[54:55], 0x24
	s_load_dwordx8 s[8:15], s[56:57], 0x0
	s_add_u32 s54, s54, 48
	s_addc_u32 s55, s55, 0
	s_waitcnt lgkmcnt(0)
	v_mul_hi_u32 v1, s17, v3
	v_add_u32_e32 v1, v3, v1
	v_lshrrev_b32_e32 v1, s18, v1
	v_mul_lo_u32 v5, v1, s16
	v_mul_hi_u32 v6, s20, v1
	v_sub_u32_e32 v3, v3, v5
	v_add_u32_e32 v5, v1, v6
	v_lshrrev_b32_e32 v5, s21, v5
	v_mul_lo_u32 v7, v5, s19
	v_mul_hi_u32 v8, s23, v5
	v_sub_u32_e32 v1, v1, v7
	v_add_u32_e32 v7, v5, v8
	v_mul_lo_u32 v6, v3, s9
	v_mul_lo_u32 v3, v3, s8
	;; [unrolled: 1-line block ×4, first 2 shown]
	v_lshrrev_b32_e32 v7, s36, v7
	v_add3_u32 v0, v3, v0, v1
	v_mul_hi_u32 v3, s38, v7
	v_add_u32_e32 v3, v7, v3
	v_lshrrev_b32_e32 v3, s39, v3
	s_add_i32 s53, s53, 4
	v_add3_u32 v1, v6, v2, v8
	v_mul_lo_u32 v2, v7, s22
	v_mul_lo_u32 v6, v3, s37
	s_add_u32 s56, s56, 32
	v_sub_u32_e32 v2, v5, v2
	v_sub_u32_e32 v6, v7, v6
	s_addc_u32 s57, s57, 0
	v_mul_lo_u32 v5, v2, s12
	v_mul_lo_u32 v2, v2, s13
	v_mul_lo_u32 v7, v6, s14
	v_mul_lo_u32 v6, v6, s15
	s_cmp_eq_u32 s52, s53
	v_add3_u32 v2, v2, v1, v6
	v_add3_u32 v0, v5, v0, v7
	s_cbranch_scc0 .LBB29_145
; %bb.146:
	v_mov_b32_e32 v1, v2
	s_branch .LBB29_166
.LBB29_147:
                                        ; implicit-def: $vgpr2
                                        ; implicit-def: $vgpr0
	s_branch .LBB29_171
.LBB29_148:
	s_mov_b32 s53, s52
	v_pk_mov_b32 v[0:1], s[52:53], s[52:53] op_sel:[0,1]
                                        ; implicit-def: $vgpr2
	v_mov_b32_e32 v3, v24
.LBB29_149:
	s_and_b32 s12, s61, 3
	s_cmp_eq_u32 s12, 0
	s_cbranch_scc1 .LBB29_153
; %bb.150:
	s_lshl_b32 s8, s52, 3
	s_add_u32 s8, s8, s34
	s_addc_u32 s9, s35, 0
	s_add_u32 s8, s8, 0xc4
	s_addc_u32 s9, s9, 0
	s_mul_i32 s10, s52, 12
	s_add_u32 s10, s34, s10
	s_addc_u32 s11, s35, 0
.LBB29_151:                             ; =>This Inner Loop Header: Depth=1
	s_load_dwordx2 s[14:15], s[10:11], 0x4
	s_load_dword s13, s[10:11], 0xc
	s_load_dwordx2 s[16:17], s[8:9], 0x0
	v_mov_b32_e32 v2, v1
	s_add_u32 s10, s10, 12
	s_waitcnt lgkmcnt(0)
	v_mul_hi_u32 v1, s15, v3
	v_add_u32_e32 v1, v3, v1
	v_lshrrev_b32_e32 v1, s13, v1
	s_addc_u32 s11, s11, 0
	v_mul_lo_u32 v5, v1, s14
	s_add_u32 s8, s8, 8
	v_sub_u32_e32 v5, v3, v5
	v_mov_b32_e32 v3, v1
	s_addc_u32 s9, s9, 0
	s_add_i32 s12, s12, -1
	v_mad_u64_u32 v[6:7], s[14:15], v5, s17, v[2:3]
	v_mad_u64_u32 v[0:1], s[14:15], v5, s16, v[0:1]
	s_cmp_lg_u32 s12, 0
	v_mov_b32_e32 v1, v6
	s_cbranch_scc1 .LBB29_151
; %bb.152:
	v_mov_b32_e32 v2, v1
.LBB29_153:
	s_cbranch_execnz .LBB29_156
.LBB29_154:
	v_mul_hi_u32 v0, s25, v24
	v_add_u32_e32 v0, v24, v0
	v_lshrrev_b32_e32 v1, s26, v0
	v_mul_lo_u32 v0, v1, s24
	v_sub_u32_e32 v0, v24, v0
	v_mul_lo_u32 v2, v0, s29
	s_andn2_b64 vcc, exec, s[44:45]
	v_mul_lo_u32 v0, v0, s28
	s_cbranch_vccnz .LBB29_156
; %bb.155:
	v_mul_hi_u32 v3, s42, v1
	v_add_u32_e32 v3, v1, v3
	v_lshrrev_b32_e32 v3, s43, v3
	v_mul_lo_u32 v3, v3, s27
	v_sub_u32_e32 v3, v1, v3
	v_mad_u64_u32 v[0:1], s[8:9], v3, s30, v[0:1]
	v_mad_u64_u32 v[2:3], s[8:9], v3, s31, v[2:3]
.LBB29_156:
	global_load_ushort v1, v2, s[2:3]
	v_add_u32_e32 v24, 0x80, v24
	s_waitcnt vmcnt(0)
	v_and_b32_e32 v1, 0xffff8000, v1
	v_or_b32_e32 v1, v1, v4
	global_store_short v0, v1, s[0:1]
	s_or_b64 exec, exec, s[50:51]
	v_cmp_gt_i32_e32 vcc, s59, v24
	s_and_saveexec_b64 s[50:51], vcc
	s_cbranch_execnz .LBB29_141
.LBB29_157:
	s_or_b64 exec, exec, s[50:51]
	v_cmp_gt_i32_e32 vcc, s59, v24
	s_and_saveexec_b64 s[50:51], vcc
	s_cbranch_execz .LBB29_174
.LBB29_158:
	s_andn2_b64 vcc, exec, s[6:7]
	s_cbranch_vccnz .LBB29_164
; %bb.159:
	s_mov_b32 s52, 0
	s_andn2_b64 vcc, exec, s[48:49]
	v_mov_b32_e32 v2, 0
	v_mov_b32_e32 v0, 0
	s_cbranch_vccnz .LBB29_187
; %bb.160:
	s_add_i32 s61, s60, 1
	s_cmp_eq_u32 s58, 2
	s_cbranch_scc1 .LBB29_182
; %bb.161:
	s_and_b32 s52, s61, 28
	s_mov_b32 s53, 0
	v_mov_b32_e32 v0, 0
	s_mov_b64 s[54:55], s[34:35]
	s_mov_b64 s[56:57], s[46:47]
	v_mov_b32_e32 v3, v24
	v_mov_b32_e32 v2, 0
.LBB29_162:                             ; =>This Inner Loop Header: Depth=1
	s_load_dwordx8 s[16:23], s[54:55], 0x4
	s_load_dwordx4 s[36:39], s[54:55], 0x24
	s_load_dwordx8 s[8:15], s[56:57], 0x0
	s_add_u32 s54, s54, 48
	s_addc_u32 s55, s55, 0
	s_waitcnt lgkmcnt(0)
	v_mul_hi_u32 v1, s17, v3
	v_add_u32_e32 v1, v3, v1
	v_lshrrev_b32_e32 v1, s18, v1
	v_mul_lo_u32 v5, v1, s16
	v_mul_hi_u32 v6, s20, v1
	v_sub_u32_e32 v3, v3, v5
	v_add_u32_e32 v5, v1, v6
	v_lshrrev_b32_e32 v5, s21, v5
	v_mul_lo_u32 v7, v5, s19
	v_mul_hi_u32 v8, s23, v5
	v_sub_u32_e32 v1, v1, v7
	v_add_u32_e32 v7, v5, v8
	v_mul_lo_u32 v6, v3, s9
	v_mul_lo_u32 v3, v3, s8
	;; [unrolled: 1-line block ×4, first 2 shown]
	v_lshrrev_b32_e32 v7, s36, v7
	v_add3_u32 v0, v3, v0, v1
	v_mul_hi_u32 v3, s38, v7
	v_add_u32_e32 v3, v7, v3
	v_lshrrev_b32_e32 v3, s39, v3
	s_add_i32 s53, s53, 4
	v_add3_u32 v1, v6, v2, v8
	v_mul_lo_u32 v2, v7, s22
	v_mul_lo_u32 v6, v3, s37
	s_add_u32 s56, s56, 32
	v_sub_u32_e32 v2, v5, v2
	v_sub_u32_e32 v6, v7, v6
	s_addc_u32 s57, s57, 0
	v_mul_lo_u32 v5, v2, s12
	v_mul_lo_u32 v2, v2, s13
	;; [unrolled: 1-line block ×4, first 2 shown]
	s_cmp_eq_u32 s52, s53
	v_add3_u32 v2, v2, v1, v6
	v_add3_u32 v0, v5, v0, v7
	s_cbranch_scc0 .LBB29_162
; %bb.163:
	v_mov_b32_e32 v1, v2
	s_branch .LBB29_183
.LBB29_164:
                                        ; implicit-def: $vgpr2
                                        ; implicit-def: $vgpr0
	s_branch .LBB29_188
.LBB29_165:
	s_mov_b32 s53, s52
	v_pk_mov_b32 v[0:1], s[52:53], s[52:53] op_sel:[0,1]
                                        ; implicit-def: $vgpr2
	v_mov_b32_e32 v3, v24
.LBB29_166:
	s_and_b32 s12, s61, 3
	s_cmp_eq_u32 s12, 0
	s_cbranch_scc1 .LBB29_170
; %bb.167:
	s_lshl_b32 s8, s52, 3
	s_add_u32 s8, s8, s34
	s_addc_u32 s9, s35, 0
	s_add_u32 s8, s8, 0xc4
	s_addc_u32 s9, s9, 0
	s_mul_i32 s10, s52, 12
	s_add_u32 s10, s34, s10
	s_addc_u32 s11, s35, 0
.LBB29_168:                             ; =>This Inner Loop Header: Depth=1
	s_load_dwordx2 s[14:15], s[10:11], 0x4
	s_load_dword s13, s[10:11], 0xc
	s_load_dwordx2 s[16:17], s[8:9], 0x0
	v_mov_b32_e32 v2, v1
	s_add_u32 s10, s10, 12
	s_waitcnt lgkmcnt(0)
	v_mul_hi_u32 v1, s15, v3
	v_add_u32_e32 v1, v3, v1
	v_lshrrev_b32_e32 v1, s13, v1
	s_addc_u32 s11, s11, 0
	v_mul_lo_u32 v5, v1, s14
	s_add_u32 s8, s8, 8
	v_sub_u32_e32 v5, v3, v5
	v_mov_b32_e32 v3, v1
	s_addc_u32 s9, s9, 0
	s_add_i32 s12, s12, -1
	v_mad_u64_u32 v[6:7], s[14:15], v5, s17, v[2:3]
	v_mad_u64_u32 v[0:1], s[14:15], v5, s16, v[0:1]
	s_cmp_lg_u32 s12, 0
	v_mov_b32_e32 v1, v6
	s_cbranch_scc1 .LBB29_168
; %bb.169:
	v_mov_b32_e32 v2, v1
.LBB29_170:
	s_cbranch_execnz .LBB29_173
.LBB29_171:
	v_mul_hi_u32 v0, s25, v24
	v_add_u32_e32 v0, v24, v0
	v_lshrrev_b32_e32 v1, s26, v0
	v_mul_lo_u32 v0, v1, s24
	v_sub_u32_e32 v0, v24, v0
	v_mul_lo_u32 v2, v0, s29
	s_andn2_b64 vcc, exec, s[44:45]
	v_mul_lo_u32 v0, v0, s28
	s_cbranch_vccnz .LBB29_173
; %bb.172:
	v_mul_hi_u32 v3, s42, v1
	v_add_u32_e32 v3, v1, v3
	v_lshrrev_b32_e32 v3, s43, v3
	v_mul_lo_u32 v3, v3, s27
	v_sub_u32_e32 v3, v1, v3
	v_mad_u64_u32 v[0:1], s[8:9], v3, s30, v[0:1]
	v_mad_u64_u32 v[2:3], s[8:9], v3, s31, v[2:3]
.LBB29_173:
	global_load_ushort v1, v2, s[2:3]
	v_add_u32_e32 v24, 0x80, v24
	s_waitcnt vmcnt(0)
	v_and_b32_e32 v1, 0xffff8000, v1
	v_or_b32_e32 v1, v1, v4
	global_store_short v0, v1, s[0:1]
	s_or_b64 exec, exec, s[50:51]
	v_cmp_gt_i32_e32 vcc, s59, v24
	s_and_saveexec_b64 s[50:51], vcc
	s_cbranch_execnz .LBB29_158
.LBB29_174:
	s_or_b64 exec, exec, s[50:51]
	v_cmp_gt_i32_e32 vcc, s59, v24
	s_and_saveexec_b64 s[50:51], vcc
	s_cbranch_execz .LBB29_191
.LBB29_175:
	s_andn2_b64 vcc, exec, s[6:7]
	s_cbranch_vccnz .LBB29_181
; %bb.176:
	s_mov_b32 s52, 0
	s_andn2_b64 vcc, exec, s[48:49]
	v_mov_b32_e32 v2, 0
	v_mov_b32_e32 v0, 0
	s_cbranch_vccnz .LBB29_204
; %bb.177:
	s_add_i32 s61, s60, 1
	s_cmp_eq_u32 s58, 2
	s_cbranch_scc1 .LBB29_199
; %bb.178:
	s_and_b32 s52, s61, 28
	s_mov_b32 s53, 0
	v_mov_b32_e32 v0, 0
	s_mov_b64 s[54:55], s[34:35]
	s_mov_b64 s[56:57], s[46:47]
	v_mov_b32_e32 v3, v24
	v_mov_b32_e32 v2, 0
.LBB29_179:                             ; =>This Inner Loop Header: Depth=1
	s_load_dwordx8 s[16:23], s[54:55], 0x4
	s_load_dwordx4 s[36:39], s[54:55], 0x24
	s_load_dwordx8 s[8:15], s[56:57], 0x0
	s_add_u32 s54, s54, 48
	s_addc_u32 s55, s55, 0
	s_waitcnt lgkmcnt(0)
	v_mul_hi_u32 v1, s17, v3
	v_add_u32_e32 v1, v3, v1
	v_lshrrev_b32_e32 v1, s18, v1
	v_mul_lo_u32 v5, v1, s16
	v_mul_hi_u32 v6, s20, v1
	v_sub_u32_e32 v3, v3, v5
	v_add_u32_e32 v5, v1, v6
	v_lshrrev_b32_e32 v5, s21, v5
	v_mul_lo_u32 v7, v5, s19
	v_mul_hi_u32 v8, s23, v5
	v_sub_u32_e32 v1, v1, v7
	v_add_u32_e32 v7, v5, v8
	v_mul_lo_u32 v6, v3, s9
	v_mul_lo_u32 v3, v3, s8
	;; [unrolled: 1-line block ×4, first 2 shown]
	v_lshrrev_b32_e32 v7, s36, v7
	v_add3_u32 v0, v3, v0, v1
	v_mul_hi_u32 v3, s38, v7
	v_add_u32_e32 v3, v7, v3
	v_lshrrev_b32_e32 v3, s39, v3
	s_add_i32 s53, s53, 4
	v_add3_u32 v1, v6, v2, v8
	v_mul_lo_u32 v2, v7, s22
	v_mul_lo_u32 v6, v3, s37
	s_add_u32 s56, s56, 32
	v_sub_u32_e32 v2, v5, v2
	v_sub_u32_e32 v6, v7, v6
	s_addc_u32 s57, s57, 0
	v_mul_lo_u32 v5, v2, s12
	v_mul_lo_u32 v2, v2, s13
	;; [unrolled: 1-line block ×4, first 2 shown]
	s_cmp_eq_u32 s52, s53
	v_add3_u32 v2, v2, v1, v6
	v_add3_u32 v0, v5, v0, v7
	s_cbranch_scc0 .LBB29_179
; %bb.180:
	v_mov_b32_e32 v1, v2
	s_branch .LBB29_200
.LBB29_181:
                                        ; implicit-def: $vgpr2
                                        ; implicit-def: $vgpr0
	s_branch .LBB29_205
.LBB29_182:
	s_mov_b32 s53, s52
	v_pk_mov_b32 v[0:1], s[52:53], s[52:53] op_sel:[0,1]
                                        ; implicit-def: $vgpr2
	v_mov_b32_e32 v3, v24
.LBB29_183:
	s_and_b32 s12, s61, 3
	s_cmp_eq_u32 s12, 0
	s_cbranch_scc1 .LBB29_187
; %bb.184:
	s_lshl_b32 s8, s52, 3
	s_add_u32 s8, s8, s34
	s_addc_u32 s9, s35, 0
	s_add_u32 s8, s8, 0xc4
	s_addc_u32 s9, s9, 0
	s_mul_i32 s10, s52, 12
	s_add_u32 s10, s34, s10
	s_addc_u32 s11, s35, 0
.LBB29_185:                             ; =>This Inner Loop Header: Depth=1
	s_load_dwordx2 s[14:15], s[10:11], 0x4
	s_load_dword s13, s[10:11], 0xc
	s_load_dwordx2 s[16:17], s[8:9], 0x0
	v_mov_b32_e32 v2, v1
	s_add_u32 s10, s10, 12
	s_waitcnt lgkmcnt(0)
	v_mul_hi_u32 v1, s15, v3
	v_add_u32_e32 v1, v3, v1
	v_lshrrev_b32_e32 v1, s13, v1
	s_addc_u32 s11, s11, 0
	v_mul_lo_u32 v5, v1, s14
	s_add_u32 s8, s8, 8
	v_sub_u32_e32 v5, v3, v5
	v_mov_b32_e32 v3, v1
	s_addc_u32 s9, s9, 0
	s_add_i32 s12, s12, -1
	v_mad_u64_u32 v[6:7], s[14:15], v5, s17, v[2:3]
	v_mad_u64_u32 v[0:1], s[14:15], v5, s16, v[0:1]
	s_cmp_lg_u32 s12, 0
	v_mov_b32_e32 v1, v6
	s_cbranch_scc1 .LBB29_185
; %bb.186:
	v_mov_b32_e32 v2, v1
.LBB29_187:
	s_cbranch_execnz .LBB29_190
.LBB29_188:
	v_mul_hi_u32 v0, s25, v24
	v_add_u32_e32 v0, v24, v0
	v_lshrrev_b32_e32 v1, s26, v0
	v_mul_lo_u32 v0, v1, s24
	v_sub_u32_e32 v0, v24, v0
	v_mul_lo_u32 v2, v0, s29
	s_andn2_b64 vcc, exec, s[44:45]
	v_mul_lo_u32 v0, v0, s28
	s_cbranch_vccnz .LBB29_190
; %bb.189:
	v_mul_hi_u32 v3, s42, v1
	v_add_u32_e32 v3, v1, v3
	v_lshrrev_b32_e32 v3, s43, v3
	v_mul_lo_u32 v3, v3, s27
	v_sub_u32_e32 v3, v1, v3
	v_mad_u64_u32 v[0:1], s[8:9], v3, s30, v[0:1]
	v_mad_u64_u32 v[2:3], s[8:9], v3, s31, v[2:3]
.LBB29_190:
	global_load_ushort v1, v2, s[2:3]
	v_add_u32_e32 v24, 0x80, v24
	s_waitcnt vmcnt(0)
	v_and_b32_e32 v1, 0xffff8000, v1
	v_or_b32_e32 v1, v1, v4
	global_store_short v0, v1, s[0:1]
	s_or_b64 exec, exec, s[50:51]
	v_cmp_gt_i32_e32 vcc, s59, v24
	s_and_saveexec_b64 s[50:51], vcc
	s_cbranch_execnz .LBB29_175
.LBB29_191:
	s_or_b64 exec, exec, s[50:51]
	v_cmp_gt_i32_e32 vcc, s59, v24
	s_and_saveexec_b64 s[50:51], vcc
	s_cbranch_execz .LBB29_208
.LBB29_192:
	s_andn2_b64 vcc, exec, s[6:7]
	s_cbranch_vccnz .LBB29_198
; %bb.193:
	s_mov_b32 s52, 0
	s_andn2_b64 vcc, exec, s[48:49]
	v_mov_b32_e32 v2, 0
	v_mov_b32_e32 v0, 0
	s_cbranch_vccnz .LBB29_221
; %bb.194:
	s_add_i32 s61, s60, 1
	s_cmp_eq_u32 s58, 2
	s_cbranch_scc1 .LBB29_216
; %bb.195:
	s_and_b32 s52, s61, 28
	s_mov_b32 s53, 0
	v_mov_b32_e32 v0, 0
	s_mov_b64 s[54:55], s[34:35]
	s_mov_b64 s[56:57], s[46:47]
	v_mov_b32_e32 v3, v24
	v_mov_b32_e32 v2, 0
.LBB29_196:                             ; =>This Inner Loop Header: Depth=1
	s_load_dwordx8 s[16:23], s[54:55], 0x4
	s_load_dwordx4 s[36:39], s[54:55], 0x24
	s_load_dwordx8 s[8:15], s[56:57], 0x0
	s_add_u32 s54, s54, 48
	s_addc_u32 s55, s55, 0
	s_waitcnt lgkmcnt(0)
	v_mul_hi_u32 v1, s17, v3
	v_add_u32_e32 v1, v3, v1
	v_lshrrev_b32_e32 v1, s18, v1
	v_mul_lo_u32 v5, v1, s16
	v_mul_hi_u32 v6, s20, v1
	v_sub_u32_e32 v3, v3, v5
	v_add_u32_e32 v5, v1, v6
	v_lshrrev_b32_e32 v5, s21, v5
	v_mul_lo_u32 v7, v5, s19
	v_mul_hi_u32 v8, s23, v5
	v_sub_u32_e32 v1, v1, v7
	v_add_u32_e32 v7, v5, v8
	v_mul_lo_u32 v6, v3, s9
	v_mul_lo_u32 v3, v3, s8
	;; [unrolled: 1-line block ×4, first 2 shown]
	v_lshrrev_b32_e32 v7, s36, v7
	v_add3_u32 v0, v3, v0, v1
	v_mul_hi_u32 v3, s38, v7
	v_add_u32_e32 v3, v7, v3
	v_lshrrev_b32_e32 v3, s39, v3
	s_add_i32 s53, s53, 4
	v_add3_u32 v1, v6, v2, v8
	v_mul_lo_u32 v2, v7, s22
	v_mul_lo_u32 v6, v3, s37
	s_add_u32 s56, s56, 32
	v_sub_u32_e32 v2, v5, v2
	v_sub_u32_e32 v6, v7, v6
	s_addc_u32 s57, s57, 0
	v_mul_lo_u32 v5, v2, s12
	v_mul_lo_u32 v2, v2, s13
	;; [unrolled: 1-line block ×4, first 2 shown]
	s_cmp_eq_u32 s52, s53
	v_add3_u32 v2, v2, v1, v6
	v_add3_u32 v0, v5, v0, v7
	s_cbranch_scc0 .LBB29_196
; %bb.197:
	v_mov_b32_e32 v1, v2
	s_branch .LBB29_217
.LBB29_198:
                                        ; implicit-def: $vgpr2
                                        ; implicit-def: $vgpr0
	s_branch .LBB29_222
.LBB29_199:
	s_mov_b32 s53, s52
	v_pk_mov_b32 v[0:1], s[52:53], s[52:53] op_sel:[0,1]
                                        ; implicit-def: $vgpr2
	v_mov_b32_e32 v3, v24
.LBB29_200:
	s_and_b32 s12, s61, 3
	s_cmp_eq_u32 s12, 0
	s_cbranch_scc1 .LBB29_204
; %bb.201:
	s_lshl_b32 s8, s52, 3
	s_add_u32 s8, s8, s34
	s_addc_u32 s9, s35, 0
	s_add_u32 s8, s8, 0xc4
	s_addc_u32 s9, s9, 0
	s_mul_i32 s10, s52, 12
	s_add_u32 s10, s34, s10
	s_addc_u32 s11, s35, 0
.LBB29_202:                             ; =>This Inner Loop Header: Depth=1
	s_load_dwordx2 s[14:15], s[10:11], 0x4
	s_load_dword s13, s[10:11], 0xc
	s_load_dwordx2 s[16:17], s[8:9], 0x0
	v_mov_b32_e32 v2, v1
	s_add_u32 s10, s10, 12
	s_waitcnt lgkmcnt(0)
	v_mul_hi_u32 v1, s15, v3
	v_add_u32_e32 v1, v3, v1
	v_lshrrev_b32_e32 v1, s13, v1
	s_addc_u32 s11, s11, 0
	v_mul_lo_u32 v5, v1, s14
	s_add_u32 s8, s8, 8
	v_sub_u32_e32 v5, v3, v5
	v_mov_b32_e32 v3, v1
	s_addc_u32 s9, s9, 0
	s_add_i32 s12, s12, -1
	v_mad_u64_u32 v[6:7], s[14:15], v5, s17, v[2:3]
	v_mad_u64_u32 v[0:1], s[14:15], v5, s16, v[0:1]
	s_cmp_lg_u32 s12, 0
	v_mov_b32_e32 v1, v6
	s_cbranch_scc1 .LBB29_202
; %bb.203:
	v_mov_b32_e32 v2, v1
.LBB29_204:
	s_cbranch_execnz .LBB29_207
.LBB29_205:
	v_mul_hi_u32 v0, s25, v24
	v_add_u32_e32 v0, v24, v0
	v_lshrrev_b32_e32 v1, s26, v0
	v_mul_lo_u32 v0, v1, s24
	v_sub_u32_e32 v0, v24, v0
	v_mul_lo_u32 v2, v0, s29
	s_andn2_b64 vcc, exec, s[44:45]
	v_mul_lo_u32 v0, v0, s28
	s_cbranch_vccnz .LBB29_207
; %bb.206:
	v_mul_hi_u32 v3, s42, v1
	v_add_u32_e32 v3, v1, v3
	v_lshrrev_b32_e32 v3, s43, v3
	v_mul_lo_u32 v3, v3, s27
	v_sub_u32_e32 v3, v1, v3
	v_mad_u64_u32 v[0:1], s[8:9], v3, s30, v[0:1]
	v_mad_u64_u32 v[2:3], s[8:9], v3, s31, v[2:3]
.LBB29_207:
	global_load_ushort v1, v2, s[2:3]
	v_add_u32_e32 v24, 0x80, v24
	s_waitcnt vmcnt(0)
	v_and_b32_e32 v1, 0xffff8000, v1
	v_or_b32_e32 v1, v1, v4
	global_store_short v0, v1, s[0:1]
	s_or_b64 exec, exec, s[50:51]
	v_cmp_gt_i32_e32 vcc, s59, v24
	s_and_saveexec_b64 s[50:51], vcc
	s_cbranch_execnz .LBB29_192
.LBB29_208:
	s_or_b64 exec, exec, s[50:51]
	v_cmp_gt_i32_e32 vcc, s59, v24
	s_and_saveexec_b64 s[50:51], vcc
	s_cbranch_execz .LBB29_225
.LBB29_209:
	s_andn2_b64 vcc, exec, s[6:7]
	s_cbranch_vccnz .LBB29_215
; %bb.210:
	s_mov_b32 s52, 0
	s_andn2_b64 vcc, exec, s[48:49]
	v_mov_b32_e32 v2, 0
	v_mov_b32_e32 v0, 0
	s_cbranch_vccnz .LBB29_233
; %bb.211:
	s_add_i32 s61, s60, 1
	s_cmp_eq_u32 s58, 2
	s_cbranch_scc1 .LBB29_228
; %bb.212:
	s_and_b32 s52, s61, 28
	s_mov_b32 s53, 0
	v_mov_b32_e32 v0, 0
	s_mov_b64 s[54:55], s[34:35]
	s_mov_b64 s[56:57], s[46:47]
	v_mov_b32_e32 v3, v24
	v_mov_b32_e32 v2, 0
.LBB29_213:                             ; =>This Inner Loop Header: Depth=1
	s_load_dwordx8 s[16:23], s[54:55], 0x4
	s_load_dwordx4 s[36:39], s[54:55], 0x24
	s_load_dwordx8 s[8:15], s[56:57], 0x0
	s_add_u32 s54, s54, 48
	s_addc_u32 s55, s55, 0
	s_waitcnt lgkmcnt(0)
	v_mul_hi_u32 v1, s17, v3
	v_add_u32_e32 v1, v3, v1
	v_lshrrev_b32_e32 v1, s18, v1
	v_mul_lo_u32 v5, v1, s16
	v_mul_hi_u32 v6, s20, v1
	v_sub_u32_e32 v3, v3, v5
	v_add_u32_e32 v5, v1, v6
	v_lshrrev_b32_e32 v5, s21, v5
	v_mul_lo_u32 v7, v5, s19
	v_mul_hi_u32 v8, s23, v5
	v_sub_u32_e32 v1, v1, v7
	v_add_u32_e32 v7, v5, v8
	v_mul_lo_u32 v6, v3, s9
	v_mul_lo_u32 v3, v3, s8
	;; [unrolled: 1-line block ×4, first 2 shown]
	v_lshrrev_b32_e32 v7, s36, v7
	v_add3_u32 v0, v3, v0, v1
	v_mul_hi_u32 v3, s38, v7
	v_add_u32_e32 v3, v7, v3
	v_lshrrev_b32_e32 v3, s39, v3
	s_add_i32 s53, s53, 4
	v_add3_u32 v1, v6, v2, v8
	v_mul_lo_u32 v2, v7, s22
	v_mul_lo_u32 v6, v3, s37
	s_add_u32 s56, s56, 32
	v_sub_u32_e32 v2, v5, v2
	v_sub_u32_e32 v6, v7, v6
	s_addc_u32 s57, s57, 0
	v_mul_lo_u32 v5, v2, s12
	v_mul_lo_u32 v2, v2, s13
	;; [unrolled: 1-line block ×4, first 2 shown]
	s_cmp_eq_u32 s52, s53
	v_add3_u32 v2, v2, v1, v6
	v_add3_u32 v0, v5, v0, v7
	s_cbranch_scc0 .LBB29_213
; %bb.214:
	v_mov_b32_e32 v1, v2
	s_branch .LBB29_229
.LBB29_215:
                                        ; implicit-def: $vgpr2
                                        ; implicit-def: $vgpr0
	s_branch .LBB29_234
.LBB29_216:
	s_mov_b32 s53, s52
	v_pk_mov_b32 v[0:1], s[52:53], s[52:53] op_sel:[0,1]
                                        ; implicit-def: $vgpr2
	v_mov_b32_e32 v3, v24
.LBB29_217:
	s_and_b32 s12, s61, 3
	s_cmp_eq_u32 s12, 0
	s_cbranch_scc1 .LBB29_221
; %bb.218:
	s_lshl_b32 s8, s52, 3
	s_add_u32 s8, s8, s34
	s_addc_u32 s9, s35, 0
	s_add_u32 s8, s8, 0xc4
	s_addc_u32 s9, s9, 0
	s_mul_i32 s10, s52, 12
	s_add_u32 s10, s34, s10
	s_addc_u32 s11, s35, 0
.LBB29_219:                             ; =>This Inner Loop Header: Depth=1
	s_load_dwordx2 s[14:15], s[10:11], 0x4
	s_load_dword s13, s[10:11], 0xc
	s_load_dwordx2 s[16:17], s[8:9], 0x0
	v_mov_b32_e32 v2, v1
	s_add_u32 s10, s10, 12
	s_waitcnt lgkmcnt(0)
	v_mul_hi_u32 v1, s15, v3
	v_add_u32_e32 v1, v3, v1
	v_lshrrev_b32_e32 v1, s13, v1
	s_addc_u32 s11, s11, 0
	v_mul_lo_u32 v5, v1, s14
	s_add_u32 s8, s8, 8
	v_sub_u32_e32 v5, v3, v5
	v_mov_b32_e32 v3, v1
	s_addc_u32 s9, s9, 0
	s_add_i32 s12, s12, -1
	v_mad_u64_u32 v[6:7], s[14:15], v5, s17, v[2:3]
	v_mad_u64_u32 v[0:1], s[14:15], v5, s16, v[0:1]
	s_cmp_lg_u32 s12, 0
	v_mov_b32_e32 v1, v6
	s_cbranch_scc1 .LBB29_219
; %bb.220:
	v_mov_b32_e32 v2, v1
.LBB29_221:
	s_cbranch_execnz .LBB29_224
.LBB29_222:
	v_mul_hi_u32 v0, s25, v24
	v_add_u32_e32 v0, v24, v0
	v_lshrrev_b32_e32 v1, s26, v0
	v_mul_lo_u32 v0, v1, s24
	v_sub_u32_e32 v0, v24, v0
	v_mul_lo_u32 v2, v0, s29
	s_andn2_b64 vcc, exec, s[44:45]
	v_mul_lo_u32 v0, v0, s28
	s_cbranch_vccnz .LBB29_224
; %bb.223:
	v_mul_hi_u32 v3, s42, v1
	v_add_u32_e32 v3, v1, v3
	v_lshrrev_b32_e32 v3, s43, v3
	v_mul_lo_u32 v3, v3, s27
	v_sub_u32_e32 v3, v1, v3
	v_mad_u64_u32 v[0:1], s[8:9], v3, s30, v[0:1]
	v_mad_u64_u32 v[2:3], s[8:9], v3, s31, v[2:3]
.LBB29_224:
	global_load_ushort v1, v2, s[2:3]
	v_add_u32_e32 v24, 0x80, v24
	s_waitcnt vmcnt(0)
	v_and_b32_e32 v1, 0xffff8000, v1
	v_or_b32_e32 v1, v1, v4
	global_store_short v0, v1, s[0:1]
	s_or_b64 exec, exec, s[50:51]
	v_cmp_gt_i32_e32 vcc, s59, v24
	s_and_saveexec_b64 s[50:51], vcc
	s_cbranch_execnz .LBB29_209
.LBB29_225:
	s_or_b64 exec, exec, s[50:51]
	v_cmp_gt_i32_e32 vcc, s59, v24
	s_and_saveexec_b64 s[50:51], vcc
	s_cbranch_execnz .LBB29_237
.LBB29_226:
	s_or_b64 exec, exec, s[50:51]
                                        ; implicit-def: $vgpr31
                                        ; implicit-def: $vgpr24
	s_andn2_saveexec_b64 s[0:1], s[40:41]
	s_cbranch_execnz .LBB29_9
.LBB29_227:
	s_endpgm
.LBB29_228:
	s_mov_b32 s53, s52
	v_pk_mov_b32 v[0:1], s[52:53], s[52:53] op_sel:[0,1]
                                        ; implicit-def: $vgpr2
	v_mov_b32_e32 v3, v24
.LBB29_229:
	s_and_b32 s12, s61, 3
	s_cmp_eq_u32 s12, 0
	s_cbranch_scc1 .LBB29_233
; %bb.230:
	s_lshl_b32 s8, s52, 3
	s_add_u32 s8, s8, s34
	s_addc_u32 s9, s35, 0
	s_add_u32 s8, s8, 0xc4
	s_addc_u32 s9, s9, 0
	s_mul_i32 s10, s52, 12
	s_add_u32 s10, s34, s10
	s_addc_u32 s11, s35, 0
.LBB29_231:                             ; =>This Inner Loop Header: Depth=1
	s_load_dwordx2 s[14:15], s[10:11], 0x4
	s_load_dword s13, s[10:11], 0xc
	s_load_dwordx2 s[16:17], s[8:9], 0x0
	v_mov_b32_e32 v2, v1
	s_add_u32 s10, s10, 12
	s_waitcnt lgkmcnt(0)
	v_mul_hi_u32 v1, s15, v3
	v_add_u32_e32 v1, v3, v1
	v_lshrrev_b32_e32 v1, s13, v1
	s_addc_u32 s11, s11, 0
	v_mul_lo_u32 v5, v1, s14
	s_add_u32 s8, s8, 8
	v_sub_u32_e32 v5, v3, v5
	v_mov_b32_e32 v3, v1
	s_addc_u32 s9, s9, 0
	s_add_i32 s12, s12, -1
	v_mad_u64_u32 v[6:7], s[14:15], v5, s17, v[2:3]
	v_mad_u64_u32 v[0:1], s[14:15], v5, s16, v[0:1]
	s_cmp_lg_u32 s12, 0
	v_mov_b32_e32 v1, v6
	s_cbranch_scc1 .LBB29_231
; %bb.232:
	v_mov_b32_e32 v2, v1
.LBB29_233:
	s_cbranch_execnz .LBB29_236
.LBB29_234:
	v_mul_hi_u32 v0, s25, v24
	v_add_u32_e32 v0, v24, v0
	v_lshrrev_b32_e32 v1, s26, v0
	v_mul_lo_u32 v0, v1, s24
	v_sub_u32_e32 v0, v24, v0
	v_mul_lo_u32 v2, v0, s29
	s_andn2_b64 vcc, exec, s[44:45]
	v_mul_lo_u32 v0, v0, s28
	s_cbranch_vccnz .LBB29_236
; %bb.235:
	v_mul_hi_u32 v3, s42, v1
	v_add_u32_e32 v3, v1, v3
	v_lshrrev_b32_e32 v3, s43, v3
	v_mul_lo_u32 v3, v3, s27
	v_sub_u32_e32 v3, v1, v3
	v_mad_u64_u32 v[0:1], s[8:9], v3, s30, v[0:1]
	v_mad_u64_u32 v[2:3], s[8:9], v3, s31, v[2:3]
.LBB29_236:
	global_load_ushort v1, v2, s[2:3]
	v_add_u32_e32 v24, 0x80, v24
	s_waitcnt vmcnt(0)
	v_and_b32_e32 v1, 0xffff8000, v1
	v_or_b32_e32 v1, v1, v4
	global_store_short v0, v1, s[0:1]
	s_or_b64 exec, exec, s[50:51]
	v_cmp_gt_i32_e32 vcc, s59, v24
	s_and_saveexec_b64 s[50:51], vcc
	s_cbranch_execz .LBB29_226
.LBB29_237:
	s_andn2_b64 vcc, exec, s[6:7]
	s_cbranch_vccnz .LBB29_243
; %bb.238:
	s_mov_b32 s52, 0
	s_andn2_b64 vcc, exec, s[48:49]
	v_mov_b32_e32 v2, 0
	v_mov_b32_e32 v0, 0
	s_cbranch_vccnz .LBB29_249
; %bb.239:
	s_add_i32 s60, s60, 1
	s_cmp_eq_u32 s58, 2
	s_cbranch_scc1 .LBB29_244
; %bb.240:
	s_and_b32 s52, s60, 28
	s_mov_b32 s53, 0
	v_mov_b32_e32 v0, 0
	s_mov_b64 s[48:49], s[34:35]
	v_mov_b32_e32 v3, v24
	v_mov_b32_e32 v2, 0
.LBB29_241:                             ; =>This Inner Loop Header: Depth=1
	s_load_dwordx8 s[16:23], s[48:49], 0x4
	s_load_dwordx4 s[36:39], s[48:49], 0x24
	s_load_dwordx8 s[8:15], s[46:47], 0x0
	s_add_u32 s48, s48, 48
	s_addc_u32 s49, s49, 0
	s_waitcnt lgkmcnt(0)
	v_mul_hi_u32 v1, s17, v3
	v_add_u32_e32 v1, v3, v1
	v_lshrrev_b32_e32 v1, s18, v1
	v_mul_lo_u32 v5, v1, s16
	v_mul_hi_u32 v6, s20, v1
	v_sub_u32_e32 v3, v3, v5
	v_add_u32_e32 v5, v1, v6
	v_lshrrev_b32_e32 v5, s21, v5
	v_mul_lo_u32 v7, v5, s19
	v_mul_hi_u32 v8, s23, v5
	v_sub_u32_e32 v1, v1, v7
	v_add_u32_e32 v7, v5, v8
	v_mul_lo_u32 v6, v3, s9
	v_mul_lo_u32 v3, v3, s8
	;; [unrolled: 1-line block ×4, first 2 shown]
	v_lshrrev_b32_e32 v7, s36, v7
	v_add3_u32 v0, v3, v0, v1
	v_mul_hi_u32 v3, s38, v7
	v_add_u32_e32 v3, v7, v3
	v_lshrrev_b32_e32 v3, s39, v3
	s_add_i32 s53, s53, 4
	v_add3_u32 v1, v6, v2, v8
	v_mul_lo_u32 v2, v7, s22
	v_mul_lo_u32 v6, v3, s37
	s_add_u32 s46, s46, 32
	v_sub_u32_e32 v2, v5, v2
	v_sub_u32_e32 v6, v7, v6
	s_addc_u32 s47, s47, 0
	v_mul_lo_u32 v5, v2, s12
	v_mul_lo_u32 v2, v2, s13
	v_mul_lo_u32 v7, v6, s14
	v_mul_lo_u32 v6, v6, s15
	s_cmp_eq_u32 s52, s53
	v_add3_u32 v2, v2, v1, v6
	v_add3_u32 v0, v5, v0, v7
	s_cbranch_scc0 .LBB29_241
; %bb.242:
	v_mov_b32_e32 v1, v2
	s_branch .LBB29_245
.LBB29_243:
                                        ; implicit-def: $vgpr2
                                        ; implicit-def: $vgpr0
	s_branch .LBB29_250
.LBB29_244:
	s_mov_b32 s53, s52
	v_pk_mov_b32 v[0:1], s[52:53], s[52:53] op_sel:[0,1]
                                        ; implicit-def: $vgpr2
	v_mov_b32_e32 v3, v24
.LBB29_245:
	s_and_b32 s12, s60, 3
	s_cmp_eq_u32 s12, 0
	s_cbranch_scc1 .LBB29_249
; %bb.246:
	s_lshl_b32 s8, s52, 3
	s_add_u32 s8, s8, s34
	s_addc_u32 s9, s35, 0
	s_add_u32 s8, s8, 0xc4
	s_addc_u32 s9, s9, 0
	s_mul_i32 s10, s52, 12
	s_add_u32 s10, s34, s10
	s_addc_u32 s11, s35, 0
.LBB29_247:                             ; =>This Inner Loop Header: Depth=1
	s_load_dwordx2 s[14:15], s[10:11], 0x4
	s_load_dword s13, s[10:11], 0xc
	s_load_dwordx2 s[16:17], s[8:9], 0x0
	v_mov_b32_e32 v2, v1
	s_add_u32 s10, s10, 12
	s_waitcnt lgkmcnt(0)
	v_mul_hi_u32 v1, s15, v3
	v_add_u32_e32 v1, v3, v1
	v_lshrrev_b32_e32 v1, s13, v1
	s_addc_u32 s11, s11, 0
	v_mul_lo_u32 v5, v1, s14
	s_add_u32 s8, s8, 8
	v_sub_u32_e32 v5, v3, v5
	v_mov_b32_e32 v3, v1
	s_addc_u32 s9, s9, 0
	s_add_i32 s12, s12, -1
	v_mad_u64_u32 v[6:7], s[14:15], v5, s17, v[2:3]
	v_mad_u64_u32 v[0:1], s[14:15], v5, s16, v[0:1]
	s_cmp_lg_u32 s12, 0
	v_mov_b32_e32 v1, v6
	s_cbranch_scc1 .LBB29_247
; %bb.248:
	v_mov_b32_e32 v2, v1
.LBB29_249:
	s_cbranch_execnz .LBB29_252
.LBB29_250:
	v_mul_hi_u32 v0, s25, v24
	v_add_u32_e32 v0, v24, v0
	v_lshrrev_b32_e32 v1, s26, v0
	v_mul_lo_u32 v0, v1, s24
	v_sub_u32_e32 v0, v24, v0
	v_mul_lo_u32 v2, v0, s29
	s_andn2_b64 vcc, exec, s[44:45]
	v_mul_lo_u32 v0, v0, s28
	s_cbranch_vccnz .LBB29_252
; %bb.251:
	v_mul_hi_u32 v3, s42, v1
	v_add_u32_e32 v3, v1, v3
	v_lshrrev_b32_e32 v3, s43, v3
	v_mul_lo_u32 v3, v3, s27
	v_sub_u32_e32 v3, v1, v3
	v_mad_u64_u32 v[0:1], s[8:9], v3, s30, v[0:1]
	v_mad_u64_u32 v[2:3], s[8:9], v3, s31, v[2:3]
.LBB29_252:
	global_load_ushort v1, v2, s[2:3]
	s_waitcnt vmcnt(0)
	v_and_b32_e32 v1, 0xffff8000, v1
	v_or_b32_e32 v1, v1, v4
	global_store_short v0, v1, s[0:1]
	s_or_b64 exec, exec, s[50:51]
                                        ; implicit-def: $vgpr31
                                        ; implicit-def: $vgpr24
	s_andn2_saveexec_b64 s[0:1], s[40:41]
	s_cbranch_execz .LBB29_227
	s_branch .LBB29_9
	.section	.rodata,"a",@progbits
	.p2align	6, 0x0
	.amdhsa_kernel _ZN2at6native32elementwise_kernel_manual_unrollILi128ELi8EZNS0_22gpu_kernel_impl_nocastINS0_13AUnaryFunctorIN3c108BFloat16ES5_S5_ZNS0_20copysign_kernel_cudaERNS_18TensorIteratorBaseEEUlS5_S5_E_EEEEvS7_RKT_EUlibE_EEviT1_
		.amdhsa_group_segment_fixed_size 0
		.amdhsa_private_segment_fixed_size 0
		.amdhsa_kernarg_size 360
		.amdhsa_user_sgpr_count 6
		.amdhsa_user_sgpr_private_segment_buffer 1
		.amdhsa_user_sgpr_dispatch_ptr 0
		.amdhsa_user_sgpr_queue_ptr 0
		.amdhsa_user_sgpr_kernarg_segment_ptr 1
		.amdhsa_user_sgpr_dispatch_id 0
		.amdhsa_user_sgpr_flat_scratch_init 0
		.amdhsa_user_sgpr_kernarg_preload_length 0
		.amdhsa_user_sgpr_kernarg_preload_offset 0
		.amdhsa_user_sgpr_private_segment_size 0
		.amdhsa_uses_dynamic_stack 0
		.amdhsa_system_sgpr_private_segment_wavefront_offset 0
		.amdhsa_system_sgpr_workgroup_id_x 1
		.amdhsa_system_sgpr_workgroup_id_y 0
		.amdhsa_system_sgpr_workgroup_id_z 0
		.amdhsa_system_sgpr_workgroup_info 0
		.amdhsa_system_vgpr_workitem_id 0
		.amdhsa_next_free_vgpr 34
		.amdhsa_next_free_sgpr 62
		.amdhsa_accum_offset 36
		.amdhsa_reserve_vcc 1
		.amdhsa_reserve_flat_scratch 0
		.amdhsa_float_round_mode_32 0
		.amdhsa_float_round_mode_16_64 0
		.amdhsa_float_denorm_mode_32 3
		.amdhsa_float_denorm_mode_16_64 3
		.amdhsa_dx10_clamp 1
		.amdhsa_ieee_mode 1
		.amdhsa_fp16_overflow 0
		.amdhsa_tg_split 0
		.amdhsa_exception_fp_ieee_invalid_op 0
		.amdhsa_exception_fp_denorm_src 0
		.amdhsa_exception_fp_ieee_div_zero 0
		.amdhsa_exception_fp_ieee_overflow 0
		.amdhsa_exception_fp_ieee_underflow 0
		.amdhsa_exception_fp_ieee_inexact 0
		.amdhsa_exception_int_div_zero 0
	.end_amdhsa_kernel
	.section	.text._ZN2at6native32elementwise_kernel_manual_unrollILi128ELi8EZNS0_22gpu_kernel_impl_nocastINS0_13AUnaryFunctorIN3c108BFloat16ES5_S5_ZNS0_20copysign_kernel_cudaERNS_18TensorIteratorBaseEEUlS5_S5_E_EEEEvS7_RKT_EUlibE_EEviT1_,"axG",@progbits,_ZN2at6native32elementwise_kernel_manual_unrollILi128ELi8EZNS0_22gpu_kernel_impl_nocastINS0_13AUnaryFunctorIN3c108BFloat16ES5_S5_ZNS0_20copysign_kernel_cudaERNS_18TensorIteratorBaseEEUlS5_S5_E_EEEEvS7_RKT_EUlibE_EEviT1_,comdat
.Lfunc_end29:
	.size	_ZN2at6native32elementwise_kernel_manual_unrollILi128ELi8EZNS0_22gpu_kernel_impl_nocastINS0_13AUnaryFunctorIN3c108BFloat16ES5_S5_ZNS0_20copysign_kernel_cudaERNS_18TensorIteratorBaseEEUlS5_S5_E_EEEEvS7_RKT_EUlibE_EEviT1_, .Lfunc_end29-_ZN2at6native32elementwise_kernel_manual_unrollILi128ELi8EZNS0_22gpu_kernel_impl_nocastINS0_13AUnaryFunctorIN3c108BFloat16ES5_S5_ZNS0_20copysign_kernel_cudaERNS_18TensorIteratorBaseEEUlS5_S5_E_EEEEvS7_RKT_EUlibE_EEviT1_
                                        ; -- End function
	.section	.AMDGPU.csdata,"",@progbits
; Kernel info:
; codeLenInByte = 11636
; NumSgprs: 66
; NumVgprs: 34
; NumAgprs: 0
; TotalNumVgprs: 34
; ScratchSize: 0
; MemoryBound: 0
; FloatMode: 240
; IeeeMode: 1
; LDSByteSize: 0 bytes/workgroup (compile time only)
; SGPRBlocks: 8
; VGPRBlocks: 4
; NumSGPRsForWavesPerEU: 66
; NumVGPRsForWavesPerEU: 34
; AccumOffset: 36
; Occupancy: 8
; WaveLimiterHint : 1
; COMPUTE_PGM_RSRC2:SCRATCH_EN: 0
; COMPUTE_PGM_RSRC2:USER_SGPR: 6
; COMPUTE_PGM_RSRC2:TRAP_HANDLER: 0
; COMPUTE_PGM_RSRC2:TGID_X_EN: 1
; COMPUTE_PGM_RSRC2:TGID_Y_EN: 0
; COMPUTE_PGM_RSRC2:TGID_Z_EN: 0
; COMPUTE_PGM_RSRC2:TIDIG_COMP_CNT: 0
; COMPUTE_PGM_RSRC3_GFX90A:ACCUM_OFFSET: 8
; COMPUTE_PGM_RSRC3_GFX90A:TG_SPLIT: 0
	.section	.text._ZN2at6native32elementwise_kernel_manual_unrollILi128ELi4EZNS0_15gpu_kernel_implINS0_13AUnaryFunctorIN3c108BFloat16ES5_S5_ZNS0_20copysign_kernel_cudaERNS_18TensorIteratorBaseEEUlS5_S5_E_EEEEvS7_RKT_EUlibE_EEviT1_,"axG",@progbits,_ZN2at6native32elementwise_kernel_manual_unrollILi128ELi4EZNS0_15gpu_kernel_implINS0_13AUnaryFunctorIN3c108BFloat16ES5_S5_ZNS0_20copysign_kernel_cudaERNS_18TensorIteratorBaseEEUlS5_S5_E_EEEEvS7_RKT_EUlibE_EEviT1_,comdat
	.globl	_ZN2at6native32elementwise_kernel_manual_unrollILi128ELi4EZNS0_15gpu_kernel_implINS0_13AUnaryFunctorIN3c108BFloat16ES5_S5_ZNS0_20copysign_kernel_cudaERNS_18TensorIteratorBaseEEUlS5_S5_E_EEEEvS7_RKT_EUlibE_EEviT1_ ; -- Begin function _ZN2at6native32elementwise_kernel_manual_unrollILi128ELi4EZNS0_15gpu_kernel_implINS0_13AUnaryFunctorIN3c108BFloat16ES5_S5_ZNS0_20copysign_kernel_cudaERNS_18TensorIteratorBaseEEUlS5_S5_E_EEEEvS7_RKT_EUlibE_EEviT1_
	.p2align	8
	.type	_ZN2at6native32elementwise_kernel_manual_unrollILi128ELi4EZNS0_15gpu_kernel_implINS0_13AUnaryFunctorIN3c108BFloat16ES5_S5_ZNS0_20copysign_kernel_cudaERNS_18TensorIteratorBaseEEUlS5_S5_E_EEEEvS7_RKT_EUlibE_EEviT1_,@function
_ZN2at6native32elementwise_kernel_manual_unrollILi128ELi4EZNS0_15gpu_kernel_implINS0_13AUnaryFunctorIN3c108BFloat16ES5_S5_ZNS0_20copysign_kernel_cudaERNS_18TensorIteratorBaseEEUlS5_S5_E_EEEEvS7_RKT_EUlibE_EEviT1_: ; @_ZN2at6native32elementwise_kernel_manual_unrollILi128ELi4EZNS0_15gpu_kernel_implINS0_13AUnaryFunctorIN3c108BFloat16ES5_S5_ZNS0_20copysign_kernel_cudaERNS_18TensorIteratorBaseEEUlS5_S5_E_EEEEvS7_RKT_EUlibE_EEviT1_
; %bb.0:
	s_load_dwordx8 s[8:15], s[4:5], 0x8
	s_load_dword s33, s[4:5], 0x0
	v_lshl_or_b32 v2, s6, 9, v0
	v_or_b32_e32 v0, 0x180, v2
	s_mov_b64 s[2:3], 0
	s_waitcnt lgkmcnt(0)
	s_lshr_b32 s14, s14, 16
	v_lshrrev_b16_e64 v3, 8, s15
	v_cmp_le_i32_e32 vcc, s33, v0
	s_mov_b64 s[6:7], 0
	s_and_saveexec_b64 s[0:1], vcc
	s_xor_b64 s[4:5], exec, s[0:1]
	s_cbranch_execz .LBB30_1029
; %bb.1:
	v_mov_b32_e32 v0, 0x7fff
	v_and_b32_e32 v5, s14, v0
	v_cmp_ne_u16_e32 vcc, 0, v5
	v_cndmask_b32_e64 v4, 0, 1, vcc
	v_cmp_gt_i32_e32 vcc, s33, v2
	s_mov_b64 s[20:21], -1
	s_mov_b64 s[22:23], 0
	s_mov_b64 s[16:17], 0
	s_and_saveexec_b64 s[18:19], vcc
	s_cbranch_execz .LBB30_252
; %bb.2:
	v_mul_lo_u32 v0, v2, s13
	v_ashrrev_i32_e32 v1, 31, v0
	v_mov_b32_e32 v6, s11
	v_add_co_u32_e32 v0, vcc, s10, v0
	v_addc_co_u32_e32 v1, vcc, v6, v1, vcc
	v_cmp_gt_i16_e32 vcc, 11, v3
	s_cbranch_vccnz .LBB30_9
; %bb.3:
	v_cmp_lt_i16_e32 vcc, 25, v3
	s_cbranch_vccz .LBB30_18
; %bb.4:
	v_cmp_lt_i16_e32 vcc, 28, v3
	s_cbranch_vccz .LBB30_22
	;; [unrolled: 3-line block ×4, first 2 shown]
; %bb.7:
	v_cmp_eq_u16_e32 vcc, 46, v3
	s_cbranch_vccz .LBB30_28
; %bb.8:
	global_load_dword v6, v[0:1], off
	s_mov_b64 s[0:1], -1
	s_branch .LBB30_30
.LBB30_9:
                                        ; implicit-def: $vgpr6
	s_mov_b64 s[0:1], 0
	s_cbranch_execnz .LBB30_203
.LBB30_10:
	s_andn2_b64 vcc, exec, s[0:1]
	s_cbranch_vccnz .LBB30_250
.LBB30_11:
	s_waitcnt vmcnt(0)
	v_and_b32_e32 v0, 0xffff8000, v6
	v_or_b32_e32 v6, v0, v5
	v_mul_lo_u32 v0, v2, s12
	v_ashrrev_i32_e32 v1, 31, v0
	v_mov_b32_e32 v7, s9
	v_add_co_u32_e32 v0, vcc, s8, v0
	v_addc_co_u32_e32 v1, vcc, v7, v1, vcc
	v_mov_b32_e32 v7, 11
	v_cmp_lt_i16_sdwa s[0:1], s15, v7 src0_sel:BYTE_0 src1_sel:DWORD
	s_and_b64 vcc, exec, s[0:1]
	s_cbranch_vccnz .LBB30_19
; %bb.12:
	v_mov_b32_e32 v7, 25
	v_cmp_gt_i16_sdwa s[0:1], s15, v7 src0_sel:BYTE_0 src1_sel:DWORD
	s_and_b64 vcc, exec, s[0:1]
	s_cbranch_vccz .LBB30_23
; %bb.13:
	v_mov_b32_e32 v7, 28
	v_cmp_gt_i16_sdwa s[0:1], s15, v7 src0_sel:BYTE_0 src1_sel:DWORD
	s_and_b64 vcc, exec, s[0:1]
	s_cbranch_vccz .LBB30_25
	;; [unrolled: 5-line block ×4, first 2 shown]
; %bb.16:
	v_mov_b32_e32 v7, 46
	v_cmp_eq_u16_sdwa s[6:7], s15, v7 src0_sel:BYTE_0 src1_sel:DWORD
	s_mov_b64 s[20:21], 0
	s_mov_b64 s[0:1], -1
	s_and_b64 vcc, exec, s[6:7]
	s_mov_b64 s[6:7], 0
	s_cbranch_vccz .LBB30_34
; %bb.17:
	v_and_b32_e32 v7, 0xffff, v6
	global_store_dword v[0:1], v7, off
	s_mov_b64 s[6:7], -1
	s_mov_b64 s[0:1], 0
	s_branch .LBB30_34
.LBB30_18:
	s_mov_b64 s[0:1], 0
                                        ; implicit-def: $vgpr6
	s_cbranch_execnz .LBB30_168
	s_branch .LBB30_202
.LBB30_19:
	s_mov_b64 s[0:1], 0
	s_mov_b64 s[6:7], 0
	s_cbranch_execnz .LBB30_103
.LBB30_20:
	s_andn2_b64 vcc, exec, s[6:7]
	s_cbranch_vccnz .LBB30_141
.LBB30_21:
	v_add_u32_e32 v2, 0x80, v2
	s_mov_b64 s[20:21], -1
	s_branch .LBB30_251
.LBB30_22:
	s_mov_b64 s[6:7], -1
	s_mov_b64 s[0:1], 0
                                        ; implicit-def: $vgpr6
	s_branch .LBB30_149
.LBB30_23:
	s_mov_b64 s[20:21], -1
	s_mov_b64 s[0:1], 0
	s_mov_b64 s[6:7], 0
	s_branch .LBB30_61
.LBB30_24:
	s_mov_b64 s[6:7], -1
	s_mov_b64 s[0:1], 0
                                        ; implicit-def: $vgpr6
	s_branch .LBB30_144
.LBB30_25:
	s_mov_b64 s[20:21], -1
	s_mov_b64 s[0:1], 0
	s_mov_b64 s[6:7], 0
	s_branch .LBB30_44
.LBB30_26:
	s_mov_b64 s[6:7], -1
	s_branch .LBB30_29
.LBB30_27:
	s_mov_b64 s[20:21], -1
	s_mov_b64 s[0:1], 0
	s_mov_b64 s[6:7], 0
	s_branch .LBB30_40
.LBB30_28:
	s_mov_b64 s[16:17], -1
.LBB30_29:
	s_mov_b64 s[0:1], 0
                                        ; implicit-def: $vgpr6
.LBB30_30:
	s_and_b64 vcc, exec, s[6:7]
	s_cbranch_vccz .LBB30_143
; %bb.31:
	v_cmp_eq_u16_e32 vcc, 44, v3
	s_cbranch_vccz .LBB30_142
; %bb.32:
	global_load_ubyte v6, v[0:1], off
	s_movk_i32 s6, 0xff
	v_mov_b32_e32 v7, 0x7f800001
	v_mov_b32_e32 v8, 0x400000
	;; [unrolled: 1-line block ×3, first 2 shown]
	s_mov_b64 s[0:1], -1
	s_mov_b64 s[16:17], 0
	s_waitcnt vmcnt(0)
	v_lshlrev_b32_e32 v10, 23, v6
	v_cmp_ne_u32_e32 vcc, s6, v6
	v_cndmask_b32_e32 v7, v7, v10, vcc
	v_cmp_ne_u32_e32 vcc, 0, v6
	v_cndmask_b32_e32 v6, v8, v7, vcc
	v_add_u32_e32 v7, 0x7fff, v6
	v_lshrrev_b32_e32 v7, 16, v7
	v_cmp_o_f32_e32 vcc, v6, v6
	v_cndmask_b32_e32 v6, v9, v7, vcc
	s_branch .LBB30_143
.LBB30_33:
	s_mov_b64 s[20:21], -1
	s_mov_b64 s[0:1], 0
	s_mov_b64 s[6:7], 0
.LBB30_34:
	s_and_b64 vcc, exec, s[20:21]
	s_cbranch_vccz .LBB30_39
; %bb.35:
	v_mov_b32_e32 v7, 44
	v_cmp_eq_u16_sdwa s[20:21], s15, v7 src0_sel:BYTE_0 src1_sel:DWORD
	s_mov_b64 s[0:1], -1
	s_and_b64 vcc, exec, s[20:21]
	s_cbranch_vccz .LBB30_39
; %bb.36:
	v_and_b32_e32 v8, 0xffff, v6
	v_bfe_u32 v7, v8, 7, 8
	s_movk_i32 s0, 0xff
	v_cmp_ne_u32_e32 vcc, s0, v7
	v_mov_b32_e32 v9, 0xff
	s_and_saveexec_b64 s[6:7], vcc
; %bb.37:
	v_lshlrev_b32_e32 v10, 16, v8
	s_mov_b32 s0, 0x3f0000
	v_lshrrev_b32_e32 v9, 7, v8
	v_and_b32_e32 v8, 64, v8
	v_and_or_b32 v7, v10, s0, v7
	v_cmp_ne_u32_e32 vcc, 0, v8
	v_cmp_ne_u32_e64 s[0:1], 0, v7
	s_and_b64 s[0:1], vcc, s[0:1]
	v_cndmask_b32_e64 v7, 0, 1, s[0:1]
	v_add_u32_e32 v9, v9, v7
; %bb.38:
	s_or_b64 exec, exec, s[6:7]
	s_mov_b64 s[6:7], -1
	s_mov_b64 s[0:1], 0
	global_store_byte v[0:1], v9, off
.LBB30_39:
	s_mov_b64 s[20:21], 0
.LBB30_40:
	s_and_b64 vcc, exec, s[20:21]
	s_cbranch_vccz .LBB30_43
; %bb.41:
	v_mov_b32_e32 v7, 29
	v_cmp_eq_u16_sdwa s[20:21], s15, v7 src0_sel:BYTE_0 src1_sel:DWORD
	s_mov_b64 s[0:1], -1
	s_and_b64 vcc, exec, s[20:21]
	s_cbranch_vccz .LBB30_43
; %bb.42:
	v_lshlrev_b32_e32 v7, 16, v6
	v_trunc_f32_e32 v7, v7
	v_mul_f32_e32 v8, 0x2f800000, v7
	v_floor_f32_e32 v8, v8
	v_fmac_f32_e32 v7, 0xcf800000, v8
	v_cvt_u32_f32_e32 v9, v8
	v_cvt_u32_f32_e32 v8, v7
	s_mov_b64 s[6:7], -1
	s_mov_b64 s[0:1], 0
	s_mov_b64 s[20:21], 0
	global_store_dwordx2 v[0:1], v[8:9], off
	s_branch .LBB30_44
.LBB30_43:
	s_mov_b64 s[20:21], 0
.LBB30_44:
	s_and_b64 vcc, exec, s[20:21]
	s_cbranch_vccz .LBB30_60
; %bb.45:
	v_mov_b32_e32 v7, 27
	v_cmp_lt_i16_sdwa s[20:21], s15, v7 src0_sel:BYTE_0 src1_sel:DWORD
	s_mov_b64 s[6:7], -1
	s_and_b64 vcc, exec, s[20:21]
	s_cbranch_vccnz .LBB30_51
; %bb.46:
	v_cmp_gt_i16_sdwa s[20:21], s15, v7 src0_sel:BYTE_0 src1_sel:DWORD
	s_and_b64 vcc, exec, s[20:21]
	s_cbranch_vccz .LBB30_48
; %bb.47:
	v_lshlrev_b32_e32 v7, 16, v6
	v_cvt_u32_f32_e32 v7, v7
	s_mov_b64 s[6:7], 0
	global_store_dword v[0:1], v7, off
.LBB30_48:
	s_andn2_b64 vcc, exec, s[6:7]
	s_cbranch_vccnz .LBB30_50
; %bb.49:
	v_lshlrev_b32_e32 v7, 16, v6
	v_cvt_u32_f32_e32 v7, v7
	global_store_short v[0:1], v7, off
.LBB30_50:
	s_mov_b64 s[6:7], 0
.LBB30_51:
	s_andn2_b64 vcc, exec, s[6:7]
	s_cbranch_vccnz .LBB30_59
; %bb.52:
	v_lshlrev_b32_e32 v9, 16, v6
	v_and_b32_e32 v8, 0x7fffffff, v9
	s_mov_b32 s6, 0x43800000
	v_cmp_gt_u32_e32 vcc, s6, v8
	v_mov_b32_e32 v10, 0x80
	s_and_saveexec_b64 s[6:7], vcc
	s_cbranch_execz .LBB30_58
; %bb.53:
	s_mov_b32 s20, 0x3bffffff
	v_and_b32_e32 v7, 0xffff, v6
	v_cmp_lt_u32_e32 vcc, s20, v8
	s_mov_b64 s[20:21], 0
                                        ; implicit-def: $vgpr8
	s_and_saveexec_b64 s[24:25], vcc
	s_xor_b64 s[24:25], exec, s[24:25]
	s_cbranch_execz .LBB30_279
; %bb.54:
	v_bfe_u32 v8, v7, 4, 1
	s_mov_b32 s26, 0x487ffff
	v_add3_u32 v8, v9, v8, s26
	s_mov_b64 s[20:21], exec
	v_lshrrev_b32_e32 v8, 20, v8
                                        ; implicit-def: $vgpr9
	s_or_saveexec_b64 s[24:25], s[24:25]
                                        ; implicit-def: $sgpr26
	s_xor_b64 exec, exec, s[24:25]
	s_cbranch_execnz .LBB30_280
.LBB30_55:
	s_or_b64 exec, exec, s[24:25]
	v_mov_b32_e32 v10, s26
	s_and_saveexec_b64 s[24:25], s[20:21]
.LBB30_56:
	v_lshrrev_b32_e32 v7, 8, v7
	s_movk_i32 s20, 0x80
	v_and_or_b32 v10, v7, s20, v8
.LBB30_57:
	s_or_b64 exec, exec, s[24:25]
.LBB30_58:
	s_or_b64 exec, exec, s[6:7]
	global_store_byte v[0:1], v10, off
.LBB30_59:
	s_mov_b64 s[6:7], -1
.LBB30_60:
	s_mov_b64 s[20:21], 0
.LBB30_61:
	s_and_b64 vcc, exec, s[20:21]
	s_cbranch_vccz .LBB30_102
; %bb.62:
	v_mov_b32_e32 v7, 22
	v_cmp_gt_i16_sdwa s[24:25], s15, v7 src0_sel:BYTE_0 src1_sel:DWORD
	s_mov_b64 s[20:21], -1
	s_and_b64 vcc, exec, s[24:25]
	s_cbranch_vccz .LBB30_94
; %bb.63:
	v_mov_b32_e32 v7, 24
	v_cmp_lt_i16_sdwa s[20:21], s15, v7 src0_sel:BYTE_0 src1_sel:DWORD
	s_mov_b64 s[6:7], -1
	s_and_b64 vcc, exec, s[20:21]
	s_cbranch_vccnz .LBB30_83
; %bb.64:
	v_cmp_gt_i16_sdwa s[20:21], s15, v7 src0_sel:BYTE_0 src1_sel:DWORD
	s_and_b64 vcc, exec, s[20:21]
	s_cbranch_vccz .LBB30_72
; %bb.65:
	v_lshlrev_b32_e32 v9, 16, v6
	v_and_b32_e32 v8, 0x7fffffff, v9
	s_mov_b32 s6, 0x47800000
	v_cmp_gt_u32_e32 vcc, s6, v8
	v_mov_b32_e32 v10, 0x80
	s_and_saveexec_b64 s[6:7], vcc
	s_cbranch_execz .LBB30_71
; %bb.66:
	s_mov_b32 s20, 0x37ffffff
	v_and_b32_e32 v7, 0xffff, v6
	v_cmp_lt_u32_e32 vcc, s20, v8
	s_mov_b64 s[20:21], 0
                                        ; implicit-def: $vgpr8
	s_and_saveexec_b64 s[24:25], vcc
	s_xor_b64 s[24:25], exec, s[24:25]
	s_cbranch_execz .LBB30_283
; %bb.67:
	v_bfe_u32 v8, v7, 5, 1
	s_mov_b32 s26, 0x88fffff
	v_add3_u32 v8, v9, v8, s26
	s_mov_b64 s[20:21], exec
	v_lshrrev_b32_e32 v8, 21, v8
                                        ; implicit-def: $vgpr9
	s_or_saveexec_b64 s[24:25], s[24:25]
                                        ; implicit-def: $sgpr26
	s_xor_b64 exec, exec, s[24:25]
	s_cbranch_execnz .LBB30_284
.LBB30_68:
	s_or_b64 exec, exec, s[24:25]
	v_mov_b32_e32 v10, s26
	s_and_saveexec_b64 s[24:25], s[20:21]
.LBB30_69:
	v_lshrrev_b32_e32 v7, 8, v7
	s_movk_i32 s20, 0x80
	v_and_or_b32 v10, v7, s20, v8
.LBB30_70:
	s_or_b64 exec, exec, s[24:25]
.LBB30_71:
	s_or_b64 exec, exec, s[6:7]
	s_mov_b64 s[6:7], 0
	global_store_byte v[0:1], v10, off
.LBB30_72:
	s_and_b64 vcc, exec, s[6:7]
	s_cbranch_vccz .LBB30_82
; %bb.73:
	v_lshlrev_b32_e32 v9, 16, v6
	v_and_b32_e32 v10, 0x7fffffff, v9
	s_mov_b32 s6, 0x43f00000
	v_and_b32_e32 v7, 0xffff, v6
	v_cmp_gt_u32_e32 vcc, s6, v10
                                        ; implicit-def: $vgpr8
	s_and_saveexec_b64 s[6:7], vcc
	s_xor_b64 s[6:7], exec, s[6:7]
	s_cbranch_execz .LBB30_79
; %bb.74:
	s_mov_b32 s20, 0x3c7fffff
	v_cmp_lt_u32_e32 vcc, s20, v10
                                        ; implicit-def: $vgpr8
	s_and_saveexec_b64 s[20:21], vcc
	s_xor_b64 s[20:21], exec, s[20:21]
; %bb.75:
	v_bfe_u32 v8, v7, 4, 1
	s_mov_b32 s24, 0x407ffff
	v_add3_u32 v8, v9, v8, s24
	v_lshrrev_b32_e32 v9, 20, v8
	v_and_b32_e32 v8, 0xff00000, v8
	s_mov_b32 s24, 0x7f00000
	v_mov_b32_e32 v10, 0x7e
	v_cmp_ne_u32_e32 vcc, s24, v8
	v_cndmask_b32_e32 v8, v10, v9, vcc
                                        ; implicit-def: $vgpr9
; %bb.76:
	s_andn2_saveexec_b64 s[20:21], s[20:21]
; %bb.77:
	s_mov_b32 s24, 0x46800000
	v_add_f32_e64 v8, |v9|, s24
; %bb.78:
	s_or_b64 exec, exec, s[20:21]
                                        ; implicit-def: $vgpr10
.LBB30_79:
	s_andn2_saveexec_b64 s[6:7], s[6:7]
; %bb.80:
	s_mov_b32 s20, 0x7f800000
	v_mov_b32_e32 v8, 0x7e
	v_mov_b32_e32 v9, 0x7f
	v_cmp_lt_u32_e32 vcc, s20, v10
	v_cndmask_b32_e32 v8, v8, v9, vcc
; %bb.81:
	s_or_b64 exec, exec, s[6:7]
	v_lshrrev_b32_e32 v7, 8, v7
	s_movk_i32 s6, 0x80
	v_and_or_b32 v7, v7, s6, v8
	global_store_byte v[0:1], v7, off
.LBB30_82:
	s_mov_b64 s[6:7], 0
.LBB30_83:
	s_andn2_b64 vcc, exec, s[6:7]
	s_cbranch_vccnz .LBB30_93
; %bb.84:
	v_lshlrev_b32_e32 v9, 16, v6
	v_and_b32_e32 v10, 0x7fffffff, v9
	s_mov_b32 s6, 0x47800000
	v_and_b32_e32 v7, 0xffff, v6
	v_cmp_gt_u32_e32 vcc, s6, v10
                                        ; implicit-def: $vgpr8
	s_and_saveexec_b64 s[6:7], vcc
	s_xor_b64 s[6:7], exec, s[6:7]
	s_cbranch_execz .LBB30_90
; %bb.85:
	s_mov_b32 s20, 0x387fffff
	v_cmp_lt_u32_e32 vcc, s20, v10
                                        ; implicit-def: $vgpr8
	s_and_saveexec_b64 s[20:21], vcc
	s_xor_b64 s[20:21], exec, s[20:21]
; %bb.86:
	v_bfe_u32 v8, v7, 5, 1
	s_mov_b32 s24, 0x80fffff
	v_add3_u32 v8, v9, v8, s24
	v_lshrrev_b32_e32 v8, 21, v8
                                        ; implicit-def: $vgpr9
; %bb.87:
	s_andn2_saveexec_b64 s[20:21], s[20:21]
; %bb.88:
	s_mov_b32 s24, 0x43000000
	v_add_f32_e64 v8, |v9|, s24
; %bb.89:
	s_or_b64 exec, exec, s[20:21]
                                        ; implicit-def: $vgpr10
.LBB30_90:
	s_andn2_saveexec_b64 s[6:7], s[6:7]
; %bb.91:
	s_mov_b32 s20, 0x7f800000
	v_mov_b32_e32 v8, 0x7c
	v_mov_b32_e32 v9, 0x7f
	v_cmp_lt_u32_e32 vcc, s20, v10
	v_cndmask_b32_e32 v8, v8, v9, vcc
; %bb.92:
	s_or_b64 exec, exec, s[6:7]
	v_lshrrev_b32_e32 v7, 8, v7
	s_movk_i32 s6, 0x80
	v_and_or_b32 v7, v7, s6, v8
	global_store_byte v[0:1], v7, off
.LBB30_93:
	s_mov_b64 s[20:21], 0
	s_mov_b64 s[6:7], -1
.LBB30_94:
	s_andn2_b64 vcc, exec, s[20:21]
	s_cbranch_vccnz .LBB30_102
; %bb.95:
	v_mov_b32_e32 v7, 14
	v_cmp_gt_i16_sdwa s[24:25], s15, v7 src0_sel:BYTE_0 src1_sel:DWORD
	s_mov_b64 s[20:21], -1
	s_and_b64 vcc, exec, s[24:25]
	s_cbranch_vccz .LBB30_99
; %bb.96:
	v_mov_b32_e32 v7, 15
	v_cmp_eq_u16_sdwa s[20:21], s15, v7 src0_sel:BYTE_0 src1_sel:DWORD
	s_mov_b64 s[0:1], -1
	s_and_b64 vcc, exec, s[20:21]
	s_cbranch_vccz .LBB30_98
; %bb.97:
	global_store_short v[0:1], v6, off
	s_mov_b64 s[6:7], -1
	s_mov_b64 s[0:1], 0
.LBB30_98:
	s_mov_b64 s[20:21], 0
.LBB30_99:
	s_and_b64 vcc, exec, s[20:21]
	s_cbranch_vccz .LBB30_102
; %bb.100:
	v_mov_b32_e32 v7, 11
	v_cmp_eq_u16_sdwa s[20:21], s15, v7 src0_sel:BYTE_0 src1_sel:DWORD
	s_mov_b64 s[0:1], -1
	s_and_b64 vcc, exec, s[20:21]
	s_cbranch_vccz .LBB30_102
; %bb.101:
	s_mov_b64 s[6:7], -1
	s_mov_b64 s[0:1], 0
	global_store_byte v[0:1], v4, off
.LBB30_102:
	s_branch .LBB30_20
.LBB30_103:
	v_mov_b32_e32 v7, 5
	v_cmp_lt_i16_sdwa s[20:21], s15, v7 src0_sel:BYTE_0 src1_sel:DWORD
	s_mov_b64 s[6:7], -1
	s_and_b64 vcc, exec, s[20:21]
	s_cbranch_vccnz .LBB30_124
; %bb.104:
	v_mov_b32_e32 v7, 8
	v_cmp_lt_i16_sdwa s[20:21], s15, v7 src0_sel:BYTE_0 src1_sel:DWORD
	s_and_b64 vcc, exec, s[20:21]
	s_cbranch_vccnz .LBB30_114
; %bb.105:
	v_mov_b32_e32 v7, 9
	v_cmp_lt_i16_sdwa s[20:21], s15, v7 src0_sel:BYTE_0 src1_sel:DWORD
	s_and_b64 vcc, exec, s[20:21]
	s_cbranch_vccnz .LBB30_111
; %bb.106:
	v_cmp_gt_i16_sdwa s[20:21], s15, v7 src0_sel:BYTE_0 src1_sel:DWORD
	s_and_b64 vcc, exec, s[20:21]
	s_cbranch_vccz .LBB30_108
; %bb.107:
	v_lshlrev_b32_e32 v7, 16, v6
	v_mov_b32_e32 v10, 0
	v_cvt_f64_f32_e32 v[8:9], v7
	v_mov_b32_e32 v11, v10
	global_store_dwordx4 v[0:1], v[8:11], off
	s_mov_b64 s[6:7], 0
.LBB30_108:
	s_andn2_b64 vcc, exec, s[6:7]
	s_cbranch_vccnz .LBB30_110
; %bb.109:
	v_lshlrev_b32_e32 v8, 16, v6
	v_mov_b32_e32 v9, 0
	global_store_dwordx2 v[0:1], v[8:9], off
.LBB30_110:
	s_mov_b64 s[6:7], 0
.LBB30_111:
	s_andn2_b64 vcc, exec, s[6:7]
	s_cbranch_vccnz .LBB30_113
; %bb.112:
	v_lshlrev_b32_e32 v7, 16, v6
	v_cvt_f16_f32_e32 v7, v7
	global_store_dword v[0:1], v7, off
.LBB30_113:
	s_mov_b64 s[6:7], 0
.LBB30_114:
	s_andn2_b64 vcc, exec, s[6:7]
	s_cbranch_vccnz .LBB30_123
; %bb.115:
	v_mov_b32_e32 v7, 6
	v_cmp_lt_i16_sdwa s[20:21], s15, v7 src0_sel:BYTE_0 src1_sel:DWORD
	s_mov_b64 s[6:7], -1
	s_and_b64 vcc, exec, s[20:21]
	s_cbranch_vccnz .LBB30_121
; %bb.116:
	v_cmp_gt_i16_sdwa s[20:21], s15, v7 src0_sel:BYTE_0 src1_sel:DWORD
	s_and_b64 vcc, exec, s[20:21]
	s_cbranch_vccz .LBB30_118
; %bb.117:
	v_lshlrev_b32_e32 v7, 16, v6
	v_cvt_f64_f32_e32 v[8:9], v7
	global_store_dwordx2 v[0:1], v[8:9], off
	s_mov_b64 s[6:7], 0
.LBB30_118:
	s_andn2_b64 vcc, exec, s[6:7]
	s_cbranch_vccnz .LBB30_120
; %bb.119:
	v_lshlrev_b32_e32 v7, 16, v6
	global_store_dword v[0:1], v7, off
.LBB30_120:
	s_mov_b64 s[6:7], 0
.LBB30_121:
	s_andn2_b64 vcc, exec, s[6:7]
	s_cbranch_vccnz .LBB30_123
; %bb.122:
	v_lshlrev_b32_e32 v7, 16, v6
	v_cvt_f16_f32_e32 v7, v7
	global_store_short v[0:1], v7, off
.LBB30_123:
	s_mov_b64 s[6:7], 0
.LBB30_124:
	s_andn2_b64 vcc, exec, s[6:7]
	s_cbranch_vccnz .LBB30_140
; %bb.125:
	v_mov_b32_e32 v7, 2
	v_cmp_lt_i16_sdwa s[20:21], s15, v7 src0_sel:BYTE_0 src1_sel:DWORD
	s_mov_b64 s[6:7], -1
	s_and_b64 vcc, exec, s[20:21]
	s_cbranch_vccnz .LBB30_135
; %bb.126:
	v_mov_b32_e32 v7, 3
	v_cmp_lt_i16_sdwa s[20:21], s15, v7 src0_sel:BYTE_0 src1_sel:DWORD
	s_and_b64 vcc, exec, s[20:21]
	s_cbranch_vccnz .LBB30_132
; %bb.127:
	v_cmp_gt_i16_sdwa s[20:21], s15, v7 src0_sel:BYTE_0 src1_sel:DWORD
	s_and_b64 vcc, exec, s[20:21]
	s_cbranch_vccz .LBB30_129
; %bb.128:
	v_lshlrev_b32_e32 v7, 16, v6
	v_trunc_f32_e32 v7, v7
	s_mov_b32 s6, 0x2f800000
	v_mul_f32_e64 v8, |v7|, s6
	v_floor_f32_e32 v8, v8
	s_mov_b32 s6, 0xcf800000
	v_cvt_u32_f32_e32 v9, v8
	v_fma_f32 v8, v8, s6, |v7|
	v_cvt_u32_f32_e32 v8, v8
	v_ashrrev_i32_e32 v7, 31, v7
	v_xor_b32_e32 v9, v9, v7
	s_mov_b64 s[6:7], 0
	v_xor_b32_e32 v8, v8, v7
	v_sub_co_u32_e32 v8, vcc, v8, v7
	v_subb_co_u32_e32 v9, vcc, v9, v7, vcc
	global_store_dwordx2 v[0:1], v[8:9], off
.LBB30_129:
	s_andn2_b64 vcc, exec, s[6:7]
	s_cbranch_vccnz .LBB30_131
; %bb.130:
	v_lshlrev_b32_e32 v7, 16, v6
	v_cvt_i32_f32_e32 v7, v7
	global_store_dword v[0:1], v7, off
.LBB30_131:
	s_mov_b64 s[6:7], 0
.LBB30_132:
	s_andn2_b64 vcc, exec, s[6:7]
	s_cbranch_vccnz .LBB30_134
; %bb.133:
	v_lshlrev_b32_e32 v7, 16, v6
	v_cvt_i32_f32_e32 v7, v7
	global_store_short v[0:1], v7, off
.LBB30_134:
	s_mov_b64 s[6:7], 0
.LBB30_135:
	s_andn2_b64 vcc, exec, s[6:7]
	s_cbranch_vccnz .LBB30_140
; %bb.136:
	v_mov_b32_e32 v7, 0
	v_cmp_gt_i16_sdwa s[20:21], s15, v7 src0_sel:BYTE_0 src1_sel:DWORD
	s_mov_b64 s[6:7], -1
	s_and_b64 vcc, exec, s[20:21]
	v_lshlrev_b32_e32 v6, 16, v6
	s_cbranch_vccz .LBB30_138
; %bb.137:
	v_cvt_i32_f32_e32 v7, v6
	s_mov_b64 s[6:7], 0
	global_store_byte v[0:1], v7, off
.LBB30_138:
	s_andn2_b64 vcc, exec, s[6:7]
	s_cbranch_vccnz .LBB30_140
; %bb.139:
	v_trunc_f32_e32 v6, v6
	s_mov_b32 s6, 0x2f800000
	v_mul_f32_e64 v7, |v6|, s6
	v_floor_f32_e32 v7, v7
	s_mov_b32 s6, 0xcf800000
	v_fma_f32 v7, v7, s6, |v6|
	v_cvt_u32_f32_e32 v7, v7
	v_ashrrev_i32_e32 v6, 31, v6
	v_xor_b32_e32 v7, v7, v6
	v_sub_u32_e32 v6, v7, v6
	global_store_byte v[0:1], v6, off
.LBB30_140:
	s_branch .LBB30_21
.LBB30_141:
	s_mov_b64 s[20:21], 0
                                        ; implicit-def: $vgpr2
	s_branch .LBB30_251
.LBB30_142:
	s_mov_b64 s[16:17], -1
                                        ; implicit-def: $vgpr6
.LBB30_143:
	s_mov_b64 s[6:7], 0
.LBB30_144:
	s_and_b64 vcc, exec, s[6:7]
	s_cbranch_vccz .LBB30_148
; %bb.145:
	v_cmp_eq_u16_e32 vcc, 29, v3
	s_cbranch_vccz .LBB30_147
; %bb.146:
	global_load_dwordx2 v[6:7], v[0:1], off
	s_movk_i32 s6, 0x7fff
	s_mov_b64 s[0:1], -1
	s_mov_b64 s[16:17], 0
	s_waitcnt vmcnt(0)
	v_ffbh_u32_e32 v8, v7
	v_min_u32_e32 v8, 32, v8
	v_lshlrev_b64 v[6:7], v8, v[6:7]
	v_min_u32_e32 v6, 1, v6
	v_or_b32_e32 v6, v7, v6
	v_cvt_f32_u32_e32 v6, v6
	v_sub_u32_e32 v7, 32, v8
	v_ldexp_f32 v6, v6, v7
	v_bfe_u32 v7, v6, 16, 1
	v_add3_u32 v6, v6, v7, s6
	v_lshrrev_b32_e32 v6, 16, v6
	s_branch .LBB30_148
.LBB30_147:
	s_mov_b64 s[16:17], -1
                                        ; implicit-def: $vgpr6
.LBB30_148:
	s_mov_b64 s[6:7], 0
.LBB30_149:
	s_and_b64 vcc, exec, s[6:7]
	s_cbranch_vccz .LBB30_167
; %bb.150:
	v_cmp_gt_i16_e32 vcc, 27, v3
	s_cbranch_vccnz .LBB30_153
; %bb.151:
	v_cmp_lt_i16_e32 vcc, 27, v3
	s_cbranch_vccz .LBB30_154
; %bb.152:
	global_load_dword v6, v[0:1], off
	s_movk_i32 s0, 0x7fff
	s_waitcnt vmcnt(0)
	v_cvt_f32_u32_e32 v6, v6
	v_bfe_u32 v7, v6, 16, 1
	v_add3_u32 v6, v6, v7, s0
	v_lshrrev_b32_e32 v6, 16, v6
	s_mov_b64 s[0:1], 0
	s_branch .LBB30_155
.LBB30_153:
	s_mov_b64 s[0:1], -1
                                        ; implicit-def: $vgpr6
	s_branch .LBB30_158
.LBB30_154:
	s_mov_b64 s[0:1], -1
                                        ; implicit-def: $vgpr6
.LBB30_155:
	s_andn2_b64 vcc, exec, s[0:1]
	s_cbranch_vccnz .LBB30_157
; %bb.156:
	global_load_ushort v6, v[0:1], off
	s_movk_i32 s0, 0x7fff
	s_waitcnt vmcnt(0)
	v_cvt_f32_u32_e32 v6, v6
	v_bfe_u32 v7, v6, 16, 1
	v_add3_u32 v6, v6, v7, s0
	v_lshrrev_b32_e32 v6, 16, v6
.LBB30_157:
	s_mov_b64 s[0:1], 0
.LBB30_158:
	s_andn2_b64 vcc, exec, s[0:1]
	s_cbranch_vccnz .LBB30_166
; %bb.159:
	global_load_ubyte v6, v[0:1], off
	s_movk_i32 s0, 0x7f
                                        ; implicit-def: $sgpr24
	s_waitcnt vmcnt(0)
	v_cmp_lt_i16_e32 vcc, s0, v6
	s_mov_b64 s[0:1], 0
	s_and_saveexec_b64 s[6:7], vcc
	s_xor_b64 s[6:7], exec, s[6:7]
	s_cbranch_execz .LBB30_179
; %bb.160:
	s_movk_i32 s0, 0x80
	v_cmp_eq_u16_e32 vcc, s0, v6
	s_mov_b64 s[0:1], -1
                                        ; implicit-def: $sgpr24
	s_and_saveexec_b64 s[20:21], vcc
; %bb.161:
	s_mov_b32 s24, 0x7f800001
	s_xor_b64 s[0:1], exec, -1
; %bb.162:
	s_or_b64 exec, exec, s[20:21]
	s_and_b64 s[0:1], s[0:1], exec
	s_or_saveexec_b64 s[6:7], s[6:7]
	v_mov_b32_e32 v7, s24
	s_xor_b64 exec, exec, s[6:7]
	s_cbranch_execnz .LBB30_180
.LBB30_163:
	s_or_b64 exec, exec, s[6:7]
	s_and_saveexec_b64 s[6:7], s[0:1]
	s_cbranch_execz .LBB30_165
.LBB30_164:
	v_lshlrev_b32_e32 v7, 24, v6
	v_and_b32_e32 v6, 0xffff, v6
	v_and_b32_e32 v8, 7, v6
	v_ffbh_u32_e32 v10, v8
	v_min_u32_e32 v10, 32, v10
	v_subrev_u32_e32 v11, 28, v10
	v_bfe_u32 v9, v6, 3, 4
	v_lshlrev_b32_e32 v6, v11, v6
	v_sub_u32_e32 v10, 29, v10
	v_and_b32_e32 v6, 7, v6
	v_cmp_eq_u32_e32 vcc, 0, v9
	v_cndmask_b32_e32 v9, v9, v10, vcc
	v_cndmask_b32_e32 v6, v8, v6, vcc
	v_mov_b32_e32 v8, 0x3b800000
	v_lshlrev_b32_e32 v6, 20, v6
	v_and_b32_e32 v7, 0x80000000, v7
	v_lshl_add_u32 v8, v9, 23, v8
	v_or3_b32 v7, v7, v8, v6
.LBB30_165:
	s_or_b64 exec, exec, s[6:7]
	v_bfe_u32 v6, v7, 16, 1
	s_movk_i32 s0, 0x7fff
	v_add3_u32 v6, v7, v6, s0
	v_lshrrev_b32_e32 v6, 16, v6
	v_mov_b32_e32 v8, 0x7fc0
	v_cmp_o_f32_e32 vcc, v7, v7
	v_cndmask_b32_e32 v6, v8, v6, vcc
.LBB30_166:
	s_mov_b64 s[0:1], -1
.LBB30_167:
	s_branch .LBB30_202
.LBB30_168:
	v_cmp_lt_i16_e32 vcc, 22, v3
	s_cbranch_vccz .LBB30_178
; %bb.169:
	v_cmp_gt_i16_e32 vcc, 24, v3
	s_cbranch_vccnz .LBB30_181
; %bb.170:
	v_cmp_lt_i16_e32 vcc, 24, v3
	s_cbranch_vccz .LBB30_182
; %bb.171:
	global_load_ubyte v6, v[0:1], off
	s_movk_i32 s0, 0x7f
                                        ; implicit-def: $sgpr24
	s_waitcnt vmcnt(0)
	v_cmp_lt_i16_e32 vcc, s0, v6
	s_mov_b64 s[0:1], 0
	s_and_saveexec_b64 s[6:7], vcc
	s_xor_b64 s[6:7], exec, s[6:7]
	s_cbranch_execz .LBB30_194
; %bb.172:
	s_movk_i32 s0, 0x80
	v_cmp_eq_u16_e32 vcc, s0, v6
	s_mov_b64 s[0:1], -1
                                        ; implicit-def: $sgpr24
	s_and_saveexec_b64 s[20:21], vcc
; %bb.173:
	s_mov_b32 s24, 0x7f800001
	s_xor_b64 s[0:1], exec, -1
; %bb.174:
	s_or_b64 exec, exec, s[20:21]
	s_and_b64 s[0:1], s[0:1], exec
	s_or_saveexec_b64 s[6:7], s[6:7]
	v_mov_b32_e32 v7, s24
	s_xor_b64 exec, exec, s[6:7]
	s_cbranch_execnz .LBB30_195
.LBB30_175:
	s_or_b64 exec, exec, s[6:7]
	s_and_saveexec_b64 s[6:7], s[0:1]
	s_cbranch_execz .LBB30_177
.LBB30_176:
	v_lshlrev_b32_e32 v7, 24, v6
	v_and_b32_e32 v6, 0xffff, v6
	v_and_b32_e32 v8, 3, v6
	v_ffbh_u32_e32 v10, v8
	v_min_u32_e32 v10, 32, v10
	v_subrev_u32_e32 v11, 29, v10
	v_bfe_u32 v9, v6, 2, 5
	v_lshlrev_b32_e32 v6, v11, v6
	v_sub_u32_e32 v10, 30, v10
	v_and_b32_e32 v6, 3, v6
	v_cmp_eq_u32_e32 vcc, 0, v9
	v_cndmask_b32_e32 v9, v9, v10, vcc
	v_cndmask_b32_e32 v6, v8, v6, vcc
	v_mov_b32_e32 v8, 0x37800000
	v_lshlrev_b32_e32 v6, 21, v6
	v_and_b32_e32 v7, 0x80000000, v7
	v_lshl_add_u32 v8, v9, 23, v8
	v_or3_b32 v7, v7, v8, v6
.LBB30_177:
	s_or_b64 exec, exec, s[6:7]
	v_bfe_u32 v6, v7, 16, 1
	s_movk_i32 s0, 0x7fff
	v_add3_u32 v6, v7, v6, s0
	v_lshrrev_b32_e32 v6, 16, v6
	v_mov_b32_e32 v8, 0x7fc0
	v_cmp_o_f32_e32 vcc, v7, v7
	v_cndmask_b32_e32 v6, v8, v6, vcc
	s_mov_b64 s[0:1], 0
	s_branch .LBB30_183
.LBB30_178:
	s_mov_b64 s[6:7], -1
                                        ; implicit-def: $vgpr6
	s_branch .LBB30_189
.LBB30_179:
	s_or_saveexec_b64 s[6:7], s[6:7]
	v_mov_b32_e32 v7, s24
	s_xor_b64 exec, exec, s[6:7]
	s_cbranch_execz .LBB30_163
.LBB30_180:
	v_cmp_ne_u16_e32 vcc, 0, v6
	s_andn2_b64 s[0:1], s[0:1], exec
	s_and_b64 s[20:21], vcc, exec
	v_mov_b32_e32 v7, 0
	s_or_b64 s[0:1], s[0:1], s[20:21]
	s_or_b64 exec, exec, s[6:7]
	s_and_saveexec_b64 s[6:7], s[0:1]
	s_cbranch_execnz .LBB30_164
	s_branch .LBB30_165
.LBB30_181:
	s_mov_b64 s[0:1], -1
                                        ; implicit-def: $vgpr6
	s_branch .LBB30_186
.LBB30_182:
	s_mov_b64 s[0:1], -1
                                        ; implicit-def: $vgpr6
.LBB30_183:
	s_and_b64 vcc, exec, s[0:1]
	s_cbranch_vccz .LBB30_185
; %bb.184:
	global_load_ubyte v6, v[0:1], off
	s_mov_b32 s0, 0x7f800000
	s_brev_b32 s1, 1
	s_movk_i32 s6, 0x7fff
	v_mov_b32_e32 v7, 0x7fc0
	s_waitcnt vmcnt(0)
	v_lshlrev_b32_e32 v6, 24, v6
	v_and_b32_e32 v8, 0x7f000000, v6
	v_ffbh_u32_e32 v9, v8
	v_min_u32_e32 v9, 32, v9
	v_sub_u32_e64 v9, v9, 4 clamp
	v_lshlrev_b32_e32 v11, v9, v8
	v_lshlrev_b32_e32 v9, 23, v9
	v_lshrrev_b32_e32 v11, 4, v11
	v_add_u32_e32 v10, 0x1000000, v8
	v_sub_u32_e32 v9, v11, v9
	v_ashrrev_i32_e32 v10, 8, v10
	v_add_u32_e32 v9, 0x3c000000, v9
	v_and_or_b32 v9, v10, s0, v9
	v_cmp_ne_u32_e32 vcc, 0, v8
	v_cndmask_b32_e32 v8, 0, v9, vcc
	v_and_or_b32 v6, v6, s1, v8
	v_bfe_u32 v8, v8, 16, 1
	v_add3_u32 v8, v6, v8, s6
	v_lshrrev_b32_e32 v8, 16, v8
	v_cmp_o_f32_e32 vcc, v6, v6
	v_cndmask_b32_e32 v6, v7, v8, vcc
.LBB30_185:
	s_mov_b64 s[0:1], 0
.LBB30_186:
	s_andn2_b64 vcc, exec, s[0:1]
	s_cbranch_vccnz .LBB30_188
; %bb.187:
	global_load_ubyte v6, v[0:1], off
	s_movk_i32 s0, 0x7f00
	s_brev_b32 s1, 16
	s_brev_b32 s6, 1
	s_movk_i32 s7, 0x7fff
	v_mov_b32_e32 v7, 0x7fc0
	s_waitcnt vmcnt(0)
	v_lshlrev_b16_e32 v8, 8, v6
	v_lshlrev_b32_e32 v6, 25, v6
	v_lshrrev_b32_e32 v9, 4, v6
	v_and_or_b32 v10, v8, s0, 0.5
	v_or_b32_e32 v9, 0x70000000, v9
	v_add_f32_e32 v10, -0.5, v10
	v_mul_f32_e32 v9, 0x7800000, v9
	v_cmp_gt_u32_e32 vcc, s1, v6
	v_bfe_i32 v8, v8, 0, 16
	v_cndmask_b32_e32 v6, v9, v10, vcc
	v_and_or_b32 v8, v8, s6, v6
	v_bfe_u32 v6, v6, 16, 1
	v_add3_u32 v6, v8, v6, s7
	v_lshrrev_b32_e32 v6, 16, v6
	v_cmp_o_f32_e32 vcc, v8, v8
	v_cndmask_b32_e32 v6, v7, v6, vcc
.LBB30_188:
	s_mov_b64 s[6:7], 0
	s_mov_b64 s[0:1], -1
.LBB30_189:
	s_andn2_b64 vcc, exec, s[6:7]
	s_cbranch_vccnz .LBB30_202
; %bb.190:
	v_cmp_lt_i16_e32 vcc, 14, v3
	s_cbranch_vccz .LBB30_193
; %bb.191:
	v_cmp_eq_u16_e32 vcc, 15, v3
	s_cbranch_vccz .LBB30_196
; %bb.192:
	global_load_ushort v6, v[0:1], off
	s_mov_b64 s[0:1], -1
	s_mov_b64 s[16:17], 0
	s_branch .LBB30_197
.LBB30_193:
	s_mov_b64 s[6:7], -1
                                        ; implicit-def: $vgpr6
	s_branch .LBB30_198
.LBB30_194:
	s_or_saveexec_b64 s[6:7], s[6:7]
	v_mov_b32_e32 v7, s24
	s_xor_b64 exec, exec, s[6:7]
	s_cbranch_execz .LBB30_175
.LBB30_195:
	v_cmp_ne_u16_e32 vcc, 0, v6
	s_andn2_b64 s[0:1], s[0:1], exec
	s_and_b64 s[20:21], vcc, exec
	v_mov_b32_e32 v7, 0
	s_or_b64 s[0:1], s[0:1], s[20:21]
	s_or_b64 exec, exec, s[6:7]
	s_and_saveexec_b64 s[6:7], s[0:1]
	s_cbranch_execnz .LBB30_176
	s_branch .LBB30_177
.LBB30_196:
	s_mov_b64 s[16:17], -1
                                        ; implicit-def: $vgpr6
.LBB30_197:
	s_mov_b64 s[6:7], 0
.LBB30_198:
	s_and_b64 vcc, exec, s[6:7]
	s_cbranch_vccz .LBB30_202
; %bb.199:
	v_cmp_eq_u16_e32 vcc, 11, v3
	s_cbranch_vccz .LBB30_201
; %bb.200:
	global_load_ubyte v6, v[0:1], off
	s_mov_b64 s[0:1], -1
	s_mov_b64 s[16:17], 0
	s_waitcnt vmcnt(0)
	v_cmp_ne_u16_e32 vcc, 0, v6
	v_cndmask_b32_e64 v6, 0, 1.0, vcc
	v_lshrrev_b32_e32 v6, 16, v6
	s_branch .LBB30_202
.LBB30_201:
	s_mov_b64 s[16:17], -1
                                        ; implicit-def: $vgpr6
.LBB30_202:
	s_branch .LBB30_10
.LBB30_203:
	v_cmp_gt_i16_e32 vcc, 5, v3
	s_cbranch_vccnz .LBB30_208
; %bb.204:
	v_cmp_gt_i16_e32 vcc, 8, v3
	s_cbranch_vccnz .LBB30_209
; %bb.205:
	;; [unrolled: 3-line block ×3, first 2 shown]
	v_cmp_lt_i16_e32 vcc, 9, v3
	s_cbranch_vccz .LBB30_211
; %bb.207:
	global_load_dwordx2 v[6:7], v[0:1], off
	s_movk_i32 s0, 0x7fff
	v_mov_b32_e32 v8, 0x7fc0
	s_waitcnt vmcnt(0)
	v_cvt_f32_f64_e32 v6, v[6:7]
	v_bfe_u32 v7, v6, 16, 1
	v_add3_u32 v7, v6, v7, s0
	v_lshrrev_b32_e32 v7, 16, v7
	v_cmp_o_f32_e32 vcc, v6, v6
	v_cndmask_b32_e32 v6, v8, v7, vcc
	s_mov_b64 s[0:1], 0
	s_branch .LBB30_212
.LBB30_208:
                                        ; implicit-def: $vgpr6
	s_branch .LBB30_230
.LBB30_209:
	s_mov_b64 s[0:1], -1
                                        ; implicit-def: $vgpr6
	s_branch .LBB30_218
.LBB30_210:
	s_mov_b64 s[0:1], -1
                                        ; implicit-def: $vgpr6
	s_branch .LBB30_215
.LBB30_211:
	s_mov_b64 s[0:1], -1
                                        ; implicit-def: $vgpr6
.LBB30_212:
	s_andn2_b64 vcc, exec, s[0:1]
	s_cbranch_vccnz .LBB30_214
; %bb.213:
	global_load_dword v6, v[0:1], off
	s_movk_i32 s0, 0x7fff
	v_mov_b32_e32 v7, 0x7fc0
	s_waitcnt vmcnt(0)
	v_bfe_u32 v8, v6, 16, 1
	v_add3_u32 v8, v6, v8, s0
	v_lshrrev_b32_e32 v8, 16, v8
	v_cmp_o_f32_e32 vcc, v6, v6
	v_cndmask_b32_e32 v6, v7, v8, vcc
.LBB30_214:
	s_mov_b64 s[0:1], 0
.LBB30_215:
	s_andn2_b64 vcc, exec, s[0:1]
	s_cbranch_vccnz .LBB30_217
; %bb.216:
	global_load_dword v6, v[0:1], off
	s_movk_i32 s0, 0x7fff
	v_mov_b32_e32 v8, 0x7fc0
	s_waitcnt vmcnt(0)
	v_cvt_f32_f16_e32 v7, v6
	v_cmp_o_f16_e32 vcc, v6, v6
	v_bfe_u32 v9, v7, 16, 1
	v_add3_u32 v7, v7, v9, s0
	v_lshrrev_b32_e32 v7, 16, v7
	v_cndmask_b32_e32 v6, v8, v7, vcc
.LBB30_217:
	s_mov_b64 s[0:1], 0
.LBB30_218:
	s_andn2_b64 vcc, exec, s[0:1]
	s_cbranch_vccnz .LBB30_229
; %bb.219:
	v_cmp_gt_i16_e32 vcc, 6, v3
	s_cbranch_vccnz .LBB30_222
; %bb.220:
	v_cmp_lt_i16_e32 vcc, 6, v3
	s_cbranch_vccz .LBB30_223
; %bb.221:
	global_load_dwordx2 v[6:7], v[0:1], off
	s_movk_i32 s0, 0x7fff
	v_mov_b32_e32 v8, 0x7fc0
	s_waitcnt vmcnt(0)
	v_cvt_f32_f64_e32 v6, v[6:7]
	v_bfe_u32 v7, v6, 16, 1
	v_add3_u32 v7, v6, v7, s0
	v_lshrrev_b32_e32 v7, 16, v7
	v_cmp_o_f32_e32 vcc, v6, v6
	v_cndmask_b32_e32 v6, v8, v7, vcc
	s_mov_b64 s[0:1], 0
	s_branch .LBB30_224
.LBB30_222:
	s_mov_b64 s[0:1], -1
                                        ; implicit-def: $vgpr6
	s_branch .LBB30_227
.LBB30_223:
	s_mov_b64 s[0:1], -1
                                        ; implicit-def: $vgpr6
.LBB30_224:
	s_andn2_b64 vcc, exec, s[0:1]
	s_cbranch_vccnz .LBB30_226
; %bb.225:
	global_load_dword v6, v[0:1], off
	s_movk_i32 s0, 0x7fff
	v_mov_b32_e32 v7, 0x7fc0
	s_waitcnt vmcnt(0)
	v_bfe_u32 v8, v6, 16, 1
	v_add3_u32 v8, v6, v8, s0
	v_lshrrev_b32_e32 v8, 16, v8
	v_cmp_o_f32_e32 vcc, v6, v6
	v_cndmask_b32_e32 v6, v7, v8, vcc
.LBB30_226:
	s_mov_b64 s[0:1], 0
.LBB30_227:
	s_andn2_b64 vcc, exec, s[0:1]
	s_cbranch_vccnz .LBB30_229
; %bb.228:
	global_load_ushort v6, v[0:1], off
	s_movk_i32 s0, 0x7fff
	v_mov_b32_e32 v8, 0x7fc0
	s_waitcnt vmcnt(0)
	v_cvt_f32_f16_e32 v7, v6
	v_cmp_o_f16_e32 vcc, v6, v6
	v_bfe_u32 v9, v7, 16, 1
	v_add3_u32 v7, v7, v9, s0
	v_lshrrev_b32_e32 v7, 16, v7
	v_cndmask_b32_e32 v6, v8, v7, vcc
.LBB30_229:
	s_cbranch_execnz .LBB30_249
.LBB30_230:
	v_cmp_gt_i16_e32 vcc, 2, v3
	s_cbranch_vccnz .LBB30_234
; %bb.231:
	v_cmp_gt_i16_e32 vcc, 3, v3
	s_cbranch_vccnz .LBB30_235
; %bb.232:
	v_cmp_lt_i16_e32 vcc, 3, v3
	s_cbranch_vccz .LBB30_236
; %bb.233:
	global_load_dwordx2 v[6:7], v[0:1], off
	s_movk_i32 s0, 0x7fff
	s_waitcnt vmcnt(0)
	v_xor_b32_e32 v9, v6, v7
	v_ffbh_i32_e32 v8, v7
	v_ashrrev_i32_e32 v9, 31, v9
	v_add_u32_e32 v8, -1, v8
	v_add_u32_e32 v9, 32, v9
	v_min_u32_e32 v8, v8, v9
	v_lshlrev_b64 v[6:7], v8, v[6:7]
	v_min_u32_e32 v6, 1, v6
	v_or_b32_e32 v6, v7, v6
	v_cvt_f32_i32_e32 v6, v6
	v_sub_u32_e32 v7, 32, v8
	v_ldexp_f32 v6, v6, v7
	v_bfe_u32 v7, v6, 16, 1
	v_add3_u32 v6, v6, v7, s0
	v_lshrrev_b32_e32 v6, 16, v6
	s_mov_b64 s[0:1], 0
	s_branch .LBB30_237
.LBB30_234:
	s_mov_b64 s[0:1], -1
                                        ; implicit-def: $vgpr6
	s_branch .LBB30_243
.LBB30_235:
	s_mov_b64 s[0:1], -1
                                        ; implicit-def: $vgpr6
	s_branch .LBB30_240
.LBB30_236:
	s_mov_b64 s[0:1], -1
                                        ; implicit-def: $vgpr6
.LBB30_237:
	s_andn2_b64 vcc, exec, s[0:1]
	s_cbranch_vccnz .LBB30_239
; %bb.238:
	global_load_dword v6, v[0:1], off
	s_movk_i32 s0, 0x7fff
	s_waitcnt vmcnt(0)
	v_cvt_f32_i32_e32 v6, v6
	v_bfe_u32 v7, v6, 16, 1
	v_add3_u32 v6, v6, v7, s0
	v_lshrrev_b32_e32 v6, 16, v6
.LBB30_239:
	s_mov_b64 s[0:1], 0
.LBB30_240:
	s_andn2_b64 vcc, exec, s[0:1]
	s_cbranch_vccnz .LBB30_242
; %bb.241:
	global_load_sshort v6, v[0:1], off
	s_movk_i32 s0, 0x7fff
	s_waitcnt vmcnt(0)
	v_cvt_f32_i32_e32 v6, v6
	v_bfe_u32 v7, v6, 16, 1
	v_add3_u32 v6, v6, v7, s0
	v_lshrrev_b32_e32 v6, 16, v6
.LBB30_242:
	s_mov_b64 s[0:1], 0
.LBB30_243:
	s_andn2_b64 vcc, exec, s[0:1]
	s_cbranch_vccnz .LBB30_249
; %bb.244:
	v_cmp_lt_i16_e32 vcc, 0, v3
	s_cbranch_vccz .LBB30_246
; %bb.245:
	global_load_sbyte v6, v[0:1], off
	s_movk_i32 s0, 0x7fff
	s_waitcnt vmcnt(0)
	v_cvt_f32_i32_e32 v6, v6
	v_bfe_u32 v7, v6, 16, 1
	v_add3_u32 v6, v6, v7, s0
	v_lshrrev_b32_e32 v6, 16, v6
	s_mov_b64 s[0:1], 0
	s_branch .LBB30_247
.LBB30_246:
	s_mov_b64 s[0:1], -1
                                        ; implicit-def: $vgpr6
.LBB30_247:
	s_andn2_b64 vcc, exec, s[0:1]
	s_cbranch_vccnz .LBB30_249
; %bb.248:
	global_load_ubyte v0, v[0:1], off
	s_movk_i32 s0, 0x7fff
	s_waitcnt vmcnt(0)
	v_cvt_f32_ubyte0_e32 v0, v0
	v_bfe_u32 v1, v0, 16, 1
	v_add3_u32 v0, v0, v1, s0
	v_lshrrev_b32_e32 v6, 16, v0
.LBB30_249:
	s_branch .LBB30_11
.LBB30_250:
	s_mov_b64 s[0:1], 0
                                        ; implicit-def: $vgpr2
	s_mov_b64 s[20:21], 0
.LBB30_251:
	s_and_b64 s[6:7], s[0:1], exec
	s_and_b64 s[16:17], s[16:17], exec
	s_orn2_b64 s[20:21], s[20:21], exec
.LBB30_252:
	s_or_b64 exec, exec, s[18:19]
	s_mov_b64 s[24:25], 0
	s_mov_b64 s[0:1], 0
                                        ; implicit-def: $vgpr0_vgpr1
                                        ; implicit-def: $vgpr7
	s_and_saveexec_b64 s[18:19], s[20:21]
	s_cbranch_execz .LBB30_261
; %bb.253:
	v_cmp_gt_i32_e32 vcc, s33, v2
	s_mov_b64 s[0:1], -1
	s_mov_b64 s[20:21], s[16:17]
	s_mov_b64 s[22:23], s[6:7]
	s_and_saveexec_b64 s[24:25], vcc
	s_cbranch_execz .LBB30_514
; %bb.254:
	v_mul_lo_u32 v0, v2, s13
	v_ashrrev_i32_e32 v1, 31, v0
	s_waitcnt vmcnt(0)
	v_mov_b32_e32 v6, s11
	v_add_co_u32_e32 v0, vcc, s10, v0
	v_addc_co_u32_e32 v1, vcc, v6, v1, vcc
	v_cmp_gt_i16_e32 vcc, 11, v3
	s_cbranch_vccnz .LBB30_264
; %bb.255:
	v_cmp_lt_i16_e32 vcc, 25, v3
	s_cbranch_vccz .LBB30_273
; %bb.256:
	v_cmp_lt_i16_e32 vcc, 28, v3
	s_cbranch_vccz .LBB30_275
	;; [unrolled: 3-line block ×4, first 2 shown]
; %bb.259:
	v_cmp_eq_u16_e32 vcc, 46, v3
	s_mov_b64 s[22:23], 0
	s_cbranch_vccz .LBB30_285
; %bb.260:
	global_load_dword v6, v[0:1], off
	s_mov_b64 s[20:21], 0
	s_branch .LBB30_286
.LBB30_261:
	s_or_b64 exec, exec, s[18:19]
	s_mov_b64 s[18:19], 0
	s_and_saveexec_b64 s[20:21], s[16:17]
	s_cbranch_execnz .LBB30_861
.LBB30_262:
	s_or_b64 exec, exec, s[20:21]
	s_and_saveexec_b64 s[16:17], s[22:23]
	s_xor_b64 s[16:17], exec, s[16:17]
	s_cbranch_execz .LBB30_862
.LBB30_263:
	global_load_ubyte v6, v[0:1], off
	s_or_b64 s[0:1], s[0:1], exec
	s_waitcnt vmcnt(0)
	v_cmp_ne_u16_e32 vcc, 0, v6
	v_cndmask_b32_e64 v6, 0, 1.0, vcc
	v_lshrrev_b32_e32 v7, 16, v6
	s_or_b64 exec, exec, s[16:17]
	s_and_saveexec_b64 s[16:17], s[24:25]
	s_cbranch_execz .LBB30_908
	s_branch .LBB30_863
.LBB30_264:
	s_mov_b64 s[0:1], 0
                                        ; implicit-def: $vgpr6
	s_mov_b64 s[20:21], s[16:17]
	s_cbranch_execnz .LBB30_463
.LBB30_265:
	s_andn2_b64 vcc, exec, s[0:1]
	s_cbranch_vccnz .LBB30_511
.LBB30_266:
	s_waitcnt vmcnt(0)
	v_and_b32_e32 v0, 0xffff8000, v6
	v_or_b32_e32 v6, v0, v5
	v_mul_lo_u32 v0, v2, s12
	v_ashrrev_i32_e32 v1, 31, v0
	v_mov_b32_e32 v7, s9
	v_add_co_u32_e32 v0, vcc, s8, v0
	v_addc_co_u32_e32 v1, vcc, v7, v1, vcc
	v_mov_b32_e32 v7, 11
	v_cmp_lt_i16_sdwa s[0:1], s15, v7 src0_sel:BYTE_0 src1_sel:DWORD
	s_and_b64 vcc, exec, s[0:1]
	s_cbranch_vccnz .LBB30_274
; %bb.267:
	v_mov_b32_e32 v7, 25
	v_cmp_gt_i16_sdwa s[0:1], s15, v7 src0_sel:BYTE_0 src1_sel:DWORD
	s_and_b64 vcc, exec, s[0:1]
	s_cbranch_vccz .LBB30_276
; %bb.268:
	v_mov_b32_e32 v7, 28
	v_cmp_gt_i16_sdwa s[0:1], s15, v7 src0_sel:BYTE_0 src1_sel:DWORD
	s_and_b64 vcc, exec, s[0:1]
	s_cbranch_vccz .LBB30_278
	;; [unrolled: 5-line block ×4, first 2 shown]
; %bb.271:
	v_mov_b32_e32 v7, 46
	v_cmp_eq_u16_sdwa s[22:23], s15, v7 src0_sel:BYTE_0 src1_sel:DWORD
	s_mov_b64 s[26:27], 0
	s_mov_b64 s[0:1], -1
	s_and_b64 vcc, exec, s[22:23]
	s_mov_b64 s[22:23], 0
	s_cbranch_vccz .LBB30_290
; %bb.272:
	v_and_b32_e32 v7, 0xffff, v6
	global_store_dword v[0:1], v7, off
	s_mov_b64 s[22:23], -1
	s_mov_b64 s[0:1], 0
	s_branch .LBB30_290
.LBB30_273:
	s_mov_b64 s[22:23], -1
	s_mov_b64 s[0:1], 0
	s_mov_b64 s[20:21], s[16:17]
                                        ; implicit-def: $vgpr6
	s_branch .LBB30_427
.LBB30_274:
	s_mov_b64 s[26:27], -1
	s_mov_b64 s[22:23], 0
	s_mov_b64 s[0:1], s[6:7]
	s_branch .LBB30_359
.LBB30_275:
	s_mov_b64 s[22:23], -1
	s_mov_b64 s[0:1], 0
	s_mov_b64 s[20:21], s[16:17]
                                        ; implicit-def: $vgpr6
	s_branch .LBB30_408
.LBB30_276:
	s_mov_b64 s[26:27], -1
	s_mov_b64 s[22:23], 0
	s_mov_b64 s[0:1], s[6:7]
	s_branch .LBB30_317
.LBB30_277:
	s_mov_b64 s[22:23], -1
	s_mov_b64 s[0:1], 0
	s_mov_b64 s[20:21], s[16:17]
                                        ; implicit-def: $vgpr6
	s_branch .LBB30_403
.LBB30_278:
	s_mov_b64 s[26:27], -1
	s_mov_b64 s[22:23], 0
	s_mov_b64 s[0:1], s[6:7]
	s_branch .LBB30_300
.LBB30_279:
	s_or_saveexec_b64 s[24:25], s[24:25]
                                        ; implicit-def: $sgpr26
	s_xor_b64 exec, exec, s[24:25]
	s_cbranch_execz .LBB30_55
.LBB30_280:
	s_mov_b32 s26, 0x46000000
	v_add_f32_e64 v8, |v9|, s26
	v_and_b32_e32 v8, 0xff, v8
	v_cmp_ne_u32_e32 vcc, 0, v8
	s_andn2_b64 s[20:21], s[20:21], exec
	s_and_b64 s[28:29], vcc, exec
	s_mov_b32 s26, 0
	s_or_b64 s[20:21], s[20:21], s[28:29]
	s_or_b64 exec, exec, s[24:25]
	v_mov_b32_e32 v10, s26
	s_and_saveexec_b64 s[24:25], s[20:21]
	s_cbranch_execnz .LBB30_56
	s_branch .LBB30_57
.LBB30_281:
	s_mov_b64 s[22:23], -1
	s_mov_b64 s[0:1], 0
	s_mov_b64 s[20:21], s[16:17]
                                        ; implicit-def: $vgpr6
	s_branch .LBB30_286
.LBB30_282:
	s_mov_b64 s[26:27], -1
	s_mov_b64 s[22:23], 0
	s_mov_b64 s[0:1], s[6:7]
	s_branch .LBB30_296
.LBB30_283:
	s_or_saveexec_b64 s[24:25], s[24:25]
                                        ; implicit-def: $sgpr26
	s_xor_b64 exec, exec, s[24:25]
	s_cbranch_execz .LBB30_68
.LBB30_284:
	s_mov_b32 s26, 0x42800000
	v_add_f32_e64 v8, |v9|, s26
	v_and_b32_e32 v8, 0xff, v8
	v_cmp_ne_u32_e32 vcc, 0, v8
	s_andn2_b64 s[20:21], s[20:21], exec
	s_and_b64 s[28:29], vcc, exec
	s_mov_b32 s26, 0
	s_or_b64 s[20:21], s[20:21], s[28:29]
	s_or_b64 exec, exec, s[24:25]
	v_mov_b32_e32 v10, s26
	s_and_saveexec_b64 s[24:25], s[20:21]
	s_cbranch_execnz .LBB30_69
	s_branch .LBB30_70
.LBB30_285:
	s_mov_b64 s[20:21], -1
                                        ; implicit-def: $vgpr6
	s_mov_b64 s[0:1], 0
.LBB30_286:
	s_and_b64 vcc, exec, s[22:23]
	s_cbranch_vccz .LBB30_402
; %bb.287:
	v_cmp_eq_u16_e32 vcc, 44, v3
	s_cbranch_vccz .LBB30_401
; %bb.288:
	global_load_ubyte v6, v[0:1], off
	s_movk_i32 s20, 0xff
	v_mov_b32_e32 v7, 0x7f800001
	v_mov_b32_e32 v8, 0x400000
	;; [unrolled: 1-line block ×3, first 2 shown]
	s_mov_b64 s[0:1], -1
	s_waitcnt vmcnt(0)
	v_lshlrev_b32_e32 v10, 23, v6
	v_cmp_ne_u32_e32 vcc, s20, v6
	v_cndmask_b32_e32 v7, v7, v10, vcc
	v_cmp_ne_u32_e32 vcc, 0, v6
	v_cndmask_b32_e32 v6, v8, v7, vcc
	v_add_u32_e32 v7, 0x7fff, v6
	v_lshrrev_b32_e32 v7, 16, v7
	v_cmp_o_f32_e32 vcc, v6, v6
	v_cndmask_b32_e32 v6, v9, v7, vcc
	s_mov_b64 s[20:21], 0
	s_branch .LBB30_402
.LBB30_289:
	s_mov_b64 s[26:27], -1
	s_mov_b64 s[22:23], 0
	s_mov_b64 s[0:1], s[6:7]
.LBB30_290:
	s_and_b64 vcc, exec, s[26:27]
	s_cbranch_vccz .LBB30_295
; %bb.291:
	v_mov_b32_e32 v7, 44
	v_cmp_eq_u16_sdwa s[26:27], s15, v7 src0_sel:BYTE_0 src1_sel:DWORD
	s_mov_b64 s[0:1], -1
	s_and_b64 vcc, exec, s[26:27]
	s_cbranch_vccz .LBB30_295
; %bb.292:
	v_and_b32_e32 v8, 0xffff, v6
	v_bfe_u32 v7, v8, 7, 8
	s_movk_i32 s0, 0xff
	v_cmp_ne_u32_e32 vcc, s0, v7
	v_mov_b32_e32 v9, 0xff
	s_and_saveexec_b64 s[22:23], vcc
; %bb.293:
	v_lshlrev_b32_e32 v10, 16, v8
	s_mov_b32 s0, 0x3f0000
	v_lshrrev_b32_e32 v9, 7, v8
	v_and_b32_e32 v8, 64, v8
	v_and_or_b32 v7, v10, s0, v7
	v_cmp_ne_u32_e32 vcc, 0, v8
	v_cmp_ne_u32_e64 s[0:1], 0, v7
	s_and_b64 s[0:1], vcc, s[0:1]
	v_cndmask_b32_e64 v7, 0, 1, s[0:1]
	v_add_u32_e32 v9, v9, v7
; %bb.294:
	s_or_b64 exec, exec, s[22:23]
	s_mov_b64 s[22:23], -1
	s_mov_b64 s[0:1], 0
	global_store_byte v[0:1], v9, off
.LBB30_295:
	s_mov_b64 s[26:27], 0
.LBB30_296:
	s_and_b64 vcc, exec, s[26:27]
	s_cbranch_vccz .LBB30_299
; %bb.297:
	v_mov_b32_e32 v7, 29
	v_cmp_eq_u16_sdwa s[26:27], s15, v7 src0_sel:BYTE_0 src1_sel:DWORD
	s_mov_b64 s[0:1], -1
	s_and_b64 vcc, exec, s[26:27]
	s_cbranch_vccz .LBB30_299
; %bb.298:
	v_lshlrev_b32_e32 v7, 16, v6
	v_trunc_f32_e32 v7, v7
	v_mul_f32_e32 v8, 0x2f800000, v7
	v_floor_f32_e32 v8, v8
	v_fmac_f32_e32 v7, 0xcf800000, v8
	v_cvt_u32_f32_e32 v9, v8
	v_cvt_u32_f32_e32 v8, v7
	s_mov_b64 s[22:23], -1
	s_mov_b64 s[0:1], 0
	s_mov_b64 s[26:27], 0
	global_store_dwordx2 v[0:1], v[8:9], off
	s_branch .LBB30_300
.LBB30_299:
	s_mov_b64 s[26:27], 0
.LBB30_300:
	s_and_b64 vcc, exec, s[26:27]
	s_cbranch_vccz .LBB30_316
; %bb.301:
	v_mov_b32_e32 v7, 27
	v_cmp_lt_i16_sdwa s[26:27], s15, v7 src0_sel:BYTE_0 src1_sel:DWORD
	s_mov_b64 s[22:23], -1
	s_and_b64 vcc, exec, s[26:27]
	s_cbranch_vccnz .LBB30_307
; %bb.302:
	v_cmp_gt_i16_sdwa s[26:27], s15, v7 src0_sel:BYTE_0 src1_sel:DWORD
	s_and_b64 vcc, exec, s[26:27]
	s_cbranch_vccz .LBB30_304
; %bb.303:
	v_lshlrev_b32_e32 v7, 16, v6
	v_cvt_u32_f32_e32 v7, v7
	s_mov_b64 s[22:23], 0
	global_store_dword v[0:1], v7, off
.LBB30_304:
	s_andn2_b64 vcc, exec, s[22:23]
	s_cbranch_vccnz .LBB30_306
; %bb.305:
	v_lshlrev_b32_e32 v7, 16, v6
	v_cvt_u32_f32_e32 v7, v7
	global_store_short v[0:1], v7, off
.LBB30_306:
	s_mov_b64 s[22:23], 0
.LBB30_307:
	s_andn2_b64 vcc, exec, s[22:23]
	s_cbranch_vccnz .LBB30_315
; %bb.308:
	v_lshlrev_b32_e32 v9, 16, v6
	v_and_b32_e32 v8, 0x7fffffff, v9
	s_mov_b32 s22, 0x43800000
	v_cmp_gt_u32_e32 vcc, s22, v8
	v_mov_b32_e32 v10, 0x80
	s_and_saveexec_b64 s[22:23], vcc
	s_cbranch_execz .LBB30_314
; %bb.309:
	s_mov_b32 s26, 0x3bffffff
	v_and_b32_e32 v7, 0xffff, v6
	v_cmp_lt_u32_e32 vcc, s26, v8
	s_mov_b64 s[26:27], 0
                                        ; implicit-def: $vgpr8
	s_and_saveexec_b64 s[28:29], vcc
	s_xor_b64 s[28:29], exec, s[28:29]
	s_cbranch_execz .LBB30_527
; %bb.310:
	v_bfe_u32 v8, v7, 4, 1
	s_mov_b32 s30, 0x487ffff
	v_add3_u32 v8, v9, v8, s30
	s_mov_b64 s[26:27], exec
	v_lshrrev_b32_e32 v8, 20, v8
                                        ; implicit-def: $vgpr9
	s_or_saveexec_b64 s[28:29], s[28:29]
                                        ; implicit-def: $sgpr30
	s_xor_b64 exec, exec, s[28:29]
	s_cbranch_execnz .LBB30_528
.LBB30_311:
	s_or_b64 exec, exec, s[28:29]
	v_mov_b32_e32 v10, s30
	s_and_saveexec_b64 s[28:29], s[26:27]
.LBB30_312:
	v_lshrrev_b32_e32 v7, 8, v7
	s_movk_i32 s26, 0x80
	v_and_or_b32 v10, v7, s26, v8
.LBB30_313:
	s_or_b64 exec, exec, s[28:29]
.LBB30_314:
	s_or_b64 exec, exec, s[22:23]
	global_store_byte v[0:1], v10, off
.LBB30_315:
	s_mov_b64 s[22:23], -1
.LBB30_316:
	s_mov_b64 s[26:27], 0
.LBB30_317:
	s_and_b64 vcc, exec, s[26:27]
	s_cbranch_vccz .LBB30_358
; %bb.318:
	v_mov_b32_e32 v7, 22
	v_cmp_gt_i16_sdwa s[28:29], s15, v7 src0_sel:BYTE_0 src1_sel:DWORD
	s_mov_b64 s[26:27], -1
	s_and_b64 vcc, exec, s[28:29]
	s_cbranch_vccz .LBB30_350
; %bb.319:
	v_mov_b32_e32 v7, 24
	v_cmp_lt_i16_sdwa s[26:27], s15, v7 src0_sel:BYTE_0 src1_sel:DWORD
	s_mov_b64 s[22:23], -1
	s_and_b64 vcc, exec, s[26:27]
	s_cbranch_vccnz .LBB30_339
; %bb.320:
	v_cmp_gt_i16_sdwa s[26:27], s15, v7 src0_sel:BYTE_0 src1_sel:DWORD
	s_and_b64 vcc, exec, s[26:27]
	s_cbranch_vccz .LBB30_328
; %bb.321:
	v_lshlrev_b32_e32 v9, 16, v6
	v_and_b32_e32 v8, 0x7fffffff, v9
	s_mov_b32 s22, 0x47800000
	v_cmp_gt_u32_e32 vcc, s22, v8
	v_mov_b32_e32 v10, 0x80
	s_and_saveexec_b64 s[22:23], vcc
	s_cbranch_execz .LBB30_327
; %bb.322:
	s_mov_b32 s26, 0x37ffffff
	v_and_b32_e32 v7, 0xffff, v6
	v_cmp_lt_u32_e32 vcc, s26, v8
	s_mov_b64 s[26:27], 0
                                        ; implicit-def: $vgpr8
	s_and_saveexec_b64 s[28:29], vcc
	s_xor_b64 s[28:29], exec, s[28:29]
	s_cbranch_execz .LBB30_530
; %bb.323:
	v_bfe_u32 v8, v7, 5, 1
	s_mov_b32 s30, 0x88fffff
	v_add3_u32 v8, v9, v8, s30
	s_mov_b64 s[26:27], exec
	v_lshrrev_b32_e32 v8, 21, v8
                                        ; implicit-def: $vgpr9
	s_or_saveexec_b64 s[28:29], s[28:29]
                                        ; implicit-def: $sgpr30
	s_xor_b64 exec, exec, s[28:29]
	s_cbranch_execnz .LBB30_531
.LBB30_324:
	s_or_b64 exec, exec, s[28:29]
	v_mov_b32_e32 v10, s30
	s_and_saveexec_b64 s[28:29], s[26:27]
.LBB30_325:
	v_lshrrev_b32_e32 v7, 8, v7
	s_movk_i32 s26, 0x80
	v_and_or_b32 v10, v7, s26, v8
.LBB30_326:
	s_or_b64 exec, exec, s[28:29]
.LBB30_327:
	s_or_b64 exec, exec, s[22:23]
	s_mov_b64 s[22:23], 0
	global_store_byte v[0:1], v10, off
.LBB30_328:
	s_and_b64 vcc, exec, s[22:23]
	s_cbranch_vccz .LBB30_338
; %bb.329:
	v_lshlrev_b32_e32 v9, 16, v6
	v_and_b32_e32 v10, 0x7fffffff, v9
	s_mov_b32 s22, 0x43f00000
	v_and_b32_e32 v7, 0xffff, v6
	v_cmp_gt_u32_e32 vcc, s22, v10
                                        ; implicit-def: $vgpr8
	s_and_saveexec_b64 s[22:23], vcc
	s_xor_b64 s[22:23], exec, s[22:23]
	s_cbranch_execz .LBB30_335
; %bb.330:
	s_mov_b32 s26, 0x3c7fffff
	v_cmp_lt_u32_e32 vcc, s26, v10
                                        ; implicit-def: $vgpr8
	s_and_saveexec_b64 s[26:27], vcc
	s_xor_b64 s[26:27], exec, s[26:27]
; %bb.331:
	v_bfe_u32 v8, v7, 4, 1
	s_mov_b32 s28, 0x407ffff
	v_add3_u32 v8, v9, v8, s28
	v_lshrrev_b32_e32 v9, 20, v8
	v_and_b32_e32 v8, 0xff00000, v8
	s_mov_b32 s28, 0x7f00000
	v_mov_b32_e32 v10, 0x7e
	v_cmp_ne_u32_e32 vcc, s28, v8
	v_cndmask_b32_e32 v8, v10, v9, vcc
                                        ; implicit-def: $vgpr9
; %bb.332:
	s_andn2_saveexec_b64 s[26:27], s[26:27]
; %bb.333:
	s_mov_b32 s28, 0x46800000
	v_add_f32_e64 v8, |v9|, s28
; %bb.334:
	s_or_b64 exec, exec, s[26:27]
                                        ; implicit-def: $vgpr10
.LBB30_335:
	s_andn2_saveexec_b64 s[22:23], s[22:23]
; %bb.336:
	s_mov_b32 s26, 0x7f800000
	v_mov_b32_e32 v8, 0x7e
	v_mov_b32_e32 v9, 0x7f
	v_cmp_lt_u32_e32 vcc, s26, v10
	v_cndmask_b32_e32 v8, v8, v9, vcc
; %bb.337:
	s_or_b64 exec, exec, s[22:23]
	v_lshrrev_b32_e32 v7, 8, v7
	s_movk_i32 s22, 0x80
	v_and_or_b32 v7, v7, s22, v8
	global_store_byte v[0:1], v7, off
.LBB30_338:
	s_mov_b64 s[22:23], 0
.LBB30_339:
	s_andn2_b64 vcc, exec, s[22:23]
	s_cbranch_vccnz .LBB30_349
; %bb.340:
	v_lshlrev_b32_e32 v9, 16, v6
	v_and_b32_e32 v10, 0x7fffffff, v9
	s_mov_b32 s22, 0x47800000
	v_and_b32_e32 v7, 0xffff, v6
	v_cmp_gt_u32_e32 vcc, s22, v10
                                        ; implicit-def: $vgpr8
	s_and_saveexec_b64 s[22:23], vcc
	s_xor_b64 s[22:23], exec, s[22:23]
	s_cbranch_execz .LBB30_346
; %bb.341:
	s_mov_b32 s26, 0x387fffff
	v_cmp_lt_u32_e32 vcc, s26, v10
                                        ; implicit-def: $vgpr8
	s_and_saveexec_b64 s[26:27], vcc
	s_xor_b64 s[26:27], exec, s[26:27]
; %bb.342:
	v_bfe_u32 v8, v7, 5, 1
	s_mov_b32 s28, 0x80fffff
	v_add3_u32 v8, v9, v8, s28
	v_lshrrev_b32_e32 v8, 21, v8
                                        ; implicit-def: $vgpr9
; %bb.343:
	s_andn2_saveexec_b64 s[26:27], s[26:27]
; %bb.344:
	s_mov_b32 s28, 0x43000000
	v_add_f32_e64 v8, |v9|, s28
; %bb.345:
	s_or_b64 exec, exec, s[26:27]
                                        ; implicit-def: $vgpr10
.LBB30_346:
	s_andn2_saveexec_b64 s[22:23], s[22:23]
; %bb.347:
	s_mov_b32 s26, 0x7f800000
	v_mov_b32_e32 v8, 0x7c
	v_mov_b32_e32 v9, 0x7f
	v_cmp_lt_u32_e32 vcc, s26, v10
	v_cndmask_b32_e32 v8, v8, v9, vcc
; %bb.348:
	s_or_b64 exec, exec, s[22:23]
	v_lshrrev_b32_e32 v7, 8, v7
	s_movk_i32 s22, 0x80
	v_and_or_b32 v7, v7, s22, v8
	global_store_byte v[0:1], v7, off
.LBB30_349:
	s_mov_b64 s[26:27], 0
	s_mov_b64 s[22:23], -1
.LBB30_350:
	s_andn2_b64 vcc, exec, s[26:27]
	s_cbranch_vccnz .LBB30_358
; %bb.351:
	v_mov_b32_e32 v7, 14
	v_cmp_gt_i16_sdwa s[28:29], s15, v7 src0_sel:BYTE_0 src1_sel:DWORD
	s_mov_b64 s[26:27], -1
	s_and_b64 vcc, exec, s[28:29]
	s_cbranch_vccz .LBB30_355
; %bb.352:
	v_mov_b32_e32 v7, 15
	v_cmp_eq_u16_sdwa s[26:27], s15, v7 src0_sel:BYTE_0 src1_sel:DWORD
	s_mov_b64 s[0:1], -1
	s_and_b64 vcc, exec, s[26:27]
	s_cbranch_vccz .LBB30_354
; %bb.353:
	global_store_short v[0:1], v6, off
	s_mov_b64 s[22:23], -1
	s_mov_b64 s[0:1], 0
.LBB30_354:
	s_mov_b64 s[26:27], 0
.LBB30_355:
	s_and_b64 vcc, exec, s[26:27]
	s_cbranch_vccz .LBB30_358
; %bb.356:
	v_mov_b32_e32 v7, 11
	v_cmp_eq_u16_sdwa s[26:27], s15, v7 src0_sel:BYTE_0 src1_sel:DWORD
	s_mov_b64 s[0:1], -1
	s_and_b64 vcc, exec, s[26:27]
	s_cbranch_vccz .LBB30_358
; %bb.357:
	s_mov_b64 s[22:23], -1
	s_mov_b64 s[0:1], 0
	global_store_byte v[0:1], v4, off
.LBB30_358:
	s_mov_b64 s[26:27], 0
.LBB30_359:
	s_and_b64 vcc, exec, s[26:27]
	s_cbranch_vccz .LBB30_398
; %bb.360:
	v_mov_b32_e32 v7, 5
	v_cmp_lt_i16_sdwa s[26:27], s15, v7 src0_sel:BYTE_0 src1_sel:DWORD
	s_mov_b64 s[22:23], -1
	s_and_b64 vcc, exec, s[26:27]
	s_cbranch_vccnz .LBB30_381
; %bb.361:
	v_mov_b32_e32 v7, 8
	v_cmp_lt_i16_sdwa s[26:27], s15, v7 src0_sel:BYTE_0 src1_sel:DWORD
	s_and_b64 vcc, exec, s[26:27]
	s_cbranch_vccnz .LBB30_371
; %bb.362:
	v_mov_b32_e32 v7, 9
	v_cmp_lt_i16_sdwa s[26:27], s15, v7 src0_sel:BYTE_0 src1_sel:DWORD
	s_and_b64 vcc, exec, s[26:27]
	s_cbranch_vccnz .LBB30_368
; %bb.363:
	v_cmp_gt_i16_sdwa s[26:27], s15, v7 src0_sel:BYTE_0 src1_sel:DWORD
	s_and_b64 vcc, exec, s[26:27]
	s_cbranch_vccz .LBB30_365
; %bb.364:
	v_lshlrev_b32_e32 v7, 16, v6
	v_mov_b32_e32 v10, 0
	v_cvt_f64_f32_e32 v[8:9], v7
	v_mov_b32_e32 v11, v10
	s_mov_b64 s[22:23], 0
	global_store_dwordx4 v[0:1], v[8:11], off
.LBB30_365:
	s_andn2_b64 vcc, exec, s[22:23]
	s_cbranch_vccnz .LBB30_367
; %bb.366:
	v_lshlrev_b32_e32 v8, 16, v6
	v_mov_b32_e32 v9, 0
	global_store_dwordx2 v[0:1], v[8:9], off
.LBB30_367:
	s_mov_b64 s[22:23], 0
.LBB30_368:
	s_andn2_b64 vcc, exec, s[22:23]
	s_cbranch_vccnz .LBB30_370
; %bb.369:
	v_lshlrev_b32_e32 v7, 16, v6
	v_cvt_f16_f32_e32 v7, v7
	global_store_dword v[0:1], v7, off
.LBB30_370:
	s_mov_b64 s[22:23], 0
.LBB30_371:
	s_andn2_b64 vcc, exec, s[22:23]
	s_cbranch_vccnz .LBB30_380
; %bb.372:
	v_mov_b32_e32 v7, 6
	v_cmp_lt_i16_sdwa s[26:27], s15, v7 src0_sel:BYTE_0 src1_sel:DWORD
	s_mov_b64 s[22:23], -1
	s_and_b64 vcc, exec, s[26:27]
	s_cbranch_vccnz .LBB30_378
; %bb.373:
	v_cmp_gt_i16_sdwa s[26:27], s15, v7 src0_sel:BYTE_0 src1_sel:DWORD
	s_and_b64 vcc, exec, s[26:27]
	s_cbranch_vccz .LBB30_375
; %bb.374:
	v_lshlrev_b32_e32 v7, 16, v6
	v_cvt_f64_f32_e32 v[8:9], v7
	s_mov_b64 s[22:23], 0
	global_store_dwordx2 v[0:1], v[8:9], off
.LBB30_375:
	s_andn2_b64 vcc, exec, s[22:23]
	s_cbranch_vccnz .LBB30_377
; %bb.376:
	v_lshlrev_b32_e32 v7, 16, v6
	global_store_dword v[0:1], v7, off
.LBB30_377:
	s_mov_b64 s[22:23], 0
.LBB30_378:
	s_andn2_b64 vcc, exec, s[22:23]
	s_cbranch_vccnz .LBB30_380
; %bb.379:
	v_lshlrev_b32_e32 v7, 16, v6
	v_cvt_f16_f32_e32 v7, v7
	global_store_short v[0:1], v7, off
.LBB30_380:
	s_mov_b64 s[22:23], 0
.LBB30_381:
	s_andn2_b64 vcc, exec, s[22:23]
	s_cbranch_vccnz .LBB30_397
; %bb.382:
	v_mov_b32_e32 v7, 2
	v_cmp_lt_i16_sdwa s[26:27], s15, v7 src0_sel:BYTE_0 src1_sel:DWORD
	s_mov_b64 s[22:23], -1
	s_and_b64 vcc, exec, s[26:27]
	s_cbranch_vccnz .LBB30_392
; %bb.383:
	v_mov_b32_e32 v7, 3
	v_cmp_lt_i16_sdwa s[26:27], s15, v7 src0_sel:BYTE_0 src1_sel:DWORD
	s_and_b64 vcc, exec, s[26:27]
	s_cbranch_vccnz .LBB30_389
; %bb.384:
	v_cmp_gt_i16_sdwa s[26:27], s15, v7 src0_sel:BYTE_0 src1_sel:DWORD
	s_and_b64 vcc, exec, s[26:27]
	s_cbranch_vccz .LBB30_386
; %bb.385:
	v_lshlrev_b32_e32 v7, 16, v6
	v_trunc_f32_e32 v7, v7
	s_mov_b32 s22, 0x2f800000
	v_mul_f32_e64 v8, |v7|, s22
	v_floor_f32_e32 v8, v8
	s_mov_b32 s22, 0xcf800000
	v_cvt_u32_f32_e32 v9, v8
	v_fma_f32 v8, v8, s22, |v7|
	v_cvt_u32_f32_e32 v8, v8
	v_ashrrev_i32_e32 v7, 31, v7
	v_xor_b32_e32 v9, v9, v7
	s_mov_b64 s[22:23], 0
	v_xor_b32_e32 v8, v8, v7
	v_sub_co_u32_e32 v8, vcc, v8, v7
	v_subb_co_u32_e32 v9, vcc, v9, v7, vcc
	global_store_dwordx2 v[0:1], v[8:9], off
.LBB30_386:
	s_andn2_b64 vcc, exec, s[22:23]
	s_cbranch_vccnz .LBB30_388
; %bb.387:
	v_lshlrev_b32_e32 v7, 16, v6
	v_cvt_i32_f32_e32 v7, v7
	global_store_dword v[0:1], v7, off
.LBB30_388:
	s_mov_b64 s[22:23], 0
.LBB30_389:
	s_andn2_b64 vcc, exec, s[22:23]
	s_cbranch_vccnz .LBB30_391
; %bb.390:
	v_lshlrev_b32_e32 v7, 16, v6
	v_cvt_i32_f32_e32 v7, v7
	global_store_short v[0:1], v7, off
.LBB30_391:
	s_mov_b64 s[22:23], 0
.LBB30_392:
	s_andn2_b64 vcc, exec, s[22:23]
	s_cbranch_vccnz .LBB30_397
; %bb.393:
	v_mov_b32_e32 v7, 0
	v_cmp_gt_i16_sdwa s[26:27], s15, v7 src0_sel:BYTE_0 src1_sel:DWORD
	s_mov_b64 s[22:23], -1
	s_and_b64 vcc, exec, s[26:27]
	v_lshlrev_b32_e32 v6, 16, v6
	s_cbranch_vccz .LBB30_395
; %bb.394:
	v_cvt_i32_f32_e32 v7, v6
	s_mov_b64 s[22:23], 0
	global_store_byte v[0:1], v7, off
.LBB30_395:
	s_andn2_b64 vcc, exec, s[22:23]
	s_cbranch_vccnz .LBB30_397
; %bb.396:
	v_trunc_f32_e32 v6, v6
	s_mov_b32 s22, 0x2f800000
	v_mul_f32_e64 v7, |v6|, s22
	v_floor_f32_e32 v7, v7
	s_mov_b32 s22, 0xcf800000
	v_fma_f32 v7, v7, s22, |v6|
	v_cvt_u32_f32_e32 v7, v7
	v_ashrrev_i32_e32 v6, 31, v6
	v_xor_b32_e32 v7, v7, v6
	v_sub_u32_e32 v6, v7, v6
	global_store_byte v[0:1], v6, off
.LBB30_397:
	s_mov_b64 s[22:23], -1
.LBB30_398:
	s_andn2_b64 vcc, exec, s[22:23]
	s_cbranch_vccnz .LBB30_400
; %bb.399:
	v_add_u32_e32 v2, 0x80, v2
	s_mov_b64 s[26:27], -1
	s_branch .LBB30_513
.LBB30_400:
	s_mov_b64 s[26:27], 0
	s_branch .LBB30_512
.LBB30_401:
	s_mov_b64 s[20:21], -1
                                        ; implicit-def: $vgpr6
.LBB30_402:
	s_mov_b64 s[22:23], 0
.LBB30_403:
	s_and_b64 vcc, exec, s[22:23]
	s_cbranch_vccz .LBB30_407
; %bb.404:
	v_cmp_eq_u16_e32 vcc, 29, v3
	s_cbranch_vccz .LBB30_406
; %bb.405:
	global_load_dwordx2 v[6:7], v[0:1], off
	s_movk_i32 s20, 0x7fff
	s_mov_b64 s[0:1], -1
	s_mov_b64 s[22:23], 0
	s_waitcnt vmcnt(0)
	v_ffbh_u32_e32 v8, v7
	v_min_u32_e32 v8, 32, v8
	v_lshlrev_b64 v[6:7], v8, v[6:7]
	v_min_u32_e32 v6, 1, v6
	v_or_b32_e32 v6, v7, v6
	v_cvt_f32_u32_e32 v6, v6
	v_sub_u32_e32 v7, 32, v8
	v_ldexp_f32 v6, v6, v7
	v_bfe_u32 v7, v6, 16, 1
	v_add3_u32 v6, v6, v7, s20
	v_lshrrev_b32_e32 v6, 16, v6
	s_mov_b64 s[20:21], 0
	s_branch .LBB30_408
.LBB30_406:
	s_mov_b64 s[20:21], -1
                                        ; implicit-def: $vgpr6
.LBB30_407:
	s_mov_b64 s[22:23], 0
.LBB30_408:
	s_and_b64 vcc, exec, s[22:23]
	s_cbranch_vccz .LBB30_426
; %bb.409:
	v_cmp_gt_i16_e32 vcc, 27, v3
	s_cbranch_vccnz .LBB30_412
; %bb.410:
	v_cmp_lt_i16_e32 vcc, 27, v3
	s_cbranch_vccz .LBB30_413
; %bb.411:
	global_load_dword v6, v[0:1], off
	s_movk_i32 s0, 0x7fff
	s_waitcnt vmcnt(0)
	v_cvt_f32_u32_e32 v6, v6
	v_bfe_u32 v7, v6, 16, 1
	v_add3_u32 v6, v6, v7, s0
	v_lshrrev_b32_e32 v6, 16, v6
	s_mov_b64 s[0:1], 0
	s_branch .LBB30_414
.LBB30_412:
	s_mov_b64 s[0:1], -1
                                        ; implicit-def: $vgpr6
	s_branch .LBB30_417
.LBB30_413:
	s_mov_b64 s[0:1], -1
                                        ; implicit-def: $vgpr6
.LBB30_414:
	s_andn2_b64 vcc, exec, s[0:1]
	s_cbranch_vccnz .LBB30_416
; %bb.415:
	global_load_ushort v6, v[0:1], off
	s_movk_i32 s0, 0x7fff
	s_waitcnt vmcnt(0)
	v_cvt_f32_u32_e32 v6, v6
	v_bfe_u32 v7, v6, 16, 1
	v_add3_u32 v6, v6, v7, s0
	v_lshrrev_b32_e32 v6, 16, v6
.LBB30_416:
	s_mov_b64 s[0:1], 0
.LBB30_417:
	s_andn2_b64 vcc, exec, s[0:1]
	s_cbranch_vccnz .LBB30_425
; %bb.418:
	global_load_ubyte v6, v[0:1], off
	s_movk_i32 s0, 0x7f
                                        ; implicit-def: $sgpr28
	s_waitcnt vmcnt(0)
	v_cmp_lt_i16_e32 vcc, s0, v6
	s_mov_b64 s[0:1], 0
	s_and_saveexec_b64 s[22:23], vcc
	s_xor_b64 s[22:23], exec, s[22:23]
	s_cbranch_execz .LBB30_439
; %bb.419:
	s_movk_i32 s0, 0x80
	v_cmp_eq_u16_e32 vcc, s0, v6
	s_mov_b64 s[0:1], -1
                                        ; implicit-def: $sgpr28
	s_and_saveexec_b64 s[26:27], vcc
; %bb.420:
	s_mov_b32 s28, 0x7f800001
	s_xor_b64 s[0:1], exec, -1
; %bb.421:
	s_or_b64 exec, exec, s[26:27]
	s_and_b64 s[0:1], s[0:1], exec
	s_or_saveexec_b64 s[22:23], s[22:23]
	v_mov_b32_e32 v7, s28
	s_xor_b64 exec, exec, s[22:23]
	s_cbranch_execnz .LBB30_440
.LBB30_422:
	s_or_b64 exec, exec, s[22:23]
	s_and_saveexec_b64 s[22:23], s[0:1]
	s_cbranch_execz .LBB30_424
.LBB30_423:
	v_lshlrev_b32_e32 v7, 24, v6
	v_and_b32_e32 v6, 0xffff, v6
	v_and_b32_e32 v8, 7, v6
	v_ffbh_u32_e32 v10, v8
	v_min_u32_e32 v10, 32, v10
	v_subrev_u32_e32 v11, 28, v10
	v_bfe_u32 v9, v6, 3, 4
	v_lshlrev_b32_e32 v6, v11, v6
	v_sub_u32_e32 v10, 29, v10
	v_and_b32_e32 v6, 7, v6
	v_cmp_eq_u32_e32 vcc, 0, v9
	v_cndmask_b32_e32 v9, v9, v10, vcc
	v_cndmask_b32_e32 v6, v8, v6, vcc
	v_mov_b32_e32 v8, 0x3b800000
	v_lshlrev_b32_e32 v6, 20, v6
	v_and_b32_e32 v7, 0x80000000, v7
	v_lshl_add_u32 v8, v9, 23, v8
	v_or3_b32 v7, v7, v8, v6
.LBB30_424:
	s_or_b64 exec, exec, s[22:23]
	v_bfe_u32 v6, v7, 16, 1
	s_movk_i32 s0, 0x7fff
	v_add3_u32 v6, v7, v6, s0
	v_lshrrev_b32_e32 v6, 16, v6
	v_mov_b32_e32 v8, 0x7fc0
	v_cmp_o_f32_e32 vcc, v7, v7
	v_cndmask_b32_e32 v6, v8, v6, vcc
.LBB30_425:
	s_mov_b64 s[0:1], -1
.LBB30_426:
	s_mov_b64 s[22:23], 0
.LBB30_427:
	s_and_b64 vcc, exec, s[22:23]
	s_cbranch_vccz .LBB30_462
; %bb.428:
	v_cmp_lt_i16_e32 vcc, 22, v3
	s_cbranch_vccz .LBB30_438
; %bb.429:
	v_cmp_gt_i16_e32 vcc, 24, v3
	s_cbranch_vccnz .LBB30_441
; %bb.430:
	v_cmp_lt_i16_e32 vcc, 24, v3
	s_cbranch_vccz .LBB30_442
; %bb.431:
	global_load_ubyte v6, v[0:1], off
	s_movk_i32 s0, 0x7f
                                        ; implicit-def: $sgpr28
	s_waitcnt vmcnt(0)
	v_cmp_lt_i16_e32 vcc, s0, v6
	s_mov_b64 s[0:1], 0
	s_and_saveexec_b64 s[22:23], vcc
	s_xor_b64 s[22:23], exec, s[22:23]
	s_cbranch_execz .LBB30_454
; %bb.432:
	s_movk_i32 s0, 0x80
	v_cmp_eq_u16_e32 vcc, s0, v6
	s_mov_b64 s[0:1], -1
                                        ; implicit-def: $sgpr28
	s_and_saveexec_b64 s[26:27], vcc
; %bb.433:
	s_mov_b32 s28, 0x7f800001
	s_xor_b64 s[0:1], exec, -1
; %bb.434:
	s_or_b64 exec, exec, s[26:27]
	s_and_b64 s[0:1], s[0:1], exec
	s_or_saveexec_b64 s[22:23], s[22:23]
	v_mov_b32_e32 v7, s28
	s_xor_b64 exec, exec, s[22:23]
	s_cbranch_execnz .LBB30_455
.LBB30_435:
	s_or_b64 exec, exec, s[22:23]
	s_and_saveexec_b64 s[22:23], s[0:1]
	s_cbranch_execz .LBB30_437
.LBB30_436:
	v_lshlrev_b32_e32 v7, 24, v6
	v_and_b32_e32 v6, 0xffff, v6
	v_and_b32_e32 v8, 3, v6
	v_ffbh_u32_e32 v10, v8
	v_min_u32_e32 v10, 32, v10
	v_subrev_u32_e32 v11, 29, v10
	v_bfe_u32 v9, v6, 2, 5
	v_lshlrev_b32_e32 v6, v11, v6
	v_sub_u32_e32 v10, 30, v10
	v_and_b32_e32 v6, 3, v6
	v_cmp_eq_u32_e32 vcc, 0, v9
	v_cndmask_b32_e32 v9, v9, v10, vcc
	v_cndmask_b32_e32 v6, v8, v6, vcc
	v_mov_b32_e32 v8, 0x37800000
	v_lshlrev_b32_e32 v6, 21, v6
	v_and_b32_e32 v7, 0x80000000, v7
	v_lshl_add_u32 v8, v9, 23, v8
	v_or3_b32 v7, v7, v8, v6
.LBB30_437:
	s_or_b64 exec, exec, s[22:23]
	v_bfe_u32 v6, v7, 16, 1
	s_movk_i32 s0, 0x7fff
	v_add3_u32 v6, v7, v6, s0
	v_lshrrev_b32_e32 v6, 16, v6
	v_mov_b32_e32 v8, 0x7fc0
	v_cmp_o_f32_e32 vcc, v7, v7
	v_cndmask_b32_e32 v6, v8, v6, vcc
	s_mov_b64 s[0:1], 0
	s_branch .LBB30_443
.LBB30_438:
	s_mov_b64 s[22:23], -1
                                        ; implicit-def: $vgpr6
	s_branch .LBB30_449
.LBB30_439:
	s_or_saveexec_b64 s[22:23], s[22:23]
	v_mov_b32_e32 v7, s28
	s_xor_b64 exec, exec, s[22:23]
	s_cbranch_execz .LBB30_422
.LBB30_440:
	v_cmp_ne_u16_e32 vcc, 0, v6
	s_andn2_b64 s[0:1], s[0:1], exec
	s_and_b64 s[26:27], vcc, exec
	v_mov_b32_e32 v7, 0
	s_or_b64 s[0:1], s[0:1], s[26:27]
	s_or_b64 exec, exec, s[22:23]
	s_and_saveexec_b64 s[22:23], s[0:1]
	s_cbranch_execnz .LBB30_423
	s_branch .LBB30_424
.LBB30_441:
	s_mov_b64 s[0:1], -1
                                        ; implicit-def: $vgpr6
	s_branch .LBB30_446
.LBB30_442:
	s_mov_b64 s[0:1], -1
                                        ; implicit-def: $vgpr6
.LBB30_443:
	s_and_b64 vcc, exec, s[0:1]
	s_cbranch_vccz .LBB30_445
; %bb.444:
	global_load_ubyte v6, v[0:1], off
	s_mov_b32 s0, 0x7f800000
	s_brev_b32 s1, 1
	s_movk_i32 s22, 0x7fff
	v_mov_b32_e32 v7, 0x7fc0
	s_waitcnt vmcnt(0)
	v_lshlrev_b32_e32 v6, 24, v6
	v_and_b32_e32 v8, 0x7f000000, v6
	v_ffbh_u32_e32 v9, v8
	v_min_u32_e32 v9, 32, v9
	v_sub_u32_e64 v9, v9, 4 clamp
	v_lshlrev_b32_e32 v11, v9, v8
	v_lshlrev_b32_e32 v9, 23, v9
	v_lshrrev_b32_e32 v11, 4, v11
	v_add_u32_e32 v10, 0x1000000, v8
	v_sub_u32_e32 v9, v11, v9
	v_ashrrev_i32_e32 v10, 8, v10
	v_add_u32_e32 v9, 0x3c000000, v9
	v_and_or_b32 v9, v10, s0, v9
	v_cmp_ne_u32_e32 vcc, 0, v8
	v_cndmask_b32_e32 v8, 0, v9, vcc
	v_and_or_b32 v6, v6, s1, v8
	v_bfe_u32 v8, v8, 16, 1
	v_add3_u32 v8, v6, v8, s22
	v_lshrrev_b32_e32 v8, 16, v8
	v_cmp_o_f32_e32 vcc, v6, v6
	v_cndmask_b32_e32 v6, v7, v8, vcc
.LBB30_445:
	s_mov_b64 s[0:1], 0
.LBB30_446:
	s_andn2_b64 vcc, exec, s[0:1]
	s_cbranch_vccnz .LBB30_448
; %bb.447:
	global_load_ubyte v6, v[0:1], off
	s_movk_i32 s0, 0x7f00
	s_brev_b32 s1, 16
	s_brev_b32 s22, 1
	s_movk_i32 s23, 0x7fff
	v_mov_b32_e32 v7, 0x7fc0
	s_waitcnt vmcnt(0)
	v_lshlrev_b16_e32 v8, 8, v6
	v_lshlrev_b32_e32 v6, 25, v6
	v_lshrrev_b32_e32 v9, 4, v6
	v_and_or_b32 v10, v8, s0, 0.5
	v_or_b32_e32 v9, 0x70000000, v9
	v_add_f32_e32 v10, -0.5, v10
	v_mul_f32_e32 v9, 0x7800000, v9
	v_cmp_gt_u32_e32 vcc, s1, v6
	v_bfe_i32 v8, v8, 0, 16
	v_cndmask_b32_e32 v6, v9, v10, vcc
	v_and_or_b32 v8, v8, s22, v6
	v_bfe_u32 v6, v6, 16, 1
	v_add3_u32 v6, v8, v6, s23
	v_lshrrev_b32_e32 v6, 16, v6
	v_cmp_o_f32_e32 vcc, v8, v8
	v_cndmask_b32_e32 v6, v7, v6, vcc
.LBB30_448:
	s_mov_b64 s[22:23], 0
	s_mov_b64 s[0:1], -1
.LBB30_449:
	s_andn2_b64 vcc, exec, s[22:23]
	s_cbranch_vccnz .LBB30_462
; %bb.450:
	v_cmp_lt_i16_e32 vcc, 14, v3
	s_cbranch_vccz .LBB30_453
; %bb.451:
	v_cmp_eq_u16_e32 vcc, 15, v3
	s_cbranch_vccz .LBB30_456
; %bb.452:
	global_load_ushort v6, v[0:1], off
	s_mov_b64 s[0:1], -1
	s_mov_b64 s[20:21], 0
	s_branch .LBB30_457
.LBB30_453:
	s_mov_b64 s[22:23], -1
                                        ; implicit-def: $vgpr6
	s_branch .LBB30_458
.LBB30_454:
	s_or_saveexec_b64 s[22:23], s[22:23]
	v_mov_b32_e32 v7, s28
	s_xor_b64 exec, exec, s[22:23]
	s_cbranch_execz .LBB30_435
.LBB30_455:
	v_cmp_ne_u16_e32 vcc, 0, v6
	s_andn2_b64 s[0:1], s[0:1], exec
	s_and_b64 s[26:27], vcc, exec
	v_mov_b32_e32 v7, 0
	s_or_b64 s[0:1], s[0:1], s[26:27]
	s_or_b64 exec, exec, s[22:23]
	s_and_saveexec_b64 s[22:23], s[0:1]
	s_cbranch_execnz .LBB30_436
	s_branch .LBB30_437
.LBB30_456:
	s_mov_b64 s[20:21], -1
                                        ; implicit-def: $vgpr6
.LBB30_457:
	s_mov_b64 s[22:23], 0
.LBB30_458:
	s_and_b64 vcc, exec, s[22:23]
	s_cbranch_vccz .LBB30_462
; %bb.459:
	v_cmp_eq_u16_e32 vcc, 11, v3
	s_cbranch_vccz .LBB30_461
; %bb.460:
	global_load_ubyte v6, v[0:1], off
	s_mov_b64 s[0:1], -1
	s_mov_b64 s[20:21], 0
	s_waitcnt vmcnt(0)
	v_cmp_ne_u16_e32 vcc, 0, v6
	v_cndmask_b32_e64 v6, 0, 1.0, vcc
	v_lshrrev_b32_e32 v6, 16, v6
	s_branch .LBB30_462
.LBB30_461:
	s_mov_b64 s[20:21], -1
                                        ; implicit-def: $vgpr6
.LBB30_462:
	s_branch .LBB30_265
.LBB30_463:
	v_cmp_gt_i16_e32 vcc, 5, v3
	s_cbranch_vccnz .LBB30_468
; %bb.464:
	v_cmp_gt_i16_e32 vcc, 8, v3
	s_cbranch_vccnz .LBB30_469
; %bb.465:
	;; [unrolled: 3-line block ×3, first 2 shown]
	v_cmp_lt_i16_e32 vcc, 9, v3
	s_cbranch_vccz .LBB30_471
; %bb.467:
	global_load_dwordx2 v[6:7], v[0:1], off
	s_movk_i32 s0, 0x7fff
	v_mov_b32_e32 v8, 0x7fc0
	s_waitcnt vmcnt(0)
	v_cvt_f32_f64_e32 v6, v[6:7]
	v_bfe_u32 v7, v6, 16, 1
	v_add3_u32 v7, v6, v7, s0
	v_lshrrev_b32_e32 v7, 16, v7
	v_cmp_o_f32_e32 vcc, v6, v6
	v_cndmask_b32_e32 v6, v8, v7, vcc
	s_mov_b64 s[0:1], 0
	s_branch .LBB30_472
.LBB30_468:
	s_mov_b64 s[0:1], -1
                                        ; implicit-def: $vgpr6
	s_branch .LBB30_490
.LBB30_469:
	s_mov_b64 s[0:1], -1
                                        ; implicit-def: $vgpr6
	s_branch .LBB30_478
.LBB30_470:
	s_mov_b64 s[0:1], -1
                                        ; implicit-def: $vgpr6
	s_branch .LBB30_475
.LBB30_471:
	s_mov_b64 s[0:1], -1
                                        ; implicit-def: $vgpr6
.LBB30_472:
	s_andn2_b64 vcc, exec, s[0:1]
	s_cbranch_vccnz .LBB30_474
; %bb.473:
	global_load_dword v6, v[0:1], off
	s_movk_i32 s0, 0x7fff
	v_mov_b32_e32 v7, 0x7fc0
	s_waitcnt vmcnt(0)
	v_bfe_u32 v8, v6, 16, 1
	v_add3_u32 v8, v6, v8, s0
	v_lshrrev_b32_e32 v8, 16, v8
	v_cmp_o_f32_e32 vcc, v6, v6
	v_cndmask_b32_e32 v6, v7, v8, vcc
.LBB30_474:
	s_mov_b64 s[0:1], 0
.LBB30_475:
	s_andn2_b64 vcc, exec, s[0:1]
	s_cbranch_vccnz .LBB30_477
; %bb.476:
	global_load_dword v6, v[0:1], off
	s_movk_i32 s0, 0x7fff
	v_mov_b32_e32 v8, 0x7fc0
	s_waitcnt vmcnt(0)
	v_cvt_f32_f16_e32 v7, v6
	v_cmp_o_f16_e32 vcc, v6, v6
	v_bfe_u32 v9, v7, 16, 1
	v_add3_u32 v7, v7, v9, s0
	v_lshrrev_b32_e32 v7, 16, v7
	v_cndmask_b32_e32 v6, v8, v7, vcc
.LBB30_477:
	s_mov_b64 s[0:1], 0
.LBB30_478:
	s_andn2_b64 vcc, exec, s[0:1]
	s_cbranch_vccnz .LBB30_489
; %bb.479:
	v_cmp_gt_i16_e32 vcc, 6, v3
	s_cbranch_vccnz .LBB30_482
; %bb.480:
	v_cmp_lt_i16_e32 vcc, 6, v3
	s_cbranch_vccz .LBB30_483
; %bb.481:
	global_load_dwordx2 v[6:7], v[0:1], off
	s_movk_i32 s0, 0x7fff
	v_mov_b32_e32 v8, 0x7fc0
	s_waitcnt vmcnt(0)
	v_cvt_f32_f64_e32 v6, v[6:7]
	v_bfe_u32 v7, v6, 16, 1
	v_add3_u32 v7, v6, v7, s0
	v_lshrrev_b32_e32 v7, 16, v7
	v_cmp_o_f32_e32 vcc, v6, v6
	v_cndmask_b32_e32 v6, v8, v7, vcc
	s_mov_b64 s[0:1], 0
	s_branch .LBB30_484
.LBB30_482:
	s_mov_b64 s[0:1], -1
                                        ; implicit-def: $vgpr6
	s_branch .LBB30_487
.LBB30_483:
	s_mov_b64 s[0:1], -1
                                        ; implicit-def: $vgpr6
.LBB30_484:
	s_andn2_b64 vcc, exec, s[0:1]
	s_cbranch_vccnz .LBB30_486
; %bb.485:
	global_load_dword v6, v[0:1], off
	s_movk_i32 s0, 0x7fff
	v_mov_b32_e32 v7, 0x7fc0
	s_waitcnt vmcnt(0)
	v_bfe_u32 v8, v6, 16, 1
	v_add3_u32 v8, v6, v8, s0
	v_lshrrev_b32_e32 v8, 16, v8
	v_cmp_o_f32_e32 vcc, v6, v6
	v_cndmask_b32_e32 v6, v7, v8, vcc
.LBB30_486:
	s_mov_b64 s[0:1], 0
.LBB30_487:
	s_andn2_b64 vcc, exec, s[0:1]
	s_cbranch_vccnz .LBB30_489
; %bb.488:
	global_load_ushort v6, v[0:1], off
	s_movk_i32 s0, 0x7fff
	v_mov_b32_e32 v8, 0x7fc0
	s_waitcnt vmcnt(0)
	v_cvt_f32_f16_e32 v7, v6
	v_cmp_o_f16_e32 vcc, v6, v6
	v_bfe_u32 v9, v7, 16, 1
	v_add3_u32 v7, v7, v9, s0
	v_lshrrev_b32_e32 v7, 16, v7
	v_cndmask_b32_e32 v6, v8, v7, vcc
.LBB30_489:
	s_mov_b64 s[0:1], 0
.LBB30_490:
	s_andn2_b64 vcc, exec, s[0:1]
	s_cbranch_vccnz .LBB30_510
; %bb.491:
	v_cmp_gt_i16_e32 vcc, 2, v3
	s_cbranch_vccnz .LBB30_495
; %bb.492:
	v_cmp_gt_i16_e32 vcc, 3, v3
	s_cbranch_vccnz .LBB30_496
; %bb.493:
	v_cmp_lt_i16_e32 vcc, 3, v3
	s_cbranch_vccz .LBB30_497
; %bb.494:
	global_load_dwordx2 v[6:7], v[0:1], off
	s_movk_i32 s0, 0x7fff
	s_waitcnt vmcnt(0)
	v_xor_b32_e32 v9, v6, v7
	v_ffbh_i32_e32 v8, v7
	v_ashrrev_i32_e32 v9, 31, v9
	v_add_u32_e32 v8, -1, v8
	v_add_u32_e32 v9, 32, v9
	v_min_u32_e32 v8, v8, v9
	v_lshlrev_b64 v[6:7], v8, v[6:7]
	v_min_u32_e32 v6, 1, v6
	v_or_b32_e32 v6, v7, v6
	v_cvt_f32_i32_e32 v6, v6
	v_sub_u32_e32 v7, 32, v8
	v_ldexp_f32 v6, v6, v7
	v_bfe_u32 v7, v6, 16, 1
	v_add3_u32 v6, v6, v7, s0
	v_lshrrev_b32_e32 v6, 16, v6
	s_mov_b64 s[0:1], 0
	s_branch .LBB30_498
.LBB30_495:
	s_mov_b64 s[0:1], -1
                                        ; implicit-def: $vgpr6
	s_branch .LBB30_504
.LBB30_496:
	s_mov_b64 s[0:1], -1
                                        ; implicit-def: $vgpr6
	s_branch .LBB30_501
.LBB30_497:
	s_mov_b64 s[0:1], -1
                                        ; implicit-def: $vgpr6
.LBB30_498:
	s_andn2_b64 vcc, exec, s[0:1]
	s_cbranch_vccnz .LBB30_500
; %bb.499:
	global_load_dword v6, v[0:1], off
	s_movk_i32 s0, 0x7fff
	s_waitcnt vmcnt(0)
	v_cvt_f32_i32_e32 v6, v6
	v_bfe_u32 v7, v6, 16, 1
	v_add3_u32 v6, v6, v7, s0
	v_lshrrev_b32_e32 v6, 16, v6
.LBB30_500:
	s_mov_b64 s[0:1], 0
.LBB30_501:
	s_andn2_b64 vcc, exec, s[0:1]
	s_cbranch_vccnz .LBB30_503
; %bb.502:
	global_load_sshort v6, v[0:1], off
	s_movk_i32 s0, 0x7fff
	s_waitcnt vmcnt(0)
	v_cvt_f32_i32_e32 v6, v6
	v_bfe_u32 v7, v6, 16, 1
	v_add3_u32 v6, v6, v7, s0
	v_lshrrev_b32_e32 v6, 16, v6
.LBB30_503:
	s_mov_b64 s[0:1], 0
.LBB30_504:
	s_andn2_b64 vcc, exec, s[0:1]
	s_cbranch_vccnz .LBB30_510
; %bb.505:
	v_cmp_lt_i16_e32 vcc, 0, v3
	s_cbranch_vccz .LBB30_507
; %bb.506:
	global_load_sbyte v6, v[0:1], off
	s_movk_i32 s0, 0x7fff
	s_waitcnt vmcnt(0)
	v_cvt_f32_i32_e32 v6, v6
	v_bfe_u32 v7, v6, 16, 1
	v_add3_u32 v6, v6, v7, s0
	v_lshrrev_b32_e32 v6, 16, v6
	s_mov_b64 s[0:1], 0
	s_branch .LBB30_508
.LBB30_507:
	s_mov_b64 s[0:1], -1
                                        ; implicit-def: $vgpr6
.LBB30_508:
	s_andn2_b64 vcc, exec, s[0:1]
	s_cbranch_vccnz .LBB30_510
; %bb.509:
	global_load_ubyte v0, v[0:1], off
	s_movk_i32 s0, 0x7fff
	s_waitcnt vmcnt(0)
	v_cvt_f32_ubyte0_e32 v0, v0
	v_bfe_u32 v1, v0, 16, 1
	v_add3_u32 v0, v0, v1, s0
	v_lshrrev_b32_e32 v6, 16, v0
.LBB30_510:
	s_branch .LBB30_266
.LBB30_511:
	s_mov_b64 s[26:27], 0
	s_mov_b64 s[0:1], s[6:7]
.LBB30_512:
                                        ; implicit-def: $vgpr2
.LBB30_513:
	s_andn2_b64 s[22:23], s[6:7], exec
	s_and_b64 s[0:1], s[0:1], exec
	s_or_b64 s[22:23], s[22:23], s[0:1]
	s_andn2_b64 s[0:1], s[16:17], exec
	s_and_b64 s[20:21], s[20:21], exec
	s_or_b64 s[20:21], s[0:1], s[20:21]
	s_orn2_b64 s[0:1], s[26:27], exec
.LBB30_514:
	s_or_b64 exec, exec, s[24:25]
	s_mov_b64 s[26:27], 0
	s_mov_b64 s[28:29], 0
	;; [unrolled: 1-line block ×3, first 2 shown]
                                        ; implicit-def: $vgpr0_vgpr1
                                        ; implicit-def: $vgpr7
	s_and_saveexec_b64 s[24:25], s[0:1]
	s_cbranch_execz .LBB30_860
; %bb.515:
	v_cmp_gt_i32_e32 vcc, s33, v2
	s_mov_b64 s[36:37], -1
	s_mov_b64 s[0:1], s[20:21]
	s_mov_b64 s[30:31], s[22:23]
	s_and_saveexec_b64 s[26:27], vcc
	s_cbranch_execz .LBB30_774
; %bb.516:
	v_mul_lo_u32 v0, v2, s13
	v_ashrrev_i32_e32 v1, 31, v0
	s_waitcnt vmcnt(0)
	v_mov_b32_e32 v6, s11
	v_add_co_u32_e32 v0, vcc, s10, v0
	v_addc_co_u32_e32 v1, vcc, v6, v1, vcc
	v_cmp_gt_i16_e32 vcc, 11, v3
	s_cbranch_vccnz .LBB30_523
; %bb.517:
	v_cmp_lt_i16_e32 vcc, 25, v3
	s_cbranch_vccz .LBB30_524
; %bb.518:
	v_cmp_lt_i16_e32 vcc, 28, v3
	s_cbranch_vccz .LBB30_525
	;; [unrolled: 3-line block ×4, first 2 shown]
; %bb.521:
	v_cmp_eq_u16_e32 vcc, 46, v3
	s_mov_b64 s[30:31], 0
	s_cbranch_vccz .LBB30_532
; %bb.522:
	global_load_dword v6, v[0:1], off
	s_mov_b64 s[0:1], -1
	s_branch .LBB30_533
.LBB30_523:
	s_mov_b64 s[30:31], -1
	s_mov_b64 s[0:1], 0
                                        ; implicit-def: $vgpr6
	s_mov_b64 s[28:29], s[20:21]
	s_branch .LBB30_598
.LBB30_524:
	s_mov_b64 s[30:31], -1
	s_mov_b64 s[0:1], 0
	s_mov_b64 s[28:29], s[20:21]
                                        ; implicit-def: $vgpr6
	s_branch .LBB30_562
.LBB30_525:
	s_mov_b64 s[30:31], -1
	s_mov_b64 s[0:1], 0
	s_mov_b64 s[28:29], s[20:21]
                                        ; implicit-def: $vgpr6
	s_branch .LBB30_543
.LBB30_526:
	s_mov_b64 s[30:31], -1
	s_mov_b64 s[0:1], 0
	s_mov_b64 s[28:29], s[20:21]
                                        ; implicit-def: $vgpr6
	s_branch .LBB30_538
.LBB30_527:
	s_or_saveexec_b64 s[28:29], s[28:29]
                                        ; implicit-def: $sgpr30
	s_xor_b64 exec, exec, s[28:29]
	s_cbranch_execz .LBB30_311
.LBB30_528:
	s_mov_b32 s30, 0x46000000
	v_add_f32_e64 v8, |v9|, s30
	v_and_b32_e32 v8, 0xff, v8
	v_cmp_ne_u32_e32 vcc, 0, v8
	s_andn2_b64 s[26:27], s[26:27], exec
	s_and_b64 s[34:35], vcc, exec
	s_mov_b32 s30, 0
	s_or_b64 s[26:27], s[26:27], s[34:35]
	s_or_b64 exec, exec, s[28:29]
	v_mov_b32_e32 v10, s30
	s_and_saveexec_b64 s[28:29], s[26:27]
	s_cbranch_execnz .LBB30_312
	s_branch .LBB30_313
.LBB30_529:
	s_mov_b64 s[30:31], -1
	s_mov_b64 s[0:1], 0
	s_mov_b64 s[28:29], s[20:21]
                                        ; implicit-def: $vgpr6
	s_branch .LBB30_533
.LBB30_530:
	s_or_saveexec_b64 s[28:29], s[28:29]
                                        ; implicit-def: $sgpr30
	s_xor_b64 exec, exec, s[28:29]
	s_cbranch_execz .LBB30_324
.LBB30_531:
	s_mov_b32 s30, 0x42800000
	v_add_f32_e64 v8, |v9|, s30
	v_and_b32_e32 v8, 0xff, v8
	v_cmp_ne_u32_e32 vcc, 0, v8
	s_andn2_b64 s[26:27], s[26:27], exec
	s_and_b64 s[34:35], vcc, exec
	s_mov_b32 s30, 0
	s_or_b64 s[26:27], s[26:27], s[34:35]
	s_or_b64 exec, exec, s[28:29]
	v_mov_b32_e32 v10, s30
	s_and_saveexec_b64 s[28:29], s[26:27]
	s_cbranch_execnz .LBB30_325
	s_branch .LBB30_326
.LBB30_532:
	s_mov_b64 s[28:29], -1
                                        ; implicit-def: $vgpr6
	s_mov_b64 s[0:1], 0
.LBB30_533:
	s_and_b64 vcc, exec, s[30:31]
	s_cbranch_vccz .LBB30_537
; %bb.534:
	v_cmp_eq_u16_e32 vcc, 44, v3
	s_cbranch_vccz .LBB30_536
; %bb.535:
	global_load_ubyte v6, v[0:1], off
	s_movk_i32 s28, 0xff
	v_mov_b32_e32 v7, 0x7f800001
	v_mov_b32_e32 v8, 0x400000
	;; [unrolled: 1-line block ×3, first 2 shown]
	s_mov_b64 s[0:1], -1
	s_waitcnt vmcnt(0)
	v_lshlrev_b32_e32 v10, 23, v6
	v_cmp_ne_u32_e32 vcc, s28, v6
	v_cndmask_b32_e32 v7, v7, v10, vcc
	v_cmp_ne_u32_e32 vcc, 0, v6
	v_cndmask_b32_e32 v6, v8, v7, vcc
	v_add_u32_e32 v7, 0x7fff, v6
	v_lshrrev_b32_e32 v7, 16, v7
	v_cmp_o_f32_e32 vcc, v6, v6
	v_cndmask_b32_e32 v6, v9, v7, vcc
	s_mov_b64 s[28:29], 0
	s_branch .LBB30_537
.LBB30_536:
	s_mov_b64 s[28:29], -1
                                        ; implicit-def: $vgpr6
.LBB30_537:
	s_mov_b64 s[30:31], 0
.LBB30_538:
	s_and_b64 vcc, exec, s[30:31]
	s_cbranch_vccz .LBB30_542
; %bb.539:
	v_cmp_eq_u16_e32 vcc, 29, v3
	s_cbranch_vccz .LBB30_541
; %bb.540:
	global_load_dwordx2 v[6:7], v[0:1], off
	s_movk_i32 s28, 0x7fff
	s_mov_b64 s[0:1], -1
	s_mov_b64 s[30:31], 0
	s_waitcnt vmcnt(0)
	v_ffbh_u32_e32 v8, v7
	v_min_u32_e32 v8, 32, v8
	v_lshlrev_b64 v[6:7], v8, v[6:7]
	v_min_u32_e32 v6, 1, v6
	v_or_b32_e32 v6, v7, v6
	v_cvt_f32_u32_e32 v6, v6
	v_sub_u32_e32 v7, 32, v8
	v_ldexp_f32 v6, v6, v7
	v_bfe_u32 v7, v6, 16, 1
	v_add3_u32 v6, v6, v7, s28
	v_lshrrev_b32_e32 v6, 16, v6
	s_mov_b64 s[28:29], 0
	s_branch .LBB30_543
.LBB30_541:
	s_mov_b64 s[28:29], -1
                                        ; implicit-def: $vgpr6
.LBB30_542:
	s_mov_b64 s[30:31], 0
.LBB30_543:
	s_and_b64 vcc, exec, s[30:31]
	s_cbranch_vccz .LBB30_561
; %bb.544:
	v_cmp_gt_i16_e32 vcc, 27, v3
	s_cbranch_vccnz .LBB30_547
; %bb.545:
	v_cmp_lt_i16_e32 vcc, 27, v3
	s_cbranch_vccz .LBB30_548
; %bb.546:
	global_load_dword v6, v[0:1], off
	s_movk_i32 s0, 0x7fff
	s_waitcnt vmcnt(0)
	v_cvt_f32_u32_e32 v6, v6
	v_bfe_u32 v7, v6, 16, 1
	v_add3_u32 v6, v6, v7, s0
	v_lshrrev_b32_e32 v6, 16, v6
	s_mov_b64 s[0:1], 0
	s_branch .LBB30_549
.LBB30_547:
	s_mov_b64 s[0:1], -1
                                        ; implicit-def: $vgpr6
	s_branch .LBB30_552
.LBB30_548:
	s_mov_b64 s[0:1], -1
                                        ; implicit-def: $vgpr6
.LBB30_549:
	s_andn2_b64 vcc, exec, s[0:1]
	s_cbranch_vccnz .LBB30_551
; %bb.550:
	global_load_ushort v6, v[0:1], off
	s_movk_i32 s0, 0x7fff
	s_waitcnt vmcnt(0)
	v_cvt_f32_u32_e32 v6, v6
	v_bfe_u32 v7, v6, 16, 1
	v_add3_u32 v6, v6, v7, s0
	v_lshrrev_b32_e32 v6, 16, v6
.LBB30_551:
	s_mov_b64 s[0:1], 0
.LBB30_552:
	s_andn2_b64 vcc, exec, s[0:1]
	s_cbranch_vccnz .LBB30_560
; %bb.553:
	global_load_ubyte v6, v[0:1], off
	s_movk_i32 s0, 0x7f
                                        ; implicit-def: $sgpr36
	s_waitcnt vmcnt(0)
	v_cmp_lt_i16_e32 vcc, s0, v6
	s_mov_b64 s[0:1], 0
	s_and_saveexec_b64 s[30:31], vcc
	s_xor_b64 s[30:31], exec, s[30:31]
	s_cbranch_execz .LBB30_574
; %bb.554:
	s_movk_i32 s0, 0x80
	v_cmp_eq_u16_e32 vcc, s0, v6
	s_mov_b64 s[0:1], -1
                                        ; implicit-def: $sgpr36
	s_and_saveexec_b64 s[34:35], vcc
; %bb.555:
	s_mov_b32 s36, 0x7f800001
	s_xor_b64 s[0:1], exec, -1
; %bb.556:
	s_or_b64 exec, exec, s[34:35]
	s_and_b64 s[0:1], s[0:1], exec
	s_or_saveexec_b64 s[30:31], s[30:31]
	v_mov_b32_e32 v7, s36
	s_xor_b64 exec, exec, s[30:31]
	s_cbranch_execnz .LBB30_575
.LBB30_557:
	s_or_b64 exec, exec, s[30:31]
	s_and_saveexec_b64 s[30:31], s[0:1]
	s_cbranch_execz .LBB30_559
.LBB30_558:
	v_lshlrev_b32_e32 v7, 24, v6
	v_and_b32_e32 v6, 0xffff, v6
	v_and_b32_e32 v8, 7, v6
	v_ffbh_u32_e32 v10, v8
	v_min_u32_e32 v10, 32, v10
	v_subrev_u32_e32 v11, 28, v10
	v_bfe_u32 v9, v6, 3, 4
	v_lshlrev_b32_e32 v6, v11, v6
	v_sub_u32_e32 v10, 29, v10
	v_and_b32_e32 v6, 7, v6
	v_cmp_eq_u32_e32 vcc, 0, v9
	v_cndmask_b32_e32 v9, v9, v10, vcc
	v_cndmask_b32_e32 v6, v8, v6, vcc
	v_mov_b32_e32 v8, 0x3b800000
	v_lshlrev_b32_e32 v6, 20, v6
	v_and_b32_e32 v7, 0x80000000, v7
	v_lshl_add_u32 v8, v9, 23, v8
	v_or3_b32 v7, v7, v8, v6
.LBB30_559:
	s_or_b64 exec, exec, s[30:31]
	v_bfe_u32 v6, v7, 16, 1
	s_movk_i32 s0, 0x7fff
	v_add3_u32 v6, v7, v6, s0
	v_lshrrev_b32_e32 v6, 16, v6
	v_mov_b32_e32 v8, 0x7fc0
	v_cmp_o_f32_e32 vcc, v7, v7
	v_cndmask_b32_e32 v6, v8, v6, vcc
.LBB30_560:
	s_mov_b64 s[0:1], -1
.LBB30_561:
	s_mov_b64 s[30:31], 0
.LBB30_562:
	s_and_b64 vcc, exec, s[30:31]
	s_cbranch_vccz .LBB30_597
; %bb.563:
	v_cmp_lt_i16_e32 vcc, 22, v3
	s_cbranch_vccz .LBB30_573
; %bb.564:
	v_cmp_gt_i16_e32 vcc, 24, v3
	s_cbranch_vccnz .LBB30_576
; %bb.565:
	v_cmp_lt_i16_e32 vcc, 24, v3
	s_cbranch_vccz .LBB30_577
; %bb.566:
	global_load_ubyte v6, v[0:1], off
	s_movk_i32 s0, 0x7f
                                        ; implicit-def: $sgpr36
	s_waitcnt vmcnt(0)
	v_cmp_lt_i16_e32 vcc, s0, v6
	s_mov_b64 s[0:1], 0
	s_and_saveexec_b64 s[30:31], vcc
	s_xor_b64 s[30:31], exec, s[30:31]
	s_cbranch_execz .LBB30_589
; %bb.567:
	s_movk_i32 s0, 0x80
	v_cmp_eq_u16_e32 vcc, s0, v6
	s_mov_b64 s[0:1], -1
                                        ; implicit-def: $sgpr36
	s_and_saveexec_b64 s[34:35], vcc
; %bb.568:
	s_mov_b32 s36, 0x7f800001
	s_xor_b64 s[0:1], exec, -1
; %bb.569:
	s_or_b64 exec, exec, s[34:35]
	s_and_b64 s[0:1], s[0:1], exec
	s_or_saveexec_b64 s[30:31], s[30:31]
	v_mov_b32_e32 v7, s36
	s_xor_b64 exec, exec, s[30:31]
	s_cbranch_execnz .LBB30_590
.LBB30_570:
	s_or_b64 exec, exec, s[30:31]
	s_and_saveexec_b64 s[30:31], s[0:1]
	s_cbranch_execz .LBB30_572
.LBB30_571:
	v_lshlrev_b32_e32 v7, 24, v6
	v_and_b32_e32 v6, 0xffff, v6
	v_and_b32_e32 v8, 3, v6
	v_ffbh_u32_e32 v10, v8
	v_min_u32_e32 v10, 32, v10
	v_subrev_u32_e32 v11, 29, v10
	v_bfe_u32 v9, v6, 2, 5
	v_lshlrev_b32_e32 v6, v11, v6
	v_sub_u32_e32 v10, 30, v10
	v_and_b32_e32 v6, 3, v6
	v_cmp_eq_u32_e32 vcc, 0, v9
	v_cndmask_b32_e32 v9, v9, v10, vcc
	v_cndmask_b32_e32 v6, v8, v6, vcc
	v_mov_b32_e32 v8, 0x37800000
	v_lshlrev_b32_e32 v6, 21, v6
	v_and_b32_e32 v7, 0x80000000, v7
	v_lshl_add_u32 v8, v9, 23, v8
	v_or3_b32 v7, v7, v8, v6
.LBB30_572:
	s_or_b64 exec, exec, s[30:31]
	v_bfe_u32 v6, v7, 16, 1
	s_movk_i32 s0, 0x7fff
	v_add3_u32 v6, v7, v6, s0
	v_lshrrev_b32_e32 v6, 16, v6
	v_mov_b32_e32 v8, 0x7fc0
	v_cmp_o_f32_e32 vcc, v7, v7
	v_cndmask_b32_e32 v6, v8, v6, vcc
	s_mov_b64 s[0:1], 0
	s_branch .LBB30_578
.LBB30_573:
	s_mov_b64 s[30:31], -1
                                        ; implicit-def: $vgpr6
	s_branch .LBB30_584
.LBB30_574:
	s_or_saveexec_b64 s[30:31], s[30:31]
	v_mov_b32_e32 v7, s36
	s_xor_b64 exec, exec, s[30:31]
	s_cbranch_execz .LBB30_557
.LBB30_575:
	v_cmp_ne_u16_e32 vcc, 0, v6
	s_andn2_b64 s[0:1], s[0:1], exec
	s_and_b64 s[34:35], vcc, exec
	v_mov_b32_e32 v7, 0
	s_or_b64 s[0:1], s[0:1], s[34:35]
	s_or_b64 exec, exec, s[30:31]
	s_and_saveexec_b64 s[30:31], s[0:1]
	s_cbranch_execnz .LBB30_558
	s_branch .LBB30_559
.LBB30_576:
	s_mov_b64 s[0:1], -1
                                        ; implicit-def: $vgpr6
	s_branch .LBB30_581
.LBB30_577:
	s_mov_b64 s[0:1], -1
                                        ; implicit-def: $vgpr6
.LBB30_578:
	s_and_b64 vcc, exec, s[0:1]
	s_cbranch_vccz .LBB30_580
; %bb.579:
	global_load_ubyte v6, v[0:1], off
	s_mov_b32 s0, 0x7f800000
	s_brev_b32 s1, 1
	s_movk_i32 s30, 0x7fff
	v_mov_b32_e32 v7, 0x7fc0
	s_waitcnt vmcnt(0)
	v_lshlrev_b32_e32 v6, 24, v6
	v_and_b32_e32 v8, 0x7f000000, v6
	v_ffbh_u32_e32 v9, v8
	v_min_u32_e32 v9, 32, v9
	v_sub_u32_e64 v9, v9, 4 clamp
	v_lshlrev_b32_e32 v11, v9, v8
	v_lshlrev_b32_e32 v9, 23, v9
	v_lshrrev_b32_e32 v11, 4, v11
	v_add_u32_e32 v10, 0x1000000, v8
	v_sub_u32_e32 v9, v11, v9
	v_ashrrev_i32_e32 v10, 8, v10
	v_add_u32_e32 v9, 0x3c000000, v9
	v_and_or_b32 v9, v10, s0, v9
	v_cmp_ne_u32_e32 vcc, 0, v8
	v_cndmask_b32_e32 v8, 0, v9, vcc
	v_and_or_b32 v6, v6, s1, v8
	v_bfe_u32 v8, v8, 16, 1
	v_add3_u32 v8, v6, v8, s30
	v_lshrrev_b32_e32 v8, 16, v8
	v_cmp_o_f32_e32 vcc, v6, v6
	v_cndmask_b32_e32 v6, v7, v8, vcc
.LBB30_580:
	s_mov_b64 s[0:1], 0
.LBB30_581:
	s_andn2_b64 vcc, exec, s[0:1]
	s_cbranch_vccnz .LBB30_583
; %bb.582:
	global_load_ubyte v6, v[0:1], off
	s_movk_i32 s0, 0x7f00
	s_brev_b32 s1, 16
	s_brev_b32 s30, 1
	s_movk_i32 s31, 0x7fff
	v_mov_b32_e32 v7, 0x7fc0
	s_waitcnt vmcnt(0)
	v_lshlrev_b16_e32 v8, 8, v6
	v_lshlrev_b32_e32 v6, 25, v6
	v_lshrrev_b32_e32 v9, 4, v6
	v_and_or_b32 v10, v8, s0, 0.5
	v_or_b32_e32 v9, 0x70000000, v9
	v_add_f32_e32 v10, -0.5, v10
	v_mul_f32_e32 v9, 0x7800000, v9
	v_cmp_gt_u32_e32 vcc, s1, v6
	v_bfe_i32 v8, v8, 0, 16
	v_cndmask_b32_e32 v6, v9, v10, vcc
	v_and_or_b32 v8, v8, s30, v6
	v_bfe_u32 v6, v6, 16, 1
	v_add3_u32 v6, v8, v6, s31
	v_lshrrev_b32_e32 v6, 16, v6
	v_cmp_o_f32_e32 vcc, v8, v8
	v_cndmask_b32_e32 v6, v7, v6, vcc
.LBB30_583:
	s_mov_b64 s[30:31], 0
	s_mov_b64 s[0:1], -1
.LBB30_584:
	s_andn2_b64 vcc, exec, s[30:31]
	s_cbranch_vccnz .LBB30_597
; %bb.585:
	v_cmp_lt_i16_e32 vcc, 14, v3
	s_cbranch_vccz .LBB30_588
; %bb.586:
	v_cmp_eq_u16_e32 vcc, 15, v3
	s_cbranch_vccz .LBB30_591
; %bb.587:
	global_load_ushort v6, v[0:1], off
	s_mov_b64 s[0:1], -1
	s_mov_b64 s[28:29], 0
	s_branch .LBB30_592
.LBB30_588:
	s_mov_b64 s[30:31], -1
                                        ; implicit-def: $vgpr6
	s_branch .LBB30_593
.LBB30_589:
	s_or_saveexec_b64 s[30:31], s[30:31]
	v_mov_b32_e32 v7, s36
	s_xor_b64 exec, exec, s[30:31]
	s_cbranch_execz .LBB30_570
.LBB30_590:
	v_cmp_ne_u16_e32 vcc, 0, v6
	s_andn2_b64 s[0:1], s[0:1], exec
	s_and_b64 s[34:35], vcc, exec
	v_mov_b32_e32 v7, 0
	s_or_b64 s[0:1], s[0:1], s[34:35]
	s_or_b64 exec, exec, s[30:31]
	s_and_saveexec_b64 s[30:31], s[0:1]
	s_cbranch_execnz .LBB30_571
	s_branch .LBB30_572
.LBB30_591:
	s_mov_b64 s[28:29], -1
                                        ; implicit-def: $vgpr6
.LBB30_592:
	s_mov_b64 s[30:31], 0
.LBB30_593:
	s_and_b64 vcc, exec, s[30:31]
	s_cbranch_vccz .LBB30_597
; %bb.594:
	v_cmp_eq_u16_e32 vcc, 11, v3
	s_cbranch_vccz .LBB30_596
; %bb.595:
	global_load_ubyte v6, v[0:1], off
	s_mov_b64 s[0:1], -1
	s_mov_b64 s[28:29], 0
	s_waitcnt vmcnt(0)
	v_cmp_ne_u16_e32 vcc, 0, v6
	v_cndmask_b32_e64 v6, 0, 1.0, vcc
	v_lshrrev_b32_e32 v6, 16, v6
	s_branch .LBB30_597
.LBB30_596:
	s_mov_b64 s[28:29], -1
                                        ; implicit-def: $vgpr6
.LBB30_597:
	s_mov_b64 s[30:31], 0
.LBB30_598:
	s_and_b64 vcc, exec, s[30:31]
	s_cbranch_vccz .LBB30_647
; %bb.599:
	v_cmp_gt_i16_e32 vcc, 5, v3
	s_cbranch_vccnz .LBB30_604
; %bb.600:
	v_cmp_gt_i16_e32 vcc, 8, v3
	s_cbranch_vccnz .LBB30_605
	;; [unrolled: 3-line block ×3, first 2 shown]
; %bb.602:
	v_cmp_lt_i16_e32 vcc, 9, v3
	s_cbranch_vccz .LBB30_607
; %bb.603:
	global_load_dwordx2 v[6:7], v[0:1], off
	s_movk_i32 s0, 0x7fff
	v_mov_b32_e32 v8, 0x7fc0
	s_waitcnt vmcnt(0)
	v_cvt_f32_f64_e32 v6, v[6:7]
	v_bfe_u32 v7, v6, 16, 1
	v_add3_u32 v7, v6, v7, s0
	v_lshrrev_b32_e32 v7, 16, v7
	v_cmp_o_f32_e32 vcc, v6, v6
	v_cndmask_b32_e32 v6, v8, v7, vcc
	s_mov_b64 s[0:1], 0
	s_branch .LBB30_608
.LBB30_604:
	s_mov_b64 s[0:1], -1
                                        ; implicit-def: $vgpr6
	s_branch .LBB30_626
.LBB30_605:
	s_mov_b64 s[0:1], -1
                                        ; implicit-def: $vgpr6
	s_branch .LBB30_614
.LBB30_606:
	s_mov_b64 s[0:1], -1
                                        ; implicit-def: $vgpr6
	s_branch .LBB30_611
.LBB30_607:
	s_mov_b64 s[0:1], -1
                                        ; implicit-def: $vgpr6
.LBB30_608:
	s_andn2_b64 vcc, exec, s[0:1]
	s_cbranch_vccnz .LBB30_610
; %bb.609:
	global_load_dword v6, v[0:1], off
	s_movk_i32 s0, 0x7fff
	v_mov_b32_e32 v7, 0x7fc0
	s_waitcnt vmcnt(0)
	v_bfe_u32 v8, v6, 16, 1
	v_add3_u32 v8, v6, v8, s0
	v_lshrrev_b32_e32 v8, 16, v8
	v_cmp_o_f32_e32 vcc, v6, v6
	v_cndmask_b32_e32 v6, v7, v8, vcc
.LBB30_610:
	s_mov_b64 s[0:1], 0
.LBB30_611:
	s_andn2_b64 vcc, exec, s[0:1]
	s_cbranch_vccnz .LBB30_613
; %bb.612:
	global_load_dword v6, v[0:1], off
	s_movk_i32 s0, 0x7fff
	v_mov_b32_e32 v8, 0x7fc0
	s_waitcnt vmcnt(0)
	v_cvt_f32_f16_e32 v7, v6
	v_cmp_o_f16_e32 vcc, v6, v6
	v_bfe_u32 v9, v7, 16, 1
	v_add3_u32 v7, v7, v9, s0
	v_lshrrev_b32_e32 v7, 16, v7
	v_cndmask_b32_e32 v6, v8, v7, vcc
.LBB30_613:
	s_mov_b64 s[0:1], 0
.LBB30_614:
	s_andn2_b64 vcc, exec, s[0:1]
	s_cbranch_vccnz .LBB30_625
; %bb.615:
	v_cmp_gt_i16_e32 vcc, 6, v3
	s_cbranch_vccnz .LBB30_618
; %bb.616:
	v_cmp_lt_i16_e32 vcc, 6, v3
	s_cbranch_vccz .LBB30_619
; %bb.617:
	global_load_dwordx2 v[6:7], v[0:1], off
	s_movk_i32 s0, 0x7fff
	v_mov_b32_e32 v8, 0x7fc0
	s_waitcnt vmcnt(0)
	v_cvt_f32_f64_e32 v6, v[6:7]
	v_bfe_u32 v7, v6, 16, 1
	v_add3_u32 v7, v6, v7, s0
	v_lshrrev_b32_e32 v7, 16, v7
	v_cmp_o_f32_e32 vcc, v6, v6
	v_cndmask_b32_e32 v6, v8, v7, vcc
	s_mov_b64 s[0:1], 0
	s_branch .LBB30_620
.LBB30_618:
	s_mov_b64 s[0:1], -1
                                        ; implicit-def: $vgpr6
	s_branch .LBB30_623
.LBB30_619:
	s_mov_b64 s[0:1], -1
                                        ; implicit-def: $vgpr6
.LBB30_620:
	s_andn2_b64 vcc, exec, s[0:1]
	s_cbranch_vccnz .LBB30_622
; %bb.621:
	global_load_dword v6, v[0:1], off
	s_movk_i32 s0, 0x7fff
	v_mov_b32_e32 v7, 0x7fc0
	s_waitcnt vmcnt(0)
	v_bfe_u32 v8, v6, 16, 1
	v_add3_u32 v8, v6, v8, s0
	v_lshrrev_b32_e32 v8, 16, v8
	v_cmp_o_f32_e32 vcc, v6, v6
	v_cndmask_b32_e32 v6, v7, v8, vcc
.LBB30_622:
	s_mov_b64 s[0:1], 0
.LBB30_623:
	s_andn2_b64 vcc, exec, s[0:1]
	s_cbranch_vccnz .LBB30_625
; %bb.624:
	global_load_ushort v6, v[0:1], off
	s_movk_i32 s0, 0x7fff
	v_mov_b32_e32 v8, 0x7fc0
	s_waitcnt vmcnt(0)
	v_cvt_f32_f16_e32 v7, v6
	v_cmp_o_f16_e32 vcc, v6, v6
	v_bfe_u32 v9, v7, 16, 1
	v_add3_u32 v7, v7, v9, s0
	v_lshrrev_b32_e32 v7, 16, v7
	v_cndmask_b32_e32 v6, v8, v7, vcc
.LBB30_625:
	s_mov_b64 s[0:1], 0
.LBB30_626:
	s_andn2_b64 vcc, exec, s[0:1]
	s_cbranch_vccnz .LBB30_646
; %bb.627:
	v_cmp_gt_i16_e32 vcc, 2, v3
	s_cbranch_vccnz .LBB30_631
; %bb.628:
	v_cmp_gt_i16_e32 vcc, 3, v3
	s_cbranch_vccnz .LBB30_632
; %bb.629:
	v_cmp_lt_i16_e32 vcc, 3, v3
	s_cbranch_vccz .LBB30_633
; %bb.630:
	global_load_dwordx2 v[6:7], v[0:1], off
	s_movk_i32 s0, 0x7fff
	s_waitcnt vmcnt(0)
	v_xor_b32_e32 v9, v6, v7
	v_ffbh_i32_e32 v8, v7
	v_ashrrev_i32_e32 v9, 31, v9
	v_add_u32_e32 v8, -1, v8
	v_add_u32_e32 v9, 32, v9
	v_min_u32_e32 v8, v8, v9
	v_lshlrev_b64 v[6:7], v8, v[6:7]
	v_min_u32_e32 v6, 1, v6
	v_or_b32_e32 v6, v7, v6
	v_cvt_f32_i32_e32 v6, v6
	v_sub_u32_e32 v7, 32, v8
	v_ldexp_f32 v6, v6, v7
	v_bfe_u32 v7, v6, 16, 1
	v_add3_u32 v6, v6, v7, s0
	v_lshrrev_b32_e32 v6, 16, v6
	s_mov_b64 s[0:1], 0
	s_branch .LBB30_634
.LBB30_631:
	s_mov_b64 s[0:1], -1
                                        ; implicit-def: $vgpr6
	s_branch .LBB30_640
.LBB30_632:
	s_mov_b64 s[0:1], -1
                                        ; implicit-def: $vgpr6
	s_branch .LBB30_637
.LBB30_633:
	s_mov_b64 s[0:1], -1
                                        ; implicit-def: $vgpr6
.LBB30_634:
	s_andn2_b64 vcc, exec, s[0:1]
	s_cbranch_vccnz .LBB30_636
; %bb.635:
	global_load_dword v6, v[0:1], off
	s_movk_i32 s0, 0x7fff
	s_waitcnt vmcnt(0)
	v_cvt_f32_i32_e32 v6, v6
	v_bfe_u32 v7, v6, 16, 1
	v_add3_u32 v6, v6, v7, s0
	v_lshrrev_b32_e32 v6, 16, v6
.LBB30_636:
	s_mov_b64 s[0:1], 0
.LBB30_637:
	s_andn2_b64 vcc, exec, s[0:1]
	s_cbranch_vccnz .LBB30_639
; %bb.638:
	global_load_sshort v6, v[0:1], off
	s_movk_i32 s0, 0x7fff
	s_waitcnt vmcnt(0)
	v_cvt_f32_i32_e32 v6, v6
	v_bfe_u32 v7, v6, 16, 1
	v_add3_u32 v6, v6, v7, s0
	v_lshrrev_b32_e32 v6, 16, v6
.LBB30_639:
	s_mov_b64 s[0:1], 0
.LBB30_640:
	s_andn2_b64 vcc, exec, s[0:1]
	s_cbranch_vccnz .LBB30_646
; %bb.641:
	v_cmp_lt_i16_e32 vcc, 0, v3
	s_cbranch_vccz .LBB30_643
; %bb.642:
	global_load_sbyte v6, v[0:1], off
	s_movk_i32 s0, 0x7fff
	s_waitcnt vmcnt(0)
	v_cvt_f32_i32_e32 v6, v6
	v_bfe_u32 v7, v6, 16, 1
	v_add3_u32 v6, v6, v7, s0
	v_lshrrev_b32_e32 v6, 16, v6
	s_mov_b64 s[0:1], 0
	s_branch .LBB30_644
.LBB30_643:
	s_mov_b64 s[0:1], -1
                                        ; implicit-def: $vgpr6
.LBB30_644:
	s_andn2_b64 vcc, exec, s[0:1]
	s_cbranch_vccnz .LBB30_646
; %bb.645:
	global_load_ubyte v0, v[0:1], off
	s_movk_i32 s0, 0x7fff
	s_waitcnt vmcnt(0)
	v_cvt_f32_ubyte0_e32 v0, v0
	v_bfe_u32 v1, v0, 16, 1
	v_add3_u32 v0, v0, v1, s0
	v_lshrrev_b32_e32 v6, 16, v0
.LBB30_646:
	s_mov_b64 s[0:1], -1
.LBB30_647:
	s_andn2_b64 vcc, exec, s[0:1]
	s_cbranch_vccnz .LBB30_655
; %bb.648:
	s_waitcnt vmcnt(0)
	v_and_b32_e32 v0, 0xffff8000, v6
	v_or_b32_e32 v6, v0, v5
	v_mul_lo_u32 v0, v2, s12
	v_ashrrev_i32_e32 v1, 31, v0
	v_mov_b32_e32 v7, s9
	v_add_co_u32_e32 v0, vcc, s8, v0
	v_addc_co_u32_e32 v1, vcc, v7, v1, vcc
	v_mov_b32_e32 v7, 11
	v_cmp_lt_i16_sdwa s[0:1], s15, v7 src0_sel:BYTE_0 src1_sel:DWORD
	s_and_b64 vcc, exec, s[0:1]
	s_cbranch_vccnz .LBB30_656
; %bb.649:
	v_mov_b32_e32 v7, 25
	v_cmp_gt_i16_sdwa s[0:1], s15, v7 src0_sel:BYTE_0 src1_sel:DWORD
	s_and_b64 vcc, exec, s[0:1]
	s_cbranch_vccz .LBB30_657
; %bb.650:
	v_mov_b32_e32 v7, 28
	v_cmp_gt_i16_sdwa s[0:1], s15, v7 src0_sel:BYTE_0 src1_sel:DWORD
	s_and_b64 vcc, exec, s[0:1]
	s_cbranch_vccz .LBB30_658
	;; [unrolled: 5-line block ×4, first 2 shown]
; %bb.653:
	v_mov_b32_e32 v7, 46
	v_cmp_eq_u16_sdwa s[30:31], s15, v7 src0_sel:BYTE_0 src1_sel:DWORD
	s_mov_b64 s[34:35], 0
	s_mov_b64 s[0:1], -1
	s_and_b64 vcc, exec, s[30:31]
	s_mov_b64 s[30:31], 0
	s_cbranch_vccz .LBB30_661
; %bb.654:
	v_and_b32_e32 v7, 0xffff, v6
	global_store_dword v[0:1], v7, off
	s_mov_b64 s[30:31], -1
	s_mov_b64 s[0:1], 0
	s_branch .LBB30_661
.LBB30_655:
	s_mov_b64 s[34:35], 0
	s_mov_b64 s[0:1], s[22:23]
	s_branch .LBB30_772
.LBB30_656:
	s_mov_b64 s[34:35], -1
	s_mov_b64 s[30:31], 0
	s_mov_b64 s[0:1], s[22:23]
	s_branch .LBB30_730
.LBB30_657:
	s_mov_b64 s[34:35], -1
	s_mov_b64 s[30:31], 0
	s_mov_b64 s[0:1], s[22:23]
	s_branch .LBB30_688
.LBB30_658:
	s_mov_b64 s[34:35], -1
	s_mov_b64 s[30:31], 0
	s_mov_b64 s[0:1], s[22:23]
	s_branch .LBB30_671
.LBB30_659:
	s_mov_b64 s[34:35], -1
	s_mov_b64 s[30:31], 0
	s_mov_b64 s[0:1], s[22:23]
	s_branch .LBB30_667
.LBB30_660:
	s_mov_b64 s[34:35], -1
	s_mov_b64 s[30:31], 0
	s_mov_b64 s[0:1], s[22:23]
.LBB30_661:
	s_and_b64 vcc, exec, s[34:35]
	s_cbranch_vccz .LBB30_666
; %bb.662:
	v_mov_b32_e32 v7, 44
	v_cmp_eq_u16_sdwa s[34:35], s15, v7 src0_sel:BYTE_0 src1_sel:DWORD
	s_mov_b64 s[0:1], -1
	s_and_b64 vcc, exec, s[34:35]
	s_cbranch_vccz .LBB30_666
; %bb.663:
	v_and_b32_e32 v8, 0xffff, v6
	v_bfe_u32 v7, v8, 7, 8
	s_movk_i32 s0, 0xff
	v_cmp_ne_u32_e32 vcc, s0, v7
	v_mov_b32_e32 v9, 0xff
	s_and_saveexec_b64 s[30:31], vcc
; %bb.664:
	v_lshlrev_b32_e32 v10, 16, v8
	s_mov_b32 s0, 0x3f0000
	v_lshrrev_b32_e32 v9, 7, v8
	v_and_b32_e32 v8, 64, v8
	v_and_or_b32 v7, v10, s0, v7
	v_cmp_ne_u32_e32 vcc, 0, v8
	v_cmp_ne_u32_e64 s[0:1], 0, v7
	s_and_b64 s[0:1], vcc, s[0:1]
	v_cndmask_b32_e64 v7, 0, 1, s[0:1]
	v_add_u32_e32 v9, v9, v7
; %bb.665:
	s_or_b64 exec, exec, s[30:31]
	s_mov_b64 s[30:31], -1
	s_mov_b64 s[0:1], 0
	global_store_byte v[0:1], v9, off
.LBB30_666:
	s_mov_b64 s[34:35], 0
.LBB30_667:
	s_and_b64 vcc, exec, s[34:35]
	s_cbranch_vccz .LBB30_670
; %bb.668:
	v_mov_b32_e32 v7, 29
	v_cmp_eq_u16_sdwa s[34:35], s15, v7 src0_sel:BYTE_0 src1_sel:DWORD
	s_mov_b64 s[0:1], -1
	s_and_b64 vcc, exec, s[34:35]
	s_cbranch_vccz .LBB30_670
; %bb.669:
	v_lshlrev_b32_e32 v7, 16, v6
	v_trunc_f32_e32 v7, v7
	v_mul_f32_e32 v8, 0x2f800000, v7
	v_floor_f32_e32 v8, v8
	v_fmac_f32_e32 v7, 0xcf800000, v8
	v_cvt_u32_f32_e32 v9, v8
	v_cvt_u32_f32_e32 v8, v7
	s_mov_b64 s[30:31], -1
	s_mov_b64 s[0:1], 0
	s_mov_b64 s[34:35], 0
	global_store_dwordx2 v[0:1], v[8:9], off
	s_branch .LBB30_671
.LBB30_670:
	s_mov_b64 s[34:35], 0
.LBB30_671:
	s_and_b64 vcc, exec, s[34:35]
	s_cbranch_vccz .LBB30_687
; %bb.672:
	v_mov_b32_e32 v7, 27
	v_cmp_lt_i16_sdwa s[34:35], s15, v7 src0_sel:BYTE_0 src1_sel:DWORD
	s_mov_b64 s[30:31], -1
	s_and_b64 vcc, exec, s[34:35]
	s_cbranch_vccnz .LBB30_678
; %bb.673:
	v_cmp_gt_i16_sdwa s[34:35], s15, v7 src0_sel:BYTE_0 src1_sel:DWORD
	s_and_b64 vcc, exec, s[34:35]
	s_cbranch_vccz .LBB30_675
; %bb.674:
	v_lshlrev_b32_e32 v7, 16, v6
	v_cvt_u32_f32_e32 v7, v7
	s_mov_b64 s[30:31], 0
	global_store_dword v[0:1], v7, off
.LBB30_675:
	s_andn2_b64 vcc, exec, s[30:31]
	s_cbranch_vccnz .LBB30_677
; %bb.676:
	v_lshlrev_b32_e32 v7, 16, v6
	v_cvt_u32_f32_e32 v7, v7
	global_store_short v[0:1], v7, off
.LBB30_677:
	s_mov_b64 s[30:31], 0
.LBB30_678:
	s_andn2_b64 vcc, exec, s[30:31]
	s_cbranch_vccnz .LBB30_686
; %bb.679:
	v_lshlrev_b32_e32 v9, 16, v6
	v_and_b32_e32 v8, 0x7fffffff, v9
	s_mov_b32 s30, 0x43800000
	v_cmp_gt_u32_e32 vcc, s30, v8
	v_mov_b32_e32 v10, 0x80
	s_and_saveexec_b64 s[30:31], vcc
	s_cbranch_execz .LBB30_685
; %bb.680:
	s_mov_b32 s34, 0x3bffffff
	v_and_b32_e32 v7, 0xffff, v6
	v_cmp_lt_u32_e32 vcc, s34, v8
	s_mov_b64 s[34:35], 0
                                        ; implicit-def: $vgpr8
	s_and_saveexec_b64 s[36:37], vcc
	s_xor_b64 s[36:37], exec, s[36:37]
	s_cbranch_execz .LBB30_787
; %bb.681:
	v_bfe_u32 v8, v7, 4, 1
	s_mov_b32 s38, 0x487ffff
	v_add3_u32 v8, v9, v8, s38
	s_mov_b64 s[34:35], exec
	v_lshrrev_b32_e32 v8, 20, v8
                                        ; implicit-def: $vgpr9
	s_or_saveexec_b64 s[36:37], s[36:37]
                                        ; implicit-def: $sgpr38
	s_xor_b64 exec, exec, s[36:37]
	s_cbranch_execnz .LBB30_788
.LBB30_682:
	s_or_b64 exec, exec, s[36:37]
	v_mov_b32_e32 v10, s38
	s_and_saveexec_b64 s[36:37], s[34:35]
.LBB30_683:
	v_lshrrev_b32_e32 v7, 8, v7
	s_movk_i32 s34, 0x80
	v_and_or_b32 v10, v7, s34, v8
.LBB30_684:
	s_or_b64 exec, exec, s[36:37]
.LBB30_685:
	s_or_b64 exec, exec, s[30:31]
	global_store_byte v[0:1], v10, off
.LBB30_686:
	s_mov_b64 s[30:31], -1
.LBB30_687:
	s_mov_b64 s[34:35], 0
.LBB30_688:
	s_and_b64 vcc, exec, s[34:35]
	s_cbranch_vccz .LBB30_729
; %bb.689:
	v_mov_b32_e32 v7, 22
	v_cmp_gt_i16_sdwa s[36:37], s15, v7 src0_sel:BYTE_0 src1_sel:DWORD
	s_mov_b64 s[34:35], -1
	s_and_b64 vcc, exec, s[36:37]
	s_cbranch_vccz .LBB30_721
; %bb.690:
	v_mov_b32_e32 v7, 24
	v_cmp_lt_i16_sdwa s[34:35], s15, v7 src0_sel:BYTE_0 src1_sel:DWORD
	s_mov_b64 s[30:31], -1
	s_and_b64 vcc, exec, s[34:35]
	s_cbranch_vccnz .LBB30_710
; %bb.691:
	v_cmp_gt_i16_sdwa s[34:35], s15, v7 src0_sel:BYTE_0 src1_sel:DWORD
	s_and_b64 vcc, exec, s[34:35]
	s_cbranch_vccz .LBB30_699
; %bb.692:
	v_lshlrev_b32_e32 v9, 16, v6
	v_and_b32_e32 v8, 0x7fffffff, v9
	s_mov_b32 s30, 0x47800000
	v_cmp_gt_u32_e32 vcc, s30, v8
	v_mov_b32_e32 v10, 0x80
	s_and_saveexec_b64 s[30:31], vcc
	s_cbranch_execz .LBB30_698
; %bb.693:
	s_mov_b32 s34, 0x37ffffff
	v_and_b32_e32 v7, 0xffff, v6
	v_cmp_lt_u32_e32 vcc, s34, v8
	s_mov_b64 s[34:35], 0
                                        ; implicit-def: $vgpr8
	s_and_saveexec_b64 s[36:37], vcc
	s_xor_b64 s[36:37], exec, s[36:37]
	s_cbranch_execz .LBB30_790
; %bb.694:
	v_bfe_u32 v8, v7, 5, 1
	s_mov_b32 s38, 0x88fffff
	v_add3_u32 v8, v9, v8, s38
	s_mov_b64 s[34:35], exec
	v_lshrrev_b32_e32 v8, 21, v8
                                        ; implicit-def: $vgpr9
	s_or_saveexec_b64 s[36:37], s[36:37]
                                        ; implicit-def: $sgpr38
	s_xor_b64 exec, exec, s[36:37]
	s_cbranch_execnz .LBB30_791
.LBB30_695:
	s_or_b64 exec, exec, s[36:37]
	v_mov_b32_e32 v10, s38
	s_and_saveexec_b64 s[36:37], s[34:35]
.LBB30_696:
	v_lshrrev_b32_e32 v7, 8, v7
	s_movk_i32 s34, 0x80
	v_and_or_b32 v10, v7, s34, v8
.LBB30_697:
	s_or_b64 exec, exec, s[36:37]
.LBB30_698:
	s_or_b64 exec, exec, s[30:31]
	s_mov_b64 s[30:31], 0
	global_store_byte v[0:1], v10, off
.LBB30_699:
	s_and_b64 vcc, exec, s[30:31]
	s_cbranch_vccz .LBB30_709
; %bb.700:
	v_lshlrev_b32_e32 v9, 16, v6
	v_and_b32_e32 v10, 0x7fffffff, v9
	s_mov_b32 s30, 0x43f00000
	v_and_b32_e32 v7, 0xffff, v6
	v_cmp_gt_u32_e32 vcc, s30, v10
                                        ; implicit-def: $vgpr8
	s_and_saveexec_b64 s[30:31], vcc
	s_xor_b64 s[30:31], exec, s[30:31]
	s_cbranch_execz .LBB30_706
; %bb.701:
	s_mov_b32 s34, 0x3c7fffff
	v_cmp_lt_u32_e32 vcc, s34, v10
                                        ; implicit-def: $vgpr8
	s_and_saveexec_b64 s[34:35], vcc
	s_xor_b64 s[34:35], exec, s[34:35]
; %bb.702:
	v_bfe_u32 v8, v7, 4, 1
	s_mov_b32 s36, 0x407ffff
	v_add3_u32 v8, v9, v8, s36
	v_lshrrev_b32_e32 v9, 20, v8
	v_and_b32_e32 v8, 0xff00000, v8
	s_mov_b32 s36, 0x7f00000
	v_mov_b32_e32 v10, 0x7e
	v_cmp_ne_u32_e32 vcc, s36, v8
	v_cndmask_b32_e32 v8, v10, v9, vcc
                                        ; implicit-def: $vgpr9
; %bb.703:
	s_andn2_saveexec_b64 s[34:35], s[34:35]
; %bb.704:
	s_mov_b32 s36, 0x46800000
	v_add_f32_e64 v8, |v9|, s36
; %bb.705:
	s_or_b64 exec, exec, s[34:35]
                                        ; implicit-def: $vgpr10
.LBB30_706:
	s_andn2_saveexec_b64 s[30:31], s[30:31]
; %bb.707:
	s_mov_b32 s34, 0x7f800000
	v_mov_b32_e32 v8, 0x7e
	v_mov_b32_e32 v9, 0x7f
	v_cmp_lt_u32_e32 vcc, s34, v10
	v_cndmask_b32_e32 v8, v8, v9, vcc
; %bb.708:
	s_or_b64 exec, exec, s[30:31]
	v_lshrrev_b32_e32 v7, 8, v7
	s_movk_i32 s30, 0x80
	v_and_or_b32 v7, v7, s30, v8
	global_store_byte v[0:1], v7, off
.LBB30_709:
	s_mov_b64 s[30:31], 0
.LBB30_710:
	s_andn2_b64 vcc, exec, s[30:31]
	s_cbranch_vccnz .LBB30_720
; %bb.711:
	v_lshlrev_b32_e32 v9, 16, v6
	v_and_b32_e32 v10, 0x7fffffff, v9
	s_mov_b32 s30, 0x47800000
	v_and_b32_e32 v7, 0xffff, v6
	v_cmp_gt_u32_e32 vcc, s30, v10
                                        ; implicit-def: $vgpr8
	s_and_saveexec_b64 s[30:31], vcc
	s_xor_b64 s[30:31], exec, s[30:31]
	s_cbranch_execz .LBB30_717
; %bb.712:
	s_mov_b32 s34, 0x387fffff
	v_cmp_lt_u32_e32 vcc, s34, v10
                                        ; implicit-def: $vgpr8
	s_and_saveexec_b64 s[34:35], vcc
	s_xor_b64 s[34:35], exec, s[34:35]
; %bb.713:
	v_bfe_u32 v8, v7, 5, 1
	s_mov_b32 s36, 0x80fffff
	v_add3_u32 v8, v9, v8, s36
	v_lshrrev_b32_e32 v8, 21, v8
                                        ; implicit-def: $vgpr9
; %bb.714:
	s_andn2_saveexec_b64 s[34:35], s[34:35]
; %bb.715:
	s_mov_b32 s36, 0x43000000
	v_add_f32_e64 v8, |v9|, s36
; %bb.716:
	s_or_b64 exec, exec, s[34:35]
                                        ; implicit-def: $vgpr10
.LBB30_717:
	s_andn2_saveexec_b64 s[30:31], s[30:31]
; %bb.718:
	s_mov_b32 s34, 0x7f800000
	v_mov_b32_e32 v8, 0x7c
	v_mov_b32_e32 v9, 0x7f
	v_cmp_lt_u32_e32 vcc, s34, v10
	v_cndmask_b32_e32 v8, v8, v9, vcc
; %bb.719:
	s_or_b64 exec, exec, s[30:31]
	v_lshrrev_b32_e32 v7, 8, v7
	s_movk_i32 s30, 0x80
	v_and_or_b32 v7, v7, s30, v8
	global_store_byte v[0:1], v7, off
.LBB30_720:
	s_mov_b64 s[34:35], 0
	s_mov_b64 s[30:31], -1
.LBB30_721:
	s_andn2_b64 vcc, exec, s[34:35]
	s_cbranch_vccnz .LBB30_729
; %bb.722:
	v_mov_b32_e32 v7, 14
	v_cmp_gt_i16_sdwa s[36:37], s15, v7 src0_sel:BYTE_0 src1_sel:DWORD
	s_mov_b64 s[34:35], -1
	s_and_b64 vcc, exec, s[36:37]
	s_cbranch_vccz .LBB30_726
; %bb.723:
	v_mov_b32_e32 v7, 15
	v_cmp_eq_u16_sdwa s[34:35], s15, v7 src0_sel:BYTE_0 src1_sel:DWORD
	s_mov_b64 s[0:1], -1
	s_and_b64 vcc, exec, s[34:35]
	s_cbranch_vccz .LBB30_725
; %bb.724:
	global_store_short v[0:1], v6, off
	s_mov_b64 s[30:31], -1
	s_mov_b64 s[0:1], 0
.LBB30_725:
	s_mov_b64 s[34:35], 0
.LBB30_726:
	s_and_b64 vcc, exec, s[34:35]
	s_cbranch_vccz .LBB30_729
; %bb.727:
	v_mov_b32_e32 v7, 11
	v_cmp_eq_u16_sdwa s[34:35], s15, v7 src0_sel:BYTE_0 src1_sel:DWORD
	s_mov_b64 s[0:1], -1
	s_and_b64 vcc, exec, s[34:35]
	s_cbranch_vccz .LBB30_729
; %bb.728:
	s_mov_b64 s[30:31], -1
	s_mov_b64 s[0:1], 0
	global_store_byte v[0:1], v4, off
.LBB30_729:
	s_mov_b64 s[34:35], 0
.LBB30_730:
	s_and_b64 vcc, exec, s[34:35]
	s_cbranch_vccz .LBB30_769
; %bb.731:
	v_mov_b32_e32 v7, 5
	v_cmp_lt_i16_sdwa s[34:35], s15, v7 src0_sel:BYTE_0 src1_sel:DWORD
	s_mov_b64 s[30:31], -1
	s_and_b64 vcc, exec, s[34:35]
	s_cbranch_vccnz .LBB30_752
; %bb.732:
	v_mov_b32_e32 v7, 8
	v_cmp_lt_i16_sdwa s[34:35], s15, v7 src0_sel:BYTE_0 src1_sel:DWORD
	s_and_b64 vcc, exec, s[34:35]
	s_cbranch_vccnz .LBB30_742
; %bb.733:
	v_mov_b32_e32 v7, 9
	v_cmp_lt_i16_sdwa s[34:35], s15, v7 src0_sel:BYTE_0 src1_sel:DWORD
	s_and_b64 vcc, exec, s[34:35]
	s_cbranch_vccnz .LBB30_739
; %bb.734:
	v_cmp_gt_i16_sdwa s[34:35], s15, v7 src0_sel:BYTE_0 src1_sel:DWORD
	s_and_b64 vcc, exec, s[34:35]
	s_cbranch_vccz .LBB30_736
; %bb.735:
	v_lshlrev_b32_e32 v7, 16, v6
	v_mov_b32_e32 v10, 0
	v_cvt_f64_f32_e32 v[8:9], v7
	v_mov_b32_e32 v11, v10
	s_mov_b64 s[30:31], 0
	global_store_dwordx4 v[0:1], v[8:11], off
.LBB30_736:
	s_andn2_b64 vcc, exec, s[30:31]
	s_cbranch_vccnz .LBB30_738
; %bb.737:
	v_lshlrev_b32_e32 v8, 16, v6
	v_mov_b32_e32 v9, 0
	global_store_dwordx2 v[0:1], v[8:9], off
.LBB30_738:
	s_mov_b64 s[30:31], 0
.LBB30_739:
	s_andn2_b64 vcc, exec, s[30:31]
	s_cbranch_vccnz .LBB30_741
; %bb.740:
	v_lshlrev_b32_e32 v7, 16, v6
	v_cvt_f16_f32_e32 v7, v7
	global_store_dword v[0:1], v7, off
.LBB30_741:
	s_mov_b64 s[30:31], 0
.LBB30_742:
	s_andn2_b64 vcc, exec, s[30:31]
	s_cbranch_vccnz .LBB30_751
; %bb.743:
	v_mov_b32_e32 v7, 6
	v_cmp_lt_i16_sdwa s[34:35], s15, v7 src0_sel:BYTE_0 src1_sel:DWORD
	s_mov_b64 s[30:31], -1
	s_and_b64 vcc, exec, s[34:35]
	s_cbranch_vccnz .LBB30_749
; %bb.744:
	v_cmp_gt_i16_sdwa s[34:35], s15, v7 src0_sel:BYTE_0 src1_sel:DWORD
	s_and_b64 vcc, exec, s[34:35]
	s_cbranch_vccz .LBB30_746
; %bb.745:
	v_lshlrev_b32_e32 v7, 16, v6
	v_cvt_f64_f32_e32 v[8:9], v7
	s_mov_b64 s[30:31], 0
	global_store_dwordx2 v[0:1], v[8:9], off
.LBB30_746:
	s_andn2_b64 vcc, exec, s[30:31]
	s_cbranch_vccnz .LBB30_748
; %bb.747:
	v_lshlrev_b32_e32 v7, 16, v6
	global_store_dword v[0:1], v7, off
.LBB30_748:
	s_mov_b64 s[30:31], 0
.LBB30_749:
	s_andn2_b64 vcc, exec, s[30:31]
	s_cbranch_vccnz .LBB30_751
; %bb.750:
	v_lshlrev_b32_e32 v7, 16, v6
	v_cvt_f16_f32_e32 v7, v7
	global_store_short v[0:1], v7, off
.LBB30_751:
	s_mov_b64 s[30:31], 0
.LBB30_752:
	s_andn2_b64 vcc, exec, s[30:31]
	s_cbranch_vccnz .LBB30_768
; %bb.753:
	v_mov_b32_e32 v7, 2
	v_cmp_lt_i16_sdwa s[34:35], s15, v7 src0_sel:BYTE_0 src1_sel:DWORD
	s_mov_b64 s[30:31], -1
	s_and_b64 vcc, exec, s[34:35]
	s_cbranch_vccnz .LBB30_763
; %bb.754:
	v_mov_b32_e32 v7, 3
	v_cmp_lt_i16_sdwa s[34:35], s15, v7 src0_sel:BYTE_0 src1_sel:DWORD
	s_and_b64 vcc, exec, s[34:35]
	s_cbranch_vccnz .LBB30_760
; %bb.755:
	v_cmp_gt_i16_sdwa s[34:35], s15, v7 src0_sel:BYTE_0 src1_sel:DWORD
	s_and_b64 vcc, exec, s[34:35]
	s_cbranch_vccz .LBB30_757
; %bb.756:
	v_lshlrev_b32_e32 v7, 16, v6
	v_trunc_f32_e32 v7, v7
	s_mov_b32 s30, 0x2f800000
	v_mul_f32_e64 v8, |v7|, s30
	v_floor_f32_e32 v8, v8
	s_mov_b32 s30, 0xcf800000
	v_cvt_u32_f32_e32 v9, v8
	v_fma_f32 v8, v8, s30, |v7|
	v_cvt_u32_f32_e32 v8, v8
	v_ashrrev_i32_e32 v7, 31, v7
	v_xor_b32_e32 v9, v9, v7
	s_mov_b64 s[30:31], 0
	v_xor_b32_e32 v8, v8, v7
	v_sub_co_u32_e32 v8, vcc, v8, v7
	v_subb_co_u32_e32 v9, vcc, v9, v7, vcc
	global_store_dwordx2 v[0:1], v[8:9], off
.LBB30_757:
	s_andn2_b64 vcc, exec, s[30:31]
	s_cbranch_vccnz .LBB30_759
; %bb.758:
	v_lshlrev_b32_e32 v7, 16, v6
	v_cvt_i32_f32_e32 v7, v7
	global_store_dword v[0:1], v7, off
.LBB30_759:
	s_mov_b64 s[30:31], 0
.LBB30_760:
	s_andn2_b64 vcc, exec, s[30:31]
	s_cbranch_vccnz .LBB30_762
; %bb.761:
	v_lshlrev_b32_e32 v7, 16, v6
	v_cvt_i32_f32_e32 v7, v7
	global_store_short v[0:1], v7, off
.LBB30_762:
	s_mov_b64 s[30:31], 0
.LBB30_763:
	s_andn2_b64 vcc, exec, s[30:31]
	s_cbranch_vccnz .LBB30_768
; %bb.764:
	v_mov_b32_e32 v7, 0
	v_cmp_gt_i16_sdwa s[34:35], s15, v7 src0_sel:BYTE_0 src1_sel:DWORD
	s_mov_b64 s[30:31], -1
	s_and_b64 vcc, exec, s[34:35]
	v_lshlrev_b32_e32 v6, 16, v6
	s_cbranch_vccz .LBB30_766
; %bb.765:
	v_cvt_i32_f32_e32 v7, v6
	s_mov_b64 s[30:31], 0
	global_store_byte v[0:1], v7, off
.LBB30_766:
	s_andn2_b64 vcc, exec, s[30:31]
	s_cbranch_vccnz .LBB30_768
; %bb.767:
	v_trunc_f32_e32 v6, v6
	s_mov_b32 s30, 0x2f800000
	v_mul_f32_e64 v7, |v6|, s30
	v_floor_f32_e32 v7, v7
	s_mov_b32 s30, 0xcf800000
	v_fma_f32 v7, v7, s30, |v6|
	v_cvt_u32_f32_e32 v7, v7
	v_ashrrev_i32_e32 v6, 31, v6
	v_xor_b32_e32 v7, v7, v6
	v_sub_u32_e32 v6, v7, v6
	global_store_byte v[0:1], v6, off
.LBB30_768:
	s_mov_b64 s[30:31], -1
.LBB30_769:
	s_andn2_b64 vcc, exec, s[30:31]
	s_cbranch_vccnz .LBB30_771
; %bb.770:
	v_add_u32_e32 v2, 0x80, v2
	s_mov_b64 s[34:35], -1
	s_branch .LBB30_773
.LBB30_771:
	s_mov_b64 s[34:35], 0
.LBB30_772:
                                        ; implicit-def: $vgpr2
.LBB30_773:
	s_andn2_b64 s[30:31], s[22:23], exec
	s_and_b64 s[0:1], s[0:1], exec
	s_or_b64 s[30:31], s[30:31], s[0:1]
	s_andn2_b64 s[0:1], s[20:21], exec
	s_and_b64 s[28:29], s[28:29], exec
	s_or_b64 s[0:1], s[0:1], s[28:29]
	s_orn2_b64 s[36:37], s[34:35], exec
.LBB30_774:
	s_or_b64 exec, exec, s[26:27]
	s_mov_b64 s[34:35], 0
	s_mov_b64 s[28:29], 0
	;; [unrolled: 1-line block ×3, first 2 shown]
                                        ; implicit-def: $vgpr0_vgpr1
                                        ; implicit-def: $vgpr7
	s_and_saveexec_b64 s[26:27], s[36:37]
	s_cbranch_execz .LBB30_859
; %bb.775:
	v_cmp_gt_i32_e32 vcc, s33, v2
	s_mov_b64 s[36:37], 0
	s_mov_b64 s[40:41], s[0:1]
	;; [unrolled: 1-line block ×3, first 2 shown]
                                        ; implicit-def: $vgpr0_vgpr1
                                        ; implicit-def: $vgpr7
	s_and_saveexec_b64 s[28:29], vcc
	s_cbranch_execz .LBB30_858
; %bb.776:
	v_mul_lo_u32 v0, v2, s13
	v_ashrrev_i32_e32 v1, 31, v0
	s_waitcnt vmcnt(0)
	v_mov_b32_e32 v6, s11
	v_add_co_u32_e32 v0, vcc, s10, v0
	v_addc_co_u32_e32 v1, vcc, v6, v1, vcc
	v_cmp_gt_i16_e32 vcc, 11, v3
	s_cbranch_vccnz .LBB30_783
; %bb.777:
	v_cmp_lt_i16_e32 vcc, 25, v3
	s_cbranch_vccz .LBB30_784
; %bb.778:
	v_cmp_lt_i16_e32 vcc, 28, v3
	s_cbranch_vccz .LBB30_785
	;; [unrolled: 3-line block ×4, first 2 shown]
; %bb.781:
	v_cmp_eq_u16_e32 vcc, 46, v3
	s_mov_b64 s[40:41], 0
	s_cbranch_vccz .LBB30_792
; %bb.782:
	global_load_dword v7, v[0:1], off
	s_mov_b64 s[38:39], -1
	s_branch .LBB30_794
.LBB30_783:
	s_mov_b64 s[40:41], -1
                                        ; implicit-def: $vgpr7
	s_mov_b64 s[34:35], s[0:1]
	s_branch .LBB30_857
.LBB30_784:
	s_mov_b64 s[40:41], -1
	s_mov_b64 s[34:35], s[0:1]
                                        ; implicit-def: $vgpr7
	s_branch .LBB30_823
.LBB30_785:
	s_mov_b64 s[40:41], -1
	s_mov_b64 s[34:35], s[0:1]
                                        ; implicit-def: $vgpr7
	s_branch .LBB30_804
.LBB30_786:
	s_mov_b64 s[40:41], -1
	s_mov_b64 s[34:35], s[0:1]
                                        ; implicit-def: $vgpr7
	s_branch .LBB30_799
.LBB30_787:
	s_or_saveexec_b64 s[36:37], s[36:37]
                                        ; implicit-def: $sgpr38
	s_xor_b64 exec, exec, s[36:37]
	s_cbranch_execz .LBB30_682
.LBB30_788:
	s_mov_b32 s38, 0x46000000
	v_add_f32_e64 v8, |v9|, s38
	v_and_b32_e32 v8, 0xff, v8
	v_cmp_ne_u32_e32 vcc, 0, v8
	s_andn2_b64 s[34:35], s[34:35], exec
	s_and_b64 s[40:41], vcc, exec
	s_mov_b32 s38, 0
	s_or_b64 s[34:35], s[34:35], s[40:41]
	s_or_b64 exec, exec, s[36:37]
	v_mov_b32_e32 v10, s38
	s_and_saveexec_b64 s[36:37], s[34:35]
	s_cbranch_execnz .LBB30_683
	s_branch .LBB30_684
.LBB30_789:
	s_mov_b64 s[40:41], -1
	s_mov_b64 s[34:35], s[0:1]
	s_branch .LBB30_793
.LBB30_790:
	s_or_saveexec_b64 s[36:37], s[36:37]
                                        ; implicit-def: $sgpr38
	s_xor_b64 exec, exec, s[36:37]
	s_cbranch_execz .LBB30_695
.LBB30_791:
	s_mov_b32 s38, 0x42800000
	v_add_f32_e64 v8, |v9|, s38
	v_and_b32_e32 v8, 0xff, v8
	v_cmp_ne_u32_e32 vcc, 0, v8
	s_andn2_b64 s[34:35], s[34:35], exec
	s_and_b64 s[40:41], vcc, exec
	s_mov_b32 s38, 0
	s_or_b64 s[34:35], s[34:35], s[40:41]
	s_or_b64 exec, exec, s[36:37]
	v_mov_b32_e32 v10, s38
	s_and_saveexec_b64 s[36:37], s[34:35]
	s_cbranch_execnz .LBB30_696
	s_branch .LBB30_697
.LBB30_792:
	s_mov_b64 s[34:35], -1
.LBB30_793:
                                        ; implicit-def: $vgpr7
.LBB30_794:
	s_and_b64 vcc, exec, s[40:41]
	s_cbranch_vccz .LBB30_798
; %bb.795:
	v_cmp_eq_u16_e32 vcc, 44, v3
	s_cbranch_vccz .LBB30_797
; %bb.796:
	global_load_ubyte v6, v[0:1], off
	s_movk_i32 s33, 0xff
	s_waitcnt vmcnt(1)
	v_mov_b32_e32 v7, 0x7f800001
	v_mov_b32_e32 v8, 0x400000
	;; [unrolled: 1-line block ×3, first 2 shown]
	s_mov_b64 s[34:35], 0
	s_mov_b64 s[38:39], -1
	s_waitcnt vmcnt(0)
	v_lshlrev_b32_e32 v10, 23, v6
	v_cmp_ne_u32_e32 vcc, s33, v6
	v_cndmask_b32_e32 v7, v7, v10, vcc
	v_cmp_ne_u32_e32 vcc, 0, v6
	v_cndmask_b32_e32 v6, v8, v7, vcc
	v_add_u32_e32 v7, 0x7fff, v6
	v_lshrrev_b32_e32 v7, 16, v7
	v_cmp_o_f32_e32 vcc, v6, v6
	v_cndmask_b32_e32 v7, v9, v7, vcc
	s_branch .LBB30_798
.LBB30_797:
	s_mov_b64 s[34:35], -1
                                        ; implicit-def: $vgpr7
.LBB30_798:
	s_mov_b64 s[40:41], 0
.LBB30_799:
	s_and_b64 vcc, exec, s[40:41]
	s_cbranch_vccz .LBB30_803
; %bb.800:
	v_cmp_eq_u16_e32 vcc, 29, v3
	s_cbranch_vccz .LBB30_802
; %bb.801:
	global_load_dwordx2 v[6:7], v[0:1], off
	s_movk_i32 s33, 0x7fff
	s_mov_b64 s[34:35], 0
	s_mov_b64 s[38:39], -1
	s_mov_b64 s[40:41], 0
	s_waitcnt vmcnt(0)
	v_ffbh_u32_e32 v8, v7
	v_min_u32_e32 v8, 32, v8
	v_lshlrev_b64 v[6:7], v8, v[6:7]
	v_min_u32_e32 v6, 1, v6
	v_or_b32_e32 v6, v7, v6
	v_cvt_f32_u32_e32 v6, v6
	v_sub_u32_e32 v7, 32, v8
	v_ldexp_f32 v6, v6, v7
	v_bfe_u32 v7, v6, 16, 1
	v_add3_u32 v6, v6, v7, s33
	v_lshrrev_b32_e32 v7, 16, v6
	s_branch .LBB30_804
.LBB30_802:
	s_mov_b64 s[34:35], -1
                                        ; implicit-def: $vgpr7
.LBB30_803:
	s_mov_b64 s[40:41], 0
.LBB30_804:
	s_and_b64 vcc, exec, s[40:41]
	s_cbranch_vccz .LBB30_822
; %bb.805:
	v_cmp_gt_i16_e32 vcc, 27, v3
	s_cbranch_vccnz .LBB30_808
; %bb.806:
	v_cmp_lt_i16_e32 vcc, 27, v3
	s_cbranch_vccz .LBB30_809
; %bb.807:
	global_load_dword v6, v[0:1], off
	s_movk_i32 s33, 0x7fff
	s_mov_b64 s[38:39], 0
	s_waitcnt vmcnt(0)
	v_cvt_f32_u32_e32 v6, v6
	v_bfe_u32 v7, v6, 16, 1
	v_add3_u32 v6, v6, v7, s33
	v_lshrrev_b32_e32 v7, 16, v6
	s_branch .LBB30_810
.LBB30_808:
	s_mov_b64 s[38:39], -1
                                        ; implicit-def: $vgpr7
	s_branch .LBB30_813
.LBB30_809:
	s_mov_b64 s[38:39], -1
                                        ; implicit-def: $vgpr7
.LBB30_810:
	s_andn2_b64 vcc, exec, s[38:39]
	s_cbranch_vccnz .LBB30_812
; %bb.811:
	global_load_ushort v6, v[0:1], off
	s_movk_i32 s33, 0x7fff
	s_waitcnt vmcnt(0)
	v_cvt_f32_u32_e32 v6, v6
	v_bfe_u32 v7, v6, 16, 1
	v_add3_u32 v6, v6, v7, s33
	v_lshrrev_b32_e32 v7, 16, v6
.LBB30_812:
	s_mov_b64 s[38:39], 0
.LBB30_813:
	s_andn2_b64 vcc, exec, s[38:39]
	s_cbranch_vccnz .LBB30_821
; %bb.814:
	global_load_ubyte v6, v[0:1], off
	s_movk_i32 s33, 0x7f
	s_mov_b64 s[38:39], 0
	s_waitcnt vmcnt(0)
	v_cmp_lt_i16_e32 vcc, s33, v6
                                        ; implicit-def: $sgpr33
	s_and_saveexec_b64 s[40:41], vcc
	s_xor_b64 s[40:41], exec, s[40:41]
	s_cbranch_execz .LBB30_835
; %bb.815:
	s_movk_i32 s33, 0x80
	v_cmp_eq_u16_e32 vcc, s33, v6
	s_mov_b64 s[38:39], -1
                                        ; implicit-def: $sgpr33
	s_and_saveexec_b64 s[42:43], vcc
; %bb.816:
	s_mov_b32 s33, 0x7f800001
	s_xor_b64 s[38:39], exec, -1
; %bb.817:
	s_or_b64 exec, exec, s[42:43]
	s_and_b64 s[38:39], s[38:39], exec
	s_or_saveexec_b64 s[40:41], s[40:41]
	v_mov_b32_e32 v7, s33
	s_xor_b64 exec, exec, s[40:41]
	s_cbranch_execnz .LBB30_836
.LBB30_818:
	s_or_b64 exec, exec, s[40:41]
	s_and_saveexec_b64 s[40:41], s[38:39]
	s_cbranch_execz .LBB30_820
.LBB30_819:
	v_lshlrev_b32_e32 v7, 24, v6
	v_and_b32_e32 v6, 0xffff, v6
	v_and_b32_e32 v8, 7, v6
	v_ffbh_u32_e32 v10, v8
	v_min_u32_e32 v10, 32, v10
	v_subrev_u32_e32 v11, 28, v10
	v_bfe_u32 v9, v6, 3, 4
	v_lshlrev_b32_e32 v6, v11, v6
	v_sub_u32_e32 v10, 29, v10
	v_and_b32_e32 v6, 7, v6
	v_cmp_eq_u32_e32 vcc, 0, v9
	v_cndmask_b32_e32 v9, v9, v10, vcc
	v_cndmask_b32_e32 v6, v8, v6, vcc
	v_mov_b32_e32 v8, 0x3b800000
	v_lshlrev_b32_e32 v6, 20, v6
	v_and_b32_e32 v7, 0x80000000, v7
	v_lshl_add_u32 v8, v9, 23, v8
	v_or3_b32 v7, v7, v8, v6
.LBB30_820:
	s_or_b64 exec, exec, s[40:41]
	v_bfe_u32 v6, v7, 16, 1
	s_movk_i32 s33, 0x7fff
	v_add3_u32 v6, v7, v6, s33
	v_lshrrev_b32_e32 v6, 16, v6
	v_mov_b32_e32 v8, 0x7fc0
	v_cmp_o_f32_e32 vcc, v7, v7
	v_cndmask_b32_e32 v7, v8, v6, vcc
.LBB30_821:
	s_mov_b64 s[38:39], -1
.LBB30_822:
	s_mov_b64 s[40:41], 0
.LBB30_823:
	s_and_b64 vcc, exec, s[40:41]
	s_cbranch_vccz .LBB30_856
; %bb.824:
	v_cmp_lt_i16_e32 vcc, 22, v3
	s_cbranch_vccz .LBB30_834
; %bb.825:
	v_cmp_gt_i16_e32 vcc, 24, v3
	s_cbranch_vccnz .LBB30_837
; %bb.826:
	v_cmp_lt_i16_e32 vcc, 24, v3
	s_cbranch_vccz .LBB30_838
; %bb.827:
	global_load_ubyte v6, v[0:1], off
	s_movk_i32 s33, 0x7f
	s_waitcnt vmcnt(0)
	v_cmp_lt_i16_e32 vcc, s33, v6
                                        ; implicit-def: $sgpr33
	s_and_saveexec_b64 s[38:39], vcc
	s_xor_b64 s[38:39], exec, s[38:39]
	s_cbranch_execz .LBB30_850
; %bb.828:
	s_movk_i32 s33, 0x80
	v_cmp_eq_u16_e32 vcc, s33, v6
	s_mov_b64 s[36:37], -1
                                        ; implicit-def: $sgpr33
	s_and_saveexec_b64 s[40:41], vcc
; %bb.829:
	s_mov_b32 s33, 0x7f800001
	s_xor_b64 s[36:37], exec, -1
; %bb.830:
	s_or_b64 exec, exec, s[40:41]
	s_and_b64 s[36:37], s[36:37], exec
	s_or_saveexec_b64 s[38:39], s[38:39]
	v_mov_b32_e32 v7, s33
	s_xor_b64 exec, exec, s[38:39]
	s_cbranch_execnz .LBB30_851
.LBB30_831:
	s_or_b64 exec, exec, s[38:39]
	s_and_saveexec_b64 s[38:39], s[36:37]
	s_cbranch_execz .LBB30_833
.LBB30_832:
	v_lshlrev_b32_e32 v7, 24, v6
	v_and_b32_e32 v6, 0xffff, v6
	v_and_b32_e32 v8, 3, v6
	v_ffbh_u32_e32 v10, v8
	v_min_u32_e32 v10, 32, v10
	v_subrev_u32_e32 v11, 29, v10
	v_bfe_u32 v9, v6, 2, 5
	v_lshlrev_b32_e32 v6, v11, v6
	v_sub_u32_e32 v10, 30, v10
	v_and_b32_e32 v6, 3, v6
	v_cmp_eq_u32_e32 vcc, 0, v9
	v_cndmask_b32_e32 v9, v9, v10, vcc
	v_cndmask_b32_e32 v6, v8, v6, vcc
	v_mov_b32_e32 v8, 0x37800000
	v_lshlrev_b32_e32 v6, 21, v6
	v_and_b32_e32 v7, 0x80000000, v7
	v_lshl_add_u32 v8, v9, 23, v8
	v_or3_b32 v7, v7, v8, v6
.LBB30_833:
	s_or_b64 exec, exec, s[38:39]
	v_bfe_u32 v6, v7, 16, 1
	s_movk_i32 s33, 0x7fff
	v_add3_u32 v6, v7, v6, s33
	v_lshrrev_b32_e32 v6, 16, v6
	v_mov_b32_e32 v8, 0x7fc0
	v_cmp_o_f32_e32 vcc, v7, v7
	v_cndmask_b32_e32 v7, v8, v6, vcc
	s_mov_b64 s[36:37], 0
	s_branch .LBB30_839
.LBB30_834:
	s_mov_b64 s[36:37], -1
                                        ; implicit-def: $vgpr7
	s_branch .LBB30_845
.LBB30_835:
	s_or_saveexec_b64 s[40:41], s[40:41]
	v_mov_b32_e32 v7, s33
	s_xor_b64 exec, exec, s[40:41]
	s_cbranch_execz .LBB30_818
.LBB30_836:
	v_cmp_ne_u16_e32 vcc, 0, v6
	s_andn2_b64 s[38:39], s[38:39], exec
	s_and_b64 s[42:43], vcc, exec
	v_mov_b32_e32 v7, 0
	s_or_b64 s[38:39], s[38:39], s[42:43]
	s_or_b64 exec, exec, s[40:41]
	s_and_saveexec_b64 s[40:41], s[38:39]
	s_cbranch_execnz .LBB30_819
	s_branch .LBB30_820
.LBB30_837:
	s_mov_b64 s[36:37], -1
                                        ; implicit-def: $vgpr7
	s_branch .LBB30_842
.LBB30_838:
	s_mov_b64 s[36:37], -1
                                        ; implicit-def: $vgpr7
.LBB30_839:
	s_and_b64 vcc, exec, s[36:37]
	s_cbranch_vccz .LBB30_841
; %bb.840:
	global_load_ubyte v6, v[0:1], off
	s_mov_b32 s33, 0x7f800000
	s_brev_b32 s36, 1
	s_movk_i32 s37, 0x7fff
	s_waitcnt vmcnt(1)
	v_mov_b32_e32 v7, 0x7fc0
	s_waitcnt vmcnt(0)
	v_lshlrev_b32_e32 v6, 24, v6
	v_and_b32_e32 v8, 0x7f000000, v6
	v_ffbh_u32_e32 v9, v8
	v_min_u32_e32 v9, 32, v9
	v_sub_u32_e64 v9, v9, 4 clamp
	v_lshlrev_b32_e32 v11, v9, v8
	v_lshlrev_b32_e32 v9, 23, v9
	v_lshrrev_b32_e32 v11, 4, v11
	v_add_u32_e32 v10, 0x1000000, v8
	v_sub_u32_e32 v9, v11, v9
	v_ashrrev_i32_e32 v10, 8, v10
	v_add_u32_e32 v9, 0x3c000000, v9
	v_and_or_b32 v9, v10, s33, v9
	v_cmp_ne_u32_e32 vcc, 0, v8
	v_cndmask_b32_e32 v8, 0, v9, vcc
	v_and_or_b32 v6, v6, s36, v8
	v_bfe_u32 v8, v8, 16, 1
	v_add3_u32 v8, v6, v8, s37
	v_lshrrev_b32_e32 v8, 16, v8
	v_cmp_o_f32_e32 vcc, v6, v6
	v_cndmask_b32_e32 v7, v7, v8, vcc
.LBB30_841:
	s_mov_b64 s[36:37], 0
.LBB30_842:
	s_andn2_b64 vcc, exec, s[36:37]
	s_cbranch_vccnz .LBB30_844
; %bb.843:
	global_load_ubyte v6, v[0:1], off
	s_movk_i32 s33, 0x7f00
	s_brev_b32 s36, 16
	s_brev_b32 s37, 1
	s_movk_i32 s38, 0x7fff
	s_waitcnt vmcnt(1)
	v_mov_b32_e32 v7, 0x7fc0
	s_waitcnt vmcnt(0)
	v_lshlrev_b16_e32 v8, 8, v6
	v_lshlrev_b32_e32 v6, 25, v6
	v_lshrrev_b32_e32 v9, 4, v6
	v_and_or_b32 v10, v8, s33, 0.5
	v_or_b32_e32 v9, 0x70000000, v9
	v_add_f32_e32 v10, -0.5, v10
	v_mul_f32_e32 v9, 0x7800000, v9
	v_cmp_gt_u32_e32 vcc, s36, v6
	v_bfe_i32 v8, v8, 0, 16
	v_cndmask_b32_e32 v6, v9, v10, vcc
	v_and_or_b32 v8, v8, s37, v6
	v_bfe_u32 v6, v6, 16, 1
	v_add3_u32 v6, v8, v6, s38
	v_lshrrev_b32_e32 v6, 16, v6
	v_cmp_o_f32_e32 vcc, v8, v8
	v_cndmask_b32_e32 v7, v7, v6, vcc
.LBB30_844:
	s_mov_b64 s[36:37], 0
	s_mov_b64 s[38:39], -1
.LBB30_845:
	s_andn2_b64 vcc, exec, s[36:37]
	s_mov_b64 s[36:37], 0
	s_cbranch_vccnz .LBB30_856
; %bb.846:
	v_cmp_lt_i16_e32 vcc, 14, v3
	s_cbranch_vccz .LBB30_849
; %bb.847:
	v_cmp_eq_u16_e32 vcc, 15, v3
	s_cbranch_vccz .LBB30_852
; %bb.848:
	global_load_ushort v7, v[0:1], off
	s_mov_b64 s[34:35], 0
	s_mov_b64 s[38:39], -1
	s_branch .LBB30_853
.LBB30_849:
	s_mov_b64 s[40:41], -1
                                        ; implicit-def: $vgpr7
	s_branch .LBB30_854
.LBB30_850:
	s_or_saveexec_b64 s[38:39], s[38:39]
	v_mov_b32_e32 v7, s33
	s_xor_b64 exec, exec, s[38:39]
	s_cbranch_execz .LBB30_831
.LBB30_851:
	v_cmp_ne_u16_e32 vcc, 0, v6
	s_andn2_b64 s[36:37], s[36:37], exec
	s_and_b64 s[40:41], vcc, exec
	v_mov_b32_e32 v7, 0
	s_or_b64 s[36:37], s[36:37], s[40:41]
	s_or_b64 exec, exec, s[38:39]
	s_and_saveexec_b64 s[38:39], s[36:37]
	s_cbranch_execnz .LBB30_832
	s_branch .LBB30_833
.LBB30_852:
	s_mov_b64 s[34:35], -1
                                        ; implicit-def: $vgpr7
.LBB30_853:
	s_mov_b64 s[40:41], 0
.LBB30_854:
	s_and_b64 vcc, exec, s[40:41]
	s_cbranch_vccz .LBB30_856
; %bb.855:
	v_cmp_ne_u16_e32 vcc, 11, v3
	s_andn2_b64 s[34:35], s[34:35], exec
	s_and_b64 s[40:41], vcc, exec
	s_mov_b64 s[36:37], -1
	s_or_b64 s[34:35], s[34:35], s[40:41]
                                        ; implicit-def: $vgpr7
.LBB30_856:
	s_mov_b64 s[40:41], 0
.LBB30_857:
	s_and_b64 s[42:43], s[40:41], exec
	s_andn2_b64 s[40:41], s[0:1], exec
	s_and_b64 s[34:35], s[34:35], exec
	s_and_b64 s[38:39], s[38:39], exec
	;; [unrolled: 1-line block ×3, first 2 shown]
	s_or_b64 s[40:41], s[40:41], s[34:35]
.LBB30_858:
	s_or_b64 exec, exec, s[28:29]
	s_and_b64 s[34:35], s[36:37], exec
	s_andn2_b64 s[0:1], s[0:1], exec
	s_and_b64 s[36:37], s[40:41], exec
	s_and_b64 s[38:39], s[38:39], exec
	;; [unrolled: 1-line block ×3, first 2 shown]
	s_or_b64 s[0:1], s[0:1], s[36:37]
.LBB30_859:
	s_or_b64 exec, exec, s[26:27]
	s_andn2_b64 s[22:23], s[22:23], exec
	s_and_b64 s[26:27], s[30:31], exec
	s_andn2_b64 s[20:21], s[20:21], exec
	s_and_b64 s[0:1], s[0:1], exec
	s_or_b64 s[22:23], s[22:23], s[26:27]
	s_and_b64 s[30:31], s[38:39], exec
	s_and_b64 s[28:29], s[28:29], exec
	;; [unrolled: 1-line block ×3, first 2 shown]
	s_or_b64 s[20:21], s[20:21], s[0:1]
.LBB30_860:
	s_or_b64 exec, exec, s[24:25]
	s_andn2_b64 s[0:1], s[6:7], exec
	s_and_b64 s[6:7], s[22:23], exec
	s_andn2_b64 s[16:17], s[16:17], exec
	s_and_b64 s[20:21], s[20:21], exec
	s_or_b64 s[6:7], s[0:1], s[6:7]
	s_and_b64 s[0:1], s[30:31], exec
	s_and_b64 s[24:25], s[28:29], exec
	;; [unrolled: 1-line block ×3, first 2 shown]
	s_or_b64 s[16:17], s[16:17], s[20:21]
	s_or_b64 exec, exec, s[18:19]
	s_mov_b64 s[18:19], 0
	s_and_saveexec_b64 s[20:21], s[16:17]
	s_cbranch_execz .LBB30_262
.LBB30_861:
	s_mov_b64 s[18:19], exec
	s_andn2_b64 s[22:23], s[22:23], exec
	s_trap 2
                                        ; implicit-def: $vgpr7
	s_or_b64 exec, exec, s[20:21]
	s_and_saveexec_b64 s[16:17], s[22:23]
	s_xor_b64 s[16:17], exec, s[16:17]
	s_cbranch_execnz .LBB30_263
.LBB30_862:
	s_or_b64 exec, exec, s[16:17]
	s_and_saveexec_b64 s[16:17], s[24:25]
	s_cbranch_execz .LBB30_908
.LBB30_863:
	v_cmp_gt_i16_e32 vcc, 5, v3
	s_cbranch_vccnz .LBB30_868
; %bb.864:
	v_cmp_gt_i16_e32 vcc, 8, v3
	s_cbranch_vccnz .LBB30_869
; %bb.865:
	;; [unrolled: 3-line block ×3, first 2 shown]
	v_cmp_lt_i16_e32 vcc, 9, v3
	s_cbranch_vccz .LBB30_871
; %bb.867:
	global_load_dwordx2 v[6:7], v[0:1], off
	s_movk_i32 s20, 0x7fff
	v_mov_b32_e32 v8, 0x7fc0
	s_waitcnt vmcnt(0)
	v_cvt_f32_f64_e32 v6, v[6:7]
	v_bfe_u32 v7, v6, 16, 1
	v_add3_u32 v7, v6, v7, s20
	v_lshrrev_b32_e32 v7, 16, v7
	v_cmp_o_f32_e32 vcc, v6, v6
	v_cndmask_b32_e32 v7, v8, v7, vcc
	s_mov_b64 s[20:21], 0
	s_branch .LBB30_872
.LBB30_868:
                                        ; implicit-def: $vgpr7
	s_branch .LBB30_889
.LBB30_869:
                                        ; implicit-def: $vgpr7
	s_branch .LBB30_878
.LBB30_870:
	s_mov_b64 s[20:21], -1
                                        ; implicit-def: $vgpr7
	s_branch .LBB30_875
.LBB30_871:
	s_mov_b64 s[20:21], -1
                                        ; implicit-def: $vgpr7
.LBB30_872:
	s_andn2_b64 vcc, exec, s[20:21]
	s_cbranch_vccnz .LBB30_874
; %bb.873:
	global_load_dword v6, v[0:1], off
	s_movk_i32 s20, 0x7fff
	s_waitcnt vmcnt(1)
	v_mov_b32_e32 v7, 0x7fc0
	s_waitcnt vmcnt(0)
	v_bfe_u32 v8, v6, 16, 1
	v_add3_u32 v8, v6, v8, s20
	v_lshrrev_b32_e32 v8, 16, v8
	v_cmp_o_f32_e32 vcc, v6, v6
	v_cndmask_b32_e32 v7, v7, v8, vcc
.LBB30_874:
	s_mov_b64 s[20:21], 0
.LBB30_875:
	s_andn2_b64 vcc, exec, s[20:21]
	s_cbranch_vccnz .LBB30_877
; %bb.876:
	global_load_dword v6, v[0:1], off
	s_movk_i32 s20, 0x7fff
	v_mov_b32_e32 v8, 0x7fc0
	s_waitcnt vmcnt(0)
	v_cvt_f32_f16_e32 v7, v6
	v_cmp_o_f16_e32 vcc, v6, v6
	v_bfe_u32 v9, v7, 16, 1
	v_add3_u32 v7, v7, v9, s20
	v_lshrrev_b32_e32 v7, 16, v7
	v_cndmask_b32_e32 v7, v8, v7, vcc
.LBB30_877:
	s_cbranch_execnz .LBB30_888
.LBB30_878:
	v_cmp_gt_i16_e32 vcc, 6, v3
	s_cbranch_vccnz .LBB30_881
; %bb.879:
	v_cmp_lt_i16_e32 vcc, 6, v3
	s_cbranch_vccz .LBB30_882
; %bb.880:
	global_load_dwordx2 v[6:7], v[0:1], off
	s_movk_i32 s20, 0x7fff
	v_mov_b32_e32 v8, 0x7fc0
	s_waitcnt vmcnt(0)
	v_cvt_f32_f64_e32 v6, v[6:7]
	v_bfe_u32 v7, v6, 16, 1
	v_add3_u32 v7, v6, v7, s20
	v_lshrrev_b32_e32 v7, 16, v7
	v_cmp_o_f32_e32 vcc, v6, v6
	v_cndmask_b32_e32 v7, v8, v7, vcc
	s_mov_b64 s[20:21], 0
	s_branch .LBB30_883
.LBB30_881:
	s_mov_b64 s[20:21], -1
                                        ; implicit-def: $vgpr7
	s_branch .LBB30_886
.LBB30_882:
	s_mov_b64 s[20:21], -1
                                        ; implicit-def: $vgpr7
.LBB30_883:
	s_andn2_b64 vcc, exec, s[20:21]
	s_cbranch_vccnz .LBB30_885
; %bb.884:
	global_load_dword v6, v[0:1], off
	s_movk_i32 s20, 0x7fff
	s_waitcnt vmcnt(1)
	v_mov_b32_e32 v7, 0x7fc0
	s_waitcnt vmcnt(0)
	v_bfe_u32 v8, v6, 16, 1
	v_add3_u32 v8, v6, v8, s20
	v_lshrrev_b32_e32 v8, 16, v8
	v_cmp_o_f32_e32 vcc, v6, v6
	v_cndmask_b32_e32 v7, v7, v8, vcc
.LBB30_885:
	s_mov_b64 s[20:21], 0
.LBB30_886:
	s_andn2_b64 vcc, exec, s[20:21]
	s_cbranch_vccnz .LBB30_888
; %bb.887:
	global_load_ushort v6, v[0:1], off
	s_movk_i32 s20, 0x7fff
	v_mov_b32_e32 v8, 0x7fc0
	s_waitcnt vmcnt(0)
	v_cvt_f32_f16_e32 v7, v6
	v_cmp_o_f16_e32 vcc, v6, v6
	v_bfe_u32 v9, v7, 16, 1
	v_add3_u32 v7, v7, v9, s20
	v_lshrrev_b32_e32 v7, 16, v7
	v_cndmask_b32_e32 v7, v8, v7, vcc
.LBB30_888:
	s_cbranch_execnz .LBB30_907
.LBB30_889:
	v_cmp_gt_i16_e32 vcc, 2, v3
	s_cbranch_vccnz .LBB30_893
; %bb.890:
	v_cmp_gt_i16_e32 vcc, 3, v3
	s_cbranch_vccnz .LBB30_894
; %bb.891:
	v_cmp_lt_i16_e32 vcc, 3, v3
	s_cbranch_vccz .LBB30_895
; %bb.892:
	global_load_dwordx2 v[6:7], v[0:1], off
	s_movk_i32 s20, 0x7fff
	s_waitcnt vmcnt(0)
	v_xor_b32_e32 v9, v6, v7
	v_ffbh_i32_e32 v8, v7
	v_ashrrev_i32_e32 v9, 31, v9
	v_add_u32_e32 v8, -1, v8
	v_add_u32_e32 v9, 32, v9
	v_min_u32_e32 v8, v8, v9
	v_lshlrev_b64 v[6:7], v8, v[6:7]
	v_min_u32_e32 v6, 1, v6
	v_or_b32_e32 v6, v7, v6
	v_cvt_f32_i32_e32 v6, v6
	v_sub_u32_e32 v7, 32, v8
	v_ldexp_f32 v6, v6, v7
	v_bfe_u32 v7, v6, 16, 1
	v_add3_u32 v6, v6, v7, s20
	v_lshrrev_b32_e32 v7, 16, v6
	s_mov_b64 s[20:21], 0
	s_branch .LBB30_896
.LBB30_893:
                                        ; implicit-def: $vgpr7
	s_branch .LBB30_902
.LBB30_894:
	s_mov_b64 s[20:21], -1
                                        ; implicit-def: $vgpr7
	s_branch .LBB30_899
.LBB30_895:
	s_mov_b64 s[20:21], -1
                                        ; implicit-def: $vgpr7
.LBB30_896:
	s_andn2_b64 vcc, exec, s[20:21]
	s_cbranch_vccnz .LBB30_898
; %bb.897:
	global_load_dword v6, v[0:1], off
	s_movk_i32 s20, 0x7fff
	s_waitcnt vmcnt(0)
	v_cvt_f32_i32_e32 v6, v6
	v_bfe_u32 v7, v6, 16, 1
	v_add3_u32 v6, v6, v7, s20
	v_lshrrev_b32_e32 v7, 16, v6
.LBB30_898:
	s_mov_b64 s[20:21], 0
.LBB30_899:
	s_andn2_b64 vcc, exec, s[20:21]
	s_cbranch_vccnz .LBB30_901
; %bb.900:
	global_load_sshort v6, v[0:1], off
	s_movk_i32 s20, 0x7fff
	s_waitcnt vmcnt(0)
	v_cvt_f32_i32_e32 v6, v6
	v_bfe_u32 v7, v6, 16, 1
	v_add3_u32 v6, v6, v7, s20
	v_lshrrev_b32_e32 v7, 16, v6
.LBB30_901:
	s_cbranch_execnz .LBB30_907
.LBB30_902:
	v_cmp_lt_i16_e32 vcc, 0, v3
	s_cbranch_vccz .LBB30_904
; %bb.903:
	global_load_sbyte v3, v[0:1], off
	s_movk_i32 s20, 0x7fff
	s_waitcnt vmcnt(0)
	v_cvt_f32_i32_e32 v3, v3
	v_bfe_u32 v6, v3, 16, 1
	v_add3_u32 v3, v3, v6, s20
	v_lshrrev_b32_e32 v7, 16, v3
	s_mov_b64 s[20:21], 0
	s_branch .LBB30_905
.LBB30_904:
	s_mov_b64 s[20:21], -1
                                        ; implicit-def: $vgpr7
.LBB30_905:
	s_andn2_b64 vcc, exec, s[20:21]
	s_cbranch_vccnz .LBB30_907
; %bb.906:
	global_load_ubyte v0, v[0:1], off
	s_movk_i32 s20, 0x7fff
	s_waitcnt vmcnt(0)
	v_cvt_f32_ubyte0_e32 v0, v0
	v_bfe_u32 v1, v0, 16, 1
	v_add3_u32 v0, v0, v1, s20
	v_lshrrev_b32_e32 v7, 16, v0
.LBB30_907:
	s_or_b64 s[0:1], s[0:1], exec
.LBB30_908:
	s_or_b64 exec, exec, s[16:17]
	s_mov_b64 s[22:23], 0
	s_mov_b64 s[20:21], 0
                                        ; implicit-def: $vgpr6
                                        ; implicit-def: $vgpr0_vgpr1
                                        ; implicit-def: $vgpr3
	s_and_saveexec_b64 s[16:17], s[0:1]
	s_cbranch_execz .LBB30_926
; %bb.909:
	s_waitcnt vmcnt(0)
	v_and_b32_e32 v0, 0xffff8000, v7
	v_or_b32_e32 v3, v0, v5
	v_mul_lo_u32 v0, v2, s12
	v_ashrrev_i32_e32 v1, 31, v0
	v_mov_b32_e32 v2, s9
	v_add_co_u32_e32 v0, vcc, s8, v0
	v_addc_co_u32_e32 v1, vcc, v2, v1, vcc
	v_mov_b32_e32 v2, 0xff
	v_and_b32_e32 v6, s15, v2
	v_cmp_gt_i16_e32 vcc, 11, v6
	s_cbranch_vccnz .LBB30_929
; %bb.910:
	v_cmp_lt_i16_e32 vcc, 25, v6
	s_mov_b64 s[22:23], -1
	s_mov_b64 s[0:1], s[6:7]
	s_cbranch_vccz .LBB30_947
; %bb.911:
	v_cmp_lt_i16_e32 vcc, 28, v6
	s_mov_b64 s[20:21], -1
	s_mov_b64 s[0:1], s[6:7]
	s_cbranch_vccz .LBB30_931
; %bb.912:
	v_cmp_lt_i16_e32 vcc, 43, v6
	s_mov_b64 s[0:1], s[6:7]
	s_cbranch_vccz .LBB30_923
; %bb.913:
	v_cmp_lt_i16_e32 vcc, 45, v6
	s_mov_b64 s[0:1], s[6:7]
	s_cbranch_vccz .LBB30_917
; %bb.914:
	v_cmp_eq_u16_e32 vcc, 46, v6
	s_mov_b64 s[0:1], -1
	s_cbranch_vccz .LBB30_916
; %bb.915:
	v_and_b32_e32 v2, 0xffff, v3
	global_store_dword v[0:1], v2, off
	s_mov_b64 s[0:1], 0
.LBB30_916:
	s_mov_b64 s[20:21], 0
.LBB30_917:
	s_and_b64 vcc, exec, s[20:21]
	s_cbranch_vccz .LBB30_922
; %bb.918:
	v_cmp_eq_u16_e32 vcc, 44, v6
	s_mov_b64 s[0:1], -1
	s_cbranch_vccz .LBB30_922
; %bb.919:
	v_and_b32_e32 v5, 0xffff, v3
	v_bfe_u32 v2, v5, 7, 8
	s_movk_i32 s0, 0xff
	v_cmp_ne_u32_e32 vcc, s0, v2
	v_mov_b32_e32 v7, 0xff
	s_and_saveexec_b64 s[20:21], vcc
; %bb.920:
	v_lshlrev_b32_e32 v8, 16, v5
	s_mov_b32 s0, 0x3f0000
	v_lshrrev_b32_e32 v7, 7, v5
	v_and_b32_e32 v5, 64, v5
	v_and_or_b32 v2, v8, s0, v2
	v_cmp_ne_u32_e32 vcc, 0, v5
	v_cmp_ne_u32_e64 s[0:1], 0, v2
	s_and_b64 s[0:1], vcc, s[0:1]
	v_cndmask_b32_e64 v2, 0, 1, s[0:1]
	v_add_u32_e32 v7, v7, v2
; %bb.921:
	s_or_b64 exec, exec, s[20:21]
	s_mov_b64 s[0:1], 0
	global_store_byte v[0:1], v7, off
.LBB30_922:
	s_mov_b64 s[20:21], 0
.LBB30_923:
	s_and_b64 vcc, exec, s[20:21]
	s_cbranch_vccz .LBB30_930
; %bb.924:
	v_cmp_eq_u16_e32 vcc, 29, v6
	s_mov_b64 s[0:1], -1
	s_cbranch_vccz .LBB30_930
; %bb.925:
	v_lshlrev_b32_e32 v2, 16, v3
	v_trunc_f32_e32 v2, v2
	v_mul_f32_e32 v5, 0x2f800000, v2
	v_floor_f32_e32 v5, v5
	v_fmac_f32_e32 v2, 0xcf800000, v5
	v_cvt_u32_f32_e32 v9, v5
	v_cvt_u32_f32_e32 v8, v2
	s_mov_b64 s[0:1], 0
	s_mov_b64 s[20:21], 0
	global_store_dwordx2 v[0:1], v[8:9], off
	s_branch .LBB30_931
.LBB30_926:
	s_or_b64 exec, exec, s[16:17]
	s_and_saveexec_b64 s[0:1], s[6:7]
	s_cbranch_execnz .LBB30_989
.LBB30_927:
	s_or_b64 exec, exec, s[0:1]
	s_and_saveexec_b64 s[0:1], s[22:23]
	s_xor_b64 s[0:1], exec, s[0:1]
	s_cbranch_execz .LBB30_990
.LBB30_928:
	global_store_byte v[0:1], v4, off
	s_or_b64 exec, exec, s[0:1]
	s_and_saveexec_b64 s[0:1], s[20:21]
	s_xor_b64 s[0:1], exec, s[0:1]
	s_cbranch_execz .LBB30_1028
	s_branch .LBB30_991
.LBB30_929:
	s_mov_b64 s[20:21], -1
	s_mov_b64 s[0:1], s[6:7]
	s_branch .LBB30_988
.LBB30_930:
	s_mov_b64 s[20:21], 0
.LBB30_931:
	s_and_b64 vcc, exec, s[20:21]
	s_cbranch_vccz .LBB30_946
; %bb.932:
	v_cmp_gt_i16_e32 vcc, 27, v6
	s_mov_b64 s[20:21], -1
	s_cbranch_vccnz .LBB30_938
; %bb.933:
	v_cmp_lt_i16_e32 vcc, 27, v6
	s_cbranch_vccz .LBB30_935
; %bb.934:
	v_lshlrev_b32_e32 v2, 16, v3
	v_cvt_u32_f32_e32 v2, v2
	s_mov_b64 s[20:21], 0
	global_store_dword v[0:1], v2, off
.LBB30_935:
	s_andn2_b64 vcc, exec, s[20:21]
	s_cbranch_vccnz .LBB30_937
; %bb.936:
	v_lshlrev_b32_e32 v2, 16, v3
	v_cvt_u32_f32_e32 v2, v2
	global_store_short v[0:1], v2, off
.LBB30_937:
	s_mov_b64 s[20:21], 0
.LBB30_938:
	s_andn2_b64 vcc, exec, s[20:21]
	s_cbranch_vccnz .LBB30_946
; %bb.939:
	v_lshlrev_b32_e32 v7, 16, v3
	v_and_b32_e32 v5, 0x7fffffff, v7
	s_mov_b32 s20, 0x43800000
	v_cmp_gt_u32_e32 vcc, s20, v5
	v_mov_b32_e32 v8, 0x80
	s_and_saveexec_b64 s[20:21], vcc
	s_cbranch_execz .LBB30_945
; %bb.940:
	s_mov_b32 s22, 0x3bffffff
	v_and_b32_e32 v2, 0xffff, v3
	v_cmp_lt_u32_e32 vcc, s22, v5
	s_mov_b64 s[22:23], 0
                                        ; implicit-def: $vgpr5
	s_and_saveexec_b64 s[24:25], vcc
	s_xor_b64 s[24:25], exec, s[24:25]
	s_cbranch_execz .LBB30_1043
; %bb.941:
	v_bfe_u32 v5, v2, 4, 1
	s_mov_b32 s26, 0x487ffff
	v_add3_u32 v5, v7, v5, s26
	s_mov_b64 s[22:23], exec
	v_lshrrev_b32_e32 v5, 20, v5
                                        ; implicit-def: $vgpr7
	s_or_saveexec_b64 s[24:25], s[24:25]
                                        ; implicit-def: $sgpr26
	s_xor_b64 exec, exec, s[24:25]
	s_cbranch_execnz .LBB30_1044
.LBB30_942:
	s_or_b64 exec, exec, s[24:25]
	v_mov_b32_e32 v8, s26
	s_and_saveexec_b64 s[24:25], s[22:23]
.LBB30_943:
	v_lshrrev_b32_e32 v2, 8, v2
	s_movk_i32 s22, 0x80
	v_and_or_b32 v8, v2, s22, v5
.LBB30_944:
	s_or_b64 exec, exec, s[24:25]
.LBB30_945:
	s_or_b64 exec, exec, s[20:21]
	global_store_byte v[0:1], v8, off
.LBB30_946:
	s_mov_b64 s[22:23], 0
.LBB30_947:
	s_mov_b64 s[20:21], 0
	s_and_b64 vcc, exec, s[22:23]
	s_cbranch_vccz .LBB30_987
; %bb.948:
	v_cmp_lt_i16_e32 vcc, 22, v6
	s_mov_b64 s[22:23], -1
	s_cbranch_vccz .LBB30_980
; %bb.949:
	v_cmp_gt_i16_e32 vcc, 24, v6
	s_cbranch_vccnz .LBB30_969
; %bb.950:
	v_cmp_lt_i16_e32 vcc, 24, v6
	s_cbranch_vccz .LBB30_958
; %bb.951:
	v_lshlrev_b32_e32 v7, 16, v3
	v_and_b32_e32 v5, 0x7fffffff, v7
	s_mov_b32 s22, 0x47800000
	v_cmp_gt_u32_e32 vcc, s22, v5
	v_mov_b32_e32 v8, 0x80
	s_and_saveexec_b64 s[22:23], vcc
	s_cbranch_execz .LBB30_957
; %bb.952:
	s_mov_b32 s24, 0x37ffffff
	v_and_b32_e32 v2, 0xffff, v3
	v_cmp_lt_u32_e32 vcc, s24, v5
	s_mov_b64 s[24:25], 0
                                        ; implicit-def: $vgpr5
	s_and_saveexec_b64 s[26:27], vcc
	s_xor_b64 s[26:27], exec, s[26:27]
	s_cbranch_execz .LBB30_1167
; %bb.953:
	v_bfe_u32 v5, v2, 5, 1
	s_mov_b32 s28, 0x88fffff
	v_add3_u32 v5, v7, v5, s28
	s_mov_b64 s[24:25], exec
	v_lshrrev_b32_e32 v5, 21, v5
                                        ; implicit-def: $vgpr7
	s_or_saveexec_b64 s[26:27], s[26:27]
                                        ; implicit-def: $sgpr28
	s_xor_b64 exec, exec, s[26:27]
	s_cbranch_execnz .LBB30_1168
.LBB30_954:
	s_or_b64 exec, exec, s[26:27]
	v_mov_b32_e32 v8, s28
	s_and_saveexec_b64 s[26:27], s[24:25]
.LBB30_955:
	v_lshrrev_b32_e32 v2, 8, v2
	s_movk_i32 s24, 0x80
	v_and_or_b32 v8, v2, s24, v5
.LBB30_956:
	s_or_b64 exec, exec, s[26:27]
.LBB30_957:
	s_or_b64 exec, exec, s[22:23]
	s_mov_b64 s[22:23], 0
	global_store_byte v[0:1], v8, off
.LBB30_958:
	s_and_b64 vcc, exec, s[22:23]
	s_cbranch_vccz .LBB30_968
; %bb.959:
	v_lshlrev_b32_e32 v7, 16, v3
	v_and_b32_e32 v8, 0x7fffffff, v7
	s_mov_b32 s22, 0x43f00000
	v_and_b32_e32 v2, 0xffff, v3
	v_cmp_gt_u32_e32 vcc, s22, v8
                                        ; implicit-def: $vgpr5
	s_and_saveexec_b64 s[22:23], vcc
	s_xor_b64 s[22:23], exec, s[22:23]
	s_cbranch_execz .LBB30_965
; %bb.960:
	s_mov_b32 s24, 0x3c7fffff
	v_cmp_lt_u32_e32 vcc, s24, v8
                                        ; implicit-def: $vgpr5
	s_and_saveexec_b64 s[24:25], vcc
	s_xor_b64 s[24:25], exec, s[24:25]
; %bb.961:
	v_bfe_u32 v5, v2, 4, 1
	s_mov_b32 s26, 0x407ffff
	v_add3_u32 v5, v7, v5, s26
	v_lshrrev_b32_e32 v7, 20, v5
	v_and_b32_e32 v5, 0xff00000, v5
	s_mov_b32 s26, 0x7f00000
	v_mov_b32_e32 v8, 0x7e
	v_cmp_ne_u32_e32 vcc, s26, v5
	v_cndmask_b32_e32 v5, v8, v7, vcc
                                        ; implicit-def: $vgpr7
; %bb.962:
	s_andn2_saveexec_b64 s[24:25], s[24:25]
; %bb.963:
	s_mov_b32 s26, 0x46800000
	v_add_f32_e64 v5, |v7|, s26
; %bb.964:
	s_or_b64 exec, exec, s[24:25]
                                        ; implicit-def: $vgpr8
.LBB30_965:
	s_andn2_saveexec_b64 s[22:23], s[22:23]
; %bb.966:
	s_mov_b32 s24, 0x7f800000
	v_mov_b32_e32 v5, 0x7e
	v_mov_b32_e32 v7, 0x7f
	v_cmp_lt_u32_e32 vcc, s24, v8
	v_cndmask_b32_e32 v5, v5, v7, vcc
; %bb.967:
	s_or_b64 exec, exec, s[22:23]
	v_lshrrev_b32_e32 v2, 8, v2
	s_movk_i32 s22, 0x80
	v_and_or_b32 v2, v2, s22, v5
	global_store_byte v[0:1], v2, off
.LBB30_968:
	s_mov_b64 s[22:23], 0
.LBB30_969:
	s_andn2_b64 vcc, exec, s[22:23]
	s_cbranch_vccnz .LBB30_979
; %bb.970:
	v_lshlrev_b32_e32 v7, 16, v3
	v_and_b32_e32 v8, 0x7fffffff, v7
	s_mov_b32 s22, 0x47800000
	v_and_b32_e32 v2, 0xffff, v3
	v_cmp_gt_u32_e32 vcc, s22, v8
                                        ; implicit-def: $vgpr5
	s_and_saveexec_b64 s[22:23], vcc
	s_xor_b64 s[22:23], exec, s[22:23]
	s_cbranch_execz .LBB30_976
; %bb.971:
	s_mov_b32 s24, 0x387fffff
	v_cmp_lt_u32_e32 vcc, s24, v8
                                        ; implicit-def: $vgpr5
	s_and_saveexec_b64 s[24:25], vcc
	s_xor_b64 s[24:25], exec, s[24:25]
; %bb.972:
	v_bfe_u32 v5, v2, 5, 1
	s_mov_b32 s26, 0x80fffff
	v_add3_u32 v5, v7, v5, s26
	v_lshrrev_b32_e32 v5, 21, v5
                                        ; implicit-def: $vgpr7
; %bb.973:
	s_andn2_saveexec_b64 s[24:25], s[24:25]
; %bb.974:
	s_mov_b32 s26, 0x43000000
	v_add_f32_e64 v5, |v7|, s26
; %bb.975:
	s_or_b64 exec, exec, s[24:25]
                                        ; implicit-def: $vgpr8
.LBB30_976:
	s_andn2_saveexec_b64 s[22:23], s[22:23]
; %bb.977:
	s_mov_b32 s24, 0x7f800000
	v_mov_b32_e32 v5, 0x7c
	v_mov_b32_e32 v7, 0x7f
	v_cmp_lt_u32_e32 vcc, s24, v8
	v_cndmask_b32_e32 v5, v5, v7, vcc
; %bb.978:
	s_or_b64 exec, exec, s[22:23]
	v_lshrrev_b32_e32 v2, 8, v2
	s_movk_i32 s22, 0x80
	v_and_or_b32 v2, v2, s22, v5
	global_store_byte v[0:1], v2, off
.LBB30_979:
	s_mov_b64 s[22:23], 0
.LBB30_980:
	s_andn2_b64 vcc, exec, s[22:23]
	s_mov_b64 s[22:23], 0
	s_cbranch_vccnz .LBB30_988
; %bb.981:
	v_cmp_lt_i16_e32 vcc, 14, v6
	s_mov_b64 s[24:25], -1
	s_cbranch_vccz .LBB30_985
; %bb.982:
	v_cmp_eq_u16_e32 vcc, 15, v6
	s_mov_b64 s[0:1], -1
	s_cbranch_vccz .LBB30_984
; %bb.983:
	global_store_short v[0:1], v3, off
	s_mov_b64 s[0:1], 0
.LBB30_984:
	s_mov_b64 s[24:25], 0
.LBB30_985:
	s_and_b64 vcc, exec, s[24:25]
	s_cbranch_vccz .LBB30_988
; %bb.986:
	v_cmp_ne_u16_e32 vcc, 11, v6
	s_andn2_b64 s[0:1], s[0:1], exec
	s_and_b64 s[24:25], vcc, exec
	s_mov_b64 s[22:23], -1
	s_or_b64 s[0:1], s[0:1], s[24:25]
	s_branch .LBB30_988
.LBB30_987:
	s_mov_b64 s[22:23], 0
.LBB30_988:
	s_andn2_b64 s[6:7], s[6:7], exec
	s_and_b64 s[0:1], s[0:1], exec
	s_and_b64 s[20:21], s[20:21], exec
	;; [unrolled: 1-line block ×3, first 2 shown]
	s_or_b64 s[6:7], s[6:7], s[0:1]
	s_or_b64 exec, exec, s[16:17]
	s_and_saveexec_b64 s[0:1], s[6:7]
	s_cbranch_execz .LBB30_927
.LBB30_989:
	s_or_b64 s[18:19], s[18:19], exec
	s_andn2_b64 s[22:23], s[22:23], exec
	s_trap 2
	s_or_b64 exec, exec, s[0:1]
	s_and_saveexec_b64 s[0:1], s[22:23]
	s_xor_b64 s[0:1], exec, s[0:1]
	s_cbranch_execnz .LBB30_928
.LBB30_990:
	s_or_b64 exec, exec, s[0:1]
	s_and_saveexec_b64 s[0:1], s[20:21]
	s_xor_b64 s[0:1], exec, s[0:1]
	s_cbranch_execz .LBB30_1028
.LBB30_991:
	s_waitcnt vmcnt(0)
	v_cmp_gt_i16_e32 vcc, 5, v6
	s_mov_b64 s[6:7], -1
	s_cbranch_vccnz .LBB30_1012
; %bb.992:
	v_cmp_gt_i16_e32 vcc, 8, v6
	s_cbranch_vccnz .LBB30_1002
; %bb.993:
	v_cmp_gt_i16_e32 vcc, 9, v6
	s_cbranch_vccnz .LBB30_999
; %bb.994:
	v_cmp_lt_i16_e32 vcc, 9, v6
	s_cbranch_vccz .LBB30_996
; %bb.995:
	v_lshlrev_b32_e32 v2, 16, v3
	v_mov_b32_e32 v10, 0
	v_cvt_f64_f32_e32 v[8:9], v2
	v_mov_b32_e32 v11, v10
	s_mov_b64 s[6:7], 0
	global_store_dwordx4 v[0:1], v[8:11], off
.LBB30_996:
	s_andn2_b64 vcc, exec, s[6:7]
	s_cbranch_vccnz .LBB30_998
; %bb.997:
	v_lshlrev_b32_e32 v4, 16, v3
	v_mov_b32_e32 v5, 0
	global_store_dwordx2 v[0:1], v[4:5], off
.LBB30_998:
	s_mov_b64 s[6:7], 0
.LBB30_999:
	s_andn2_b64 vcc, exec, s[6:7]
	s_cbranch_vccnz .LBB30_1001
; %bb.1000:
	v_lshlrev_b32_e32 v2, 16, v3
	v_cvt_f16_f32_e32 v2, v2
	global_store_dword v[0:1], v2, off
.LBB30_1001:
	s_mov_b64 s[6:7], 0
.LBB30_1002:
	s_andn2_b64 vcc, exec, s[6:7]
	s_cbranch_vccnz .LBB30_1011
; %bb.1003:
	v_cmp_gt_i16_e32 vcc, 6, v6
	s_mov_b64 s[6:7], -1
	s_cbranch_vccnz .LBB30_1009
; %bb.1004:
	v_cmp_lt_i16_e32 vcc, 6, v6
	s_cbranch_vccz .LBB30_1006
; %bb.1005:
	v_lshlrev_b32_e32 v2, 16, v3
	v_cvt_f64_f32_e32 v[4:5], v2
	s_mov_b64 s[6:7], 0
	global_store_dwordx2 v[0:1], v[4:5], off
.LBB30_1006:
	s_andn2_b64 vcc, exec, s[6:7]
	s_cbranch_vccnz .LBB30_1008
; %bb.1007:
	v_lshlrev_b32_e32 v2, 16, v3
	global_store_dword v[0:1], v2, off
.LBB30_1008:
	s_mov_b64 s[6:7], 0
.LBB30_1009:
	s_andn2_b64 vcc, exec, s[6:7]
	s_cbranch_vccnz .LBB30_1011
; %bb.1010:
	v_lshlrev_b32_e32 v2, 16, v3
	v_cvt_f16_f32_e32 v2, v2
	global_store_short v[0:1], v2, off
.LBB30_1011:
	s_mov_b64 s[6:7], 0
.LBB30_1012:
	s_andn2_b64 vcc, exec, s[6:7]
	s_cbranch_vccnz .LBB30_1028
; %bb.1013:
	v_cmp_gt_i16_e32 vcc, 2, v6
	s_mov_b64 s[6:7], -1
	s_cbranch_vccnz .LBB30_1023
; %bb.1014:
	v_cmp_gt_i16_e32 vcc, 3, v6
	s_cbranch_vccnz .LBB30_1020
; %bb.1015:
	v_cmp_lt_i16_e32 vcc, 3, v6
	s_cbranch_vccz .LBB30_1017
; %bb.1016:
	v_lshlrev_b32_e32 v2, 16, v3
	v_trunc_f32_e32 v2, v2
	s_mov_b32 s6, 0x2f800000
	v_mul_f32_e64 v4, |v2|, s6
	v_floor_f32_e32 v4, v4
	s_mov_b32 s6, 0xcf800000
	v_cvt_u32_f32_e32 v5, v4
	v_fma_f32 v4, v4, s6, |v2|
	v_cvt_u32_f32_e32 v4, v4
	v_ashrrev_i32_e32 v2, 31, v2
	v_xor_b32_e32 v5, v5, v2
	s_mov_b64 s[6:7], 0
	v_xor_b32_e32 v4, v4, v2
	v_sub_co_u32_e32 v4, vcc, v4, v2
	v_subb_co_u32_e32 v5, vcc, v5, v2, vcc
	global_store_dwordx2 v[0:1], v[4:5], off
.LBB30_1017:
	s_andn2_b64 vcc, exec, s[6:7]
	s_cbranch_vccnz .LBB30_1019
; %bb.1018:
	v_lshlrev_b32_e32 v2, 16, v3
	v_cvt_i32_f32_e32 v2, v2
	global_store_dword v[0:1], v2, off
.LBB30_1019:
	s_mov_b64 s[6:7], 0
.LBB30_1020:
	s_andn2_b64 vcc, exec, s[6:7]
	s_cbranch_vccnz .LBB30_1022
; %bb.1021:
	v_lshlrev_b32_e32 v2, 16, v3
	v_cvt_i32_f32_e32 v2, v2
	global_store_short v[0:1], v2, off
.LBB30_1022:
	s_mov_b64 s[6:7], 0
.LBB30_1023:
	s_andn2_b64 vcc, exec, s[6:7]
	s_cbranch_vccnz .LBB30_1028
; %bb.1024:
	v_cmp_lt_i16_e32 vcc, 0, v6
	s_mov_b64 s[6:7], -1
	v_lshlrev_b32_e32 v2, 16, v3
	s_cbranch_vccz .LBB30_1026
; %bb.1025:
	v_cvt_i32_f32_e32 v3, v2
	s_mov_b64 s[6:7], 0
	global_store_byte v[0:1], v3, off
.LBB30_1026:
	s_andn2_b64 vcc, exec, s[6:7]
	s_cbranch_vccnz .LBB30_1028
; %bb.1027:
	v_trunc_f32_e32 v2, v2
	s_mov_b32 s6, 0x2f800000
	v_mul_f32_e64 v3, |v2|, s6
	v_floor_f32_e32 v3, v3
	s_mov_b32 s6, 0xcf800000
	v_fma_f32 v3, v3, s6, |v2|
	v_cvt_u32_f32_e32 v3, v3
	v_ashrrev_i32_e32 v2, 31, v2
	v_xor_b32_e32 v3, v3, v2
	v_sub_u32_e32 v2, v3, v2
	global_store_byte v[0:1], v2, off
.LBB30_1028:
	s_or_b64 exec, exec, s[0:1]
	s_and_b64 s[6:7], s[18:19], exec
                                        ; implicit-def: $vgpr2
                                        ; implicit-def: $vgpr3
.LBB30_1029:
	s_or_saveexec_b64 s[4:5], s[4:5]
	s_mov_b64 s[0:1], 0
                                        ; implicit-def: $vgpr4
                                        ; implicit-def: $vgpr0_vgpr1
                                        ; implicit-def: $vgpr6
                                        ; implicit-def: $vgpr5
	s_xor_b64 exec, exec, s[4:5]
	s_cbranch_execz .LBB30_1551
; %bb.1030:
	v_mul_lo_u32 v5, s13, v2
	v_ashrrev_i32_e32 v1, 31, v5
	v_mov_b32_e32 v4, s11
	v_add_co_u32_e32 v0, vcc, s10, v5
	v_addc_co_u32_e32 v1, vcc, v4, v1, vcc
	v_cmp_gt_i16_e64 s[0:1], 11, v3
	s_and_b64 vcc, exec, s[0:1]
	s_cbranch_vccnz .LBB30_1037
; %bb.1031:
	v_cmp_lt_i16_e32 vcc, 25, v3
	s_mov_b64 s[18:19], 0
	s_cbranch_vccz .LBB30_1039
; %bb.1032:
	v_cmp_lt_i16_e32 vcc, 28, v3
	s_cbranch_vccz .LBB30_1040
; %bb.1033:
	v_cmp_lt_i16_e32 vcc, 43, v3
	;; [unrolled: 3-line block ×3, first 2 shown]
	s_cbranch_vccz .LBB30_1042
; %bb.1035:
	v_cmp_eq_u16_e32 vcc, 46, v3
	s_mov_b64 s[16:17], 0
	s_cbranch_vccz .LBB30_1045
; %bb.1036:
	global_load_dword v4, v[0:1], off
	s_mov_b64 s[20:21], -1
	s_branch .LBB30_1046
.LBB30_1037:
	s_mov_b64 s[20:21], 0
                                        ; implicit-def: $vgpr4
	s_mov_b64 s[16:17], s[6:7]
	s_cbranch_execnz .LBB30_1108
.LBB30_1038:
	s_andn2_b64 vcc, exec, s[20:21]
	s_cbranch_vccz .LBB30_1153
	s_branch .LBB30_1548
.LBB30_1039:
	s_mov_b64 s[20:21], 0
                                        ; implicit-def: $vgpr4
	s_cbranch_execnz .LBB30_1073
	s_branch .LBB30_1104
.LBB30_1040:
	s_mov_b64 s[20:21], 0
                                        ; implicit-def: $vgpr4
	s_cbranch_execz .LBB30_1072
	s_branch .LBB30_1055
.LBB30_1041:
	s_mov_b64 s[20:21], 0
                                        ; implicit-def: $vgpr4
	s_cbranch_execnz .LBB30_1051
	s_branch .LBB30_1054
.LBB30_1042:
	s_mov_b64 s[16:17], -1
	s_mov_b64 s[20:21], 0
                                        ; implicit-def: $vgpr4
	s_branch .LBB30_1046
.LBB30_1043:
	s_or_saveexec_b64 s[24:25], s[24:25]
                                        ; implicit-def: $sgpr26
	s_xor_b64 exec, exec, s[24:25]
	s_cbranch_execz .LBB30_942
.LBB30_1044:
	s_mov_b32 s26, 0x46000000
	v_add_f32_e64 v5, |v7|, s26
	v_and_b32_e32 v5, 0xff, v5
	v_cmp_ne_u32_e32 vcc, 0, v5
	s_andn2_b64 s[22:23], s[22:23], exec
	s_and_b64 s[28:29], vcc, exec
	s_mov_b32 s26, 0
	s_or_b64 s[22:23], s[22:23], s[28:29]
	s_or_b64 exec, exec, s[24:25]
	v_mov_b32_e32 v8, s26
	s_and_saveexec_b64 s[24:25], s[22:23]
	s_cbranch_execnz .LBB30_943
	s_branch .LBB30_944
.LBB30_1045:
	s_mov_b64 s[2:3], -1
                                        ; implicit-def: $vgpr4
	s_mov_b64 s[20:21], 0
.LBB30_1046:
	s_and_b64 vcc, exec, s[16:17]
	s_cbranch_vccz .LBB30_1049
; %bb.1047:
	v_cmp_eq_u16_e32 vcc, 44, v3
	s_cbranch_vccz .LBB30_1050
; %bb.1048:
	global_load_ubyte v4, v[0:1], off
	s_movk_i32 s16, 0xff
	s_waitcnt vmcnt(1)
	v_mov_b32_e32 v6, 0x7f800001
	v_mov_b32_e32 v7, 0x400000
	;; [unrolled: 1-line block ×3, first 2 shown]
	s_mov_b64 s[2:3], 0
	s_mov_b64 s[20:21], -1
	s_waitcnt vmcnt(0)
	v_lshlrev_b32_e32 v9, 23, v4
	v_cmp_ne_u32_e32 vcc, s16, v4
	v_cndmask_b32_e32 v6, v6, v9, vcc
	v_cmp_ne_u32_e32 vcc, 0, v4
	v_cndmask_b32_e32 v4, v7, v6, vcc
	v_add_u32_e32 v6, 0x7fff, v4
	v_lshrrev_b32_e32 v6, 16, v6
	v_cmp_o_f32_e32 vcc, v4, v4
	v_cndmask_b32_e32 v4, v8, v6, vcc
.LBB30_1049:
	s_branch .LBB30_1054
.LBB30_1050:
	s_mov_b64 s[2:3], -1
                                        ; implicit-def: $vgpr4
	s_branch .LBB30_1054
.LBB30_1051:
	v_cmp_eq_u16_e32 vcc, 29, v3
	s_cbranch_vccz .LBB30_1053
; %bb.1052:
	global_load_dwordx2 v[6:7], v[0:1], off
	s_movk_i32 s16, 0x7fff
	s_mov_b64 s[2:3], 0
	s_mov_b64 s[20:21], -1
	s_waitcnt vmcnt(0)
	v_ffbh_u32_e32 v4, v7
	v_min_u32_e32 v4, 32, v4
	v_lshlrev_b64 v[6:7], v4, v[6:7]
	v_min_u32_e32 v6, 1, v6
	v_or_b32_e32 v6, v7, v6
	v_cvt_f32_u32_e32 v6, v6
	v_sub_u32_e32 v4, 32, v4
	v_ldexp_f32 v4, v6, v4
	v_bfe_u32 v6, v4, 16, 1
	v_add3_u32 v4, v4, v6, s16
	v_lshrrev_b32_e32 v4, 16, v4
	s_branch .LBB30_1054
.LBB30_1053:
	s_mov_b64 s[2:3], -1
                                        ; implicit-def: $vgpr4
.LBB30_1054:
	s_branch .LBB30_1072
.LBB30_1055:
	v_cmp_gt_i16_e32 vcc, 27, v3
	s_cbranch_vccnz .LBB30_1058
; %bb.1056:
	v_cmp_lt_i16_e32 vcc, 27, v3
	s_cbranch_vccz .LBB30_1059
; %bb.1057:
	global_load_dword v4, v[0:1], off
	s_movk_i32 s16, 0x7fff
	s_waitcnt vmcnt(0)
	v_cvt_f32_u32_e32 v4, v4
	v_bfe_u32 v6, v4, 16, 1
	v_add3_u32 v4, v4, v6, s16
	v_lshrrev_b32_e32 v4, 16, v4
	s_mov_b64 s[16:17], 0
	s_branch .LBB30_1060
.LBB30_1058:
	s_mov_b64 s[16:17], -1
                                        ; implicit-def: $vgpr4
	s_branch .LBB30_1063
.LBB30_1059:
	s_mov_b64 s[16:17], -1
                                        ; implicit-def: $vgpr4
.LBB30_1060:
	s_andn2_b64 vcc, exec, s[16:17]
	s_cbranch_vccnz .LBB30_1062
; %bb.1061:
	global_load_ushort v4, v[0:1], off
	s_movk_i32 s16, 0x7fff
	s_waitcnt vmcnt(0)
	v_cvt_f32_u32_e32 v4, v4
	v_bfe_u32 v6, v4, 16, 1
	v_add3_u32 v4, v4, v6, s16
	v_lshrrev_b32_e32 v4, 16, v4
.LBB30_1062:
	s_mov_b64 s[16:17], 0
.LBB30_1063:
	s_andn2_b64 vcc, exec, s[16:17]
	s_cbranch_vccnz .LBB30_1071
; %bb.1064:
	global_load_ubyte v4, v[0:1], off
	s_movk_i32 s16, 0x7f
                                        ; implicit-def: $sgpr24
	s_waitcnt vmcnt(0)
	v_cmp_lt_i16_e32 vcc, s16, v4
	s_mov_b64 s[16:17], 0
	s_and_saveexec_b64 s[20:21], vcc
	s_xor_b64 s[20:21], exec, s[20:21]
	s_cbranch_execz .LBB30_1084
; %bb.1065:
	s_movk_i32 s16, 0x80
	v_cmp_eq_u16_e32 vcc, s16, v4
	s_mov_b64 s[16:17], -1
                                        ; implicit-def: $sgpr24
	s_and_saveexec_b64 s[22:23], vcc
; %bb.1066:
	s_mov_b32 s24, 0x7f800001
	s_xor_b64 s[16:17], exec, -1
; %bb.1067:
	s_or_b64 exec, exec, s[22:23]
	s_and_b64 s[16:17], s[16:17], exec
	s_or_saveexec_b64 s[20:21], s[20:21]
	v_mov_b32_e32 v6, s24
	s_xor_b64 exec, exec, s[20:21]
	s_cbranch_execnz .LBB30_1085
.LBB30_1068:
	s_or_b64 exec, exec, s[20:21]
	s_and_saveexec_b64 s[20:21], s[16:17]
	s_cbranch_execz .LBB30_1070
.LBB30_1069:
	v_lshlrev_b32_e32 v6, 24, v4
	v_and_b32_e32 v4, 0xffff, v4
	v_and_b32_e32 v7, 7, v4
	v_ffbh_u32_e32 v9, v7
	v_min_u32_e32 v9, 32, v9
	v_subrev_u32_e32 v10, 28, v9
	v_bfe_u32 v8, v4, 3, 4
	v_lshlrev_b32_e32 v4, v10, v4
	v_sub_u32_e32 v9, 29, v9
	v_and_b32_e32 v4, 7, v4
	v_cmp_eq_u32_e32 vcc, 0, v8
	v_cndmask_b32_e32 v8, v8, v9, vcc
	v_cndmask_b32_e32 v4, v7, v4, vcc
	v_mov_b32_e32 v7, 0x3b800000
	v_lshlrev_b32_e32 v4, 20, v4
	v_and_b32_e32 v6, 0x80000000, v6
	v_lshl_add_u32 v7, v8, 23, v7
	v_or3_b32 v6, v6, v7, v4
.LBB30_1070:
	s_or_b64 exec, exec, s[20:21]
	v_bfe_u32 v4, v6, 16, 1
	s_movk_i32 s16, 0x7fff
	v_add3_u32 v4, v6, v4, s16
	v_lshrrev_b32_e32 v4, 16, v4
	v_mov_b32_e32 v7, 0x7fc0
	v_cmp_o_f32_e32 vcc, v6, v6
	v_cndmask_b32_e32 v4, v7, v4, vcc
.LBB30_1071:
	s_mov_b64 s[20:21], -1
.LBB30_1072:
	s_branch .LBB30_1104
.LBB30_1073:
	v_cmp_lt_i16_e32 vcc, 22, v3
	s_cbranch_vccz .LBB30_1083
; %bb.1074:
	v_cmp_gt_i16_e32 vcc, 24, v3
	s_cbranch_vccnz .LBB30_1086
; %bb.1075:
	v_cmp_lt_i16_e32 vcc, 24, v3
	s_cbranch_vccz .LBB30_1087
; %bb.1076:
	global_load_ubyte v4, v[0:1], off
	s_movk_i32 s16, 0x7f
                                        ; implicit-def: $sgpr22
	s_waitcnt vmcnt(0)
	v_cmp_lt_i16_e32 vcc, s16, v4
	s_mov_b64 s[16:17], 0
	s_and_saveexec_b64 s[18:19], vcc
	s_xor_b64 s[18:19], exec, s[18:19]
	s_cbranch_execz .LBB30_1098
; %bb.1077:
	s_movk_i32 s16, 0x80
	v_cmp_eq_u16_e32 vcc, s16, v4
	s_mov_b64 s[16:17], -1
                                        ; implicit-def: $sgpr22
	s_and_saveexec_b64 s[20:21], vcc
; %bb.1078:
	s_mov_b32 s22, 0x7f800001
	s_xor_b64 s[16:17], exec, -1
; %bb.1079:
	s_or_b64 exec, exec, s[20:21]
	s_and_b64 s[16:17], s[16:17], exec
	s_or_saveexec_b64 s[18:19], s[18:19]
	v_mov_b32_e32 v6, s22
	s_xor_b64 exec, exec, s[18:19]
	s_cbranch_execnz .LBB30_1099
.LBB30_1080:
	s_or_b64 exec, exec, s[18:19]
	s_and_saveexec_b64 s[18:19], s[16:17]
	s_cbranch_execz .LBB30_1082
.LBB30_1081:
	v_lshlrev_b32_e32 v6, 24, v4
	v_and_b32_e32 v4, 0xffff, v4
	v_and_b32_e32 v7, 3, v4
	v_ffbh_u32_e32 v9, v7
	v_min_u32_e32 v9, 32, v9
	v_subrev_u32_e32 v10, 29, v9
	v_bfe_u32 v8, v4, 2, 5
	v_lshlrev_b32_e32 v4, v10, v4
	v_sub_u32_e32 v9, 30, v9
	v_and_b32_e32 v4, 3, v4
	v_cmp_eq_u32_e32 vcc, 0, v8
	v_cndmask_b32_e32 v8, v8, v9, vcc
	v_cndmask_b32_e32 v4, v7, v4, vcc
	v_mov_b32_e32 v7, 0x37800000
	v_lshlrev_b32_e32 v4, 21, v4
	v_and_b32_e32 v6, 0x80000000, v6
	v_lshl_add_u32 v7, v8, 23, v7
	v_or3_b32 v6, v6, v7, v4
.LBB30_1082:
	s_or_b64 exec, exec, s[18:19]
	v_bfe_u32 v4, v6, 16, 1
	s_movk_i32 s16, 0x7fff
	v_add3_u32 v4, v6, v4, s16
	v_lshrrev_b32_e32 v4, 16, v4
	v_mov_b32_e32 v7, 0x7fc0
	v_cmp_o_f32_e32 vcc, v6, v6
	v_cndmask_b32_e32 v4, v7, v4, vcc
	s_mov_b64 s[16:17], 0
	s_branch .LBB30_1088
.LBB30_1083:
                                        ; implicit-def: $vgpr4
	s_mov_b64 s[18:19], 0
	s_branch .LBB30_1094
.LBB30_1084:
	s_or_saveexec_b64 s[20:21], s[20:21]
	v_mov_b32_e32 v6, s24
	s_xor_b64 exec, exec, s[20:21]
	s_cbranch_execz .LBB30_1068
.LBB30_1085:
	v_cmp_ne_u16_e32 vcc, 0, v4
	s_andn2_b64 s[16:17], s[16:17], exec
	s_and_b64 s[22:23], vcc, exec
	v_mov_b32_e32 v6, 0
	s_or_b64 s[16:17], s[16:17], s[22:23]
	s_or_b64 exec, exec, s[20:21]
	s_and_saveexec_b64 s[20:21], s[16:17]
	s_cbranch_execnz .LBB30_1069
	s_branch .LBB30_1070
.LBB30_1086:
	s_mov_b64 s[16:17], -1
                                        ; implicit-def: $vgpr4
	s_branch .LBB30_1091
.LBB30_1087:
	s_mov_b64 s[16:17], -1
                                        ; implicit-def: $vgpr4
.LBB30_1088:
	s_and_b64 vcc, exec, s[16:17]
	s_cbranch_vccz .LBB30_1090
; %bb.1089:
	global_load_ubyte v4, v[0:1], off
	s_mov_b32 s16, 0x7f800000
	s_brev_b32 s17, 1
	s_movk_i32 s18, 0x7fff
	s_waitcnt vmcnt(1)
	v_mov_b32_e32 v6, 0x7fc0
	s_waitcnt vmcnt(0)
	v_lshlrev_b32_e32 v4, 24, v4
	v_and_b32_e32 v7, 0x7f000000, v4
	v_ffbh_u32_e32 v8, v7
	v_min_u32_e32 v8, 32, v8
	v_sub_u32_e64 v8, v8, 4 clamp
	v_lshlrev_b32_e32 v10, v8, v7
	v_lshlrev_b32_e32 v8, 23, v8
	v_lshrrev_b32_e32 v10, 4, v10
	v_add_u32_e32 v9, 0x1000000, v7
	v_sub_u32_e32 v8, v10, v8
	v_ashrrev_i32_e32 v9, 8, v9
	v_add_u32_e32 v8, 0x3c000000, v8
	v_and_or_b32 v8, v9, s16, v8
	v_cmp_ne_u32_e32 vcc, 0, v7
	v_cndmask_b32_e32 v7, 0, v8, vcc
	v_and_or_b32 v4, v4, s17, v7
	v_bfe_u32 v7, v7, 16, 1
	v_add3_u32 v7, v4, v7, s18
	v_lshrrev_b32_e32 v7, 16, v7
	v_cmp_o_f32_e32 vcc, v4, v4
	v_cndmask_b32_e32 v4, v6, v7, vcc
.LBB30_1090:
	s_mov_b64 s[16:17], 0
.LBB30_1091:
	s_andn2_b64 vcc, exec, s[16:17]
	s_cbranch_vccnz .LBB30_1093
; %bb.1092:
	global_load_ubyte v4, v[0:1], off
	s_movk_i32 s16, 0x7f00
	s_brev_b32 s17, 16
	s_brev_b32 s18, 1
	s_movk_i32 s19, 0x7fff
	s_waitcnt vmcnt(1)
	v_mov_b32_e32 v6, 0x7fc0
	s_waitcnt vmcnt(0)
	v_lshlrev_b16_e32 v7, 8, v4
	v_lshlrev_b32_e32 v4, 25, v4
	v_lshrrev_b32_e32 v8, 4, v4
	v_and_or_b32 v9, v7, s16, 0.5
	v_or_b32_e32 v8, 0x70000000, v8
	v_add_f32_e32 v9, -0.5, v9
	v_mul_f32_e32 v8, 0x7800000, v8
	v_cmp_gt_u32_e32 vcc, s17, v4
	v_bfe_i32 v7, v7, 0, 16
	v_cndmask_b32_e32 v4, v8, v9, vcc
	v_and_or_b32 v7, v7, s18, v4
	v_bfe_u32 v4, v4, 16, 1
	v_add3_u32 v4, v7, v4, s19
	v_lshrrev_b32_e32 v4, 16, v4
	v_cmp_o_f32_e32 vcc, v7, v7
	v_cndmask_b32_e32 v4, v6, v4, vcc
.LBB30_1093:
	s_mov_b64 s[20:21], -1
	s_mov_b64 s[18:19], 0
	s_cbranch_execnz .LBB30_1104
.LBB30_1094:
	v_cmp_lt_i16_e32 vcc, 14, v3
	s_cbranch_vccz .LBB30_1097
; %bb.1095:
	v_cmp_eq_u16_e32 vcc, 15, v3
	s_cbranch_vccz .LBB30_1100
; %bb.1096:
	global_load_ushort v4, v[0:1], off
	s_mov_b64 s[2:3], 0
	s_mov_b64 s[20:21], -1
	s_branch .LBB30_1101
.LBB30_1097:
	s_mov_b64 s[16:17], -1
                                        ; implicit-def: $vgpr4
	s_branch .LBB30_1102
.LBB30_1098:
	s_or_saveexec_b64 s[18:19], s[18:19]
	v_mov_b32_e32 v6, s22
	s_xor_b64 exec, exec, s[18:19]
	s_cbranch_execz .LBB30_1080
.LBB30_1099:
	v_cmp_ne_u16_e32 vcc, 0, v4
	s_andn2_b64 s[16:17], s[16:17], exec
	s_and_b64 s[20:21], vcc, exec
	v_mov_b32_e32 v6, 0
	s_or_b64 s[16:17], s[16:17], s[20:21]
	s_or_b64 exec, exec, s[18:19]
	s_and_saveexec_b64 s[18:19], s[16:17]
	s_cbranch_execnz .LBB30_1081
	s_branch .LBB30_1082
.LBB30_1100:
	s_mov_b64 s[2:3], -1
                                        ; implicit-def: $vgpr4
.LBB30_1101:
	s_mov_b64 s[16:17], 0
.LBB30_1102:
	s_and_b64 vcc, exec, s[16:17]
	s_cbranch_vccz .LBB30_1104
; %bb.1103:
	v_cmp_ne_u16_e64 s[2:3], 11, v3
	s_mov_b64 s[18:19], -1
                                        ; implicit-def: $vgpr4
.LBB30_1104:
	s_and_b64 vcc, exec, s[2:3]
	s_mov_b64 s[16:17], s[6:7]
	s_cbranch_vccnz .LBB30_1165
; %bb.1105:
	s_andn2_b64 vcc, exec, s[18:19]
	s_cbranch_vccnz .LBB30_1107
.LBB30_1106:
	global_load_ubyte v4, v[0:1], off
	s_mov_b64 s[20:21], -1
	s_waitcnt vmcnt(0)
	v_cmp_ne_u16_e32 vcc, 0, v4
	v_cndmask_b32_e64 v4, 0, 1.0, vcc
	v_lshrrev_b32_e32 v4, 16, v4
.LBB30_1107:
	s_branch .LBB30_1038
.LBB30_1108:
	v_cmp_gt_i16_e32 vcc, 5, v3
	s_cbranch_vccnz .LBB30_1113
; %bb.1109:
	v_cmp_gt_i16_e32 vcc, 8, v3
	s_cbranch_vccnz .LBB30_1114
; %bb.1110:
	;; [unrolled: 3-line block ×3, first 2 shown]
	v_cmp_lt_i16_e32 vcc, 9, v3
	s_cbranch_vccz .LBB30_1116
; %bb.1112:
	global_load_dwordx2 v[6:7], v[0:1], off
	s_movk_i32 s2, 0x7fff
	s_waitcnt vmcnt(1)
	v_mov_b32_e32 v4, 0x7fc0
	s_waitcnt vmcnt(0)
	v_cvt_f32_f64_e32 v6, v[6:7]
	v_bfe_u32 v7, v6, 16, 1
	v_add3_u32 v7, v6, v7, s2
	v_lshrrev_b32_e32 v7, 16, v7
	v_cmp_o_f32_e32 vcc, v6, v6
	v_cndmask_b32_e32 v4, v4, v7, vcc
	s_mov_b64 s[2:3], 0
	s_branch .LBB30_1117
.LBB30_1113:
                                        ; implicit-def: $vgpr4
	s_branch .LBB30_1134
.LBB30_1114:
                                        ; implicit-def: $vgpr4
	s_branch .LBB30_1123
.LBB30_1115:
	s_mov_b64 s[2:3], -1
                                        ; implicit-def: $vgpr4
	s_branch .LBB30_1120
.LBB30_1116:
	s_mov_b64 s[2:3], -1
                                        ; implicit-def: $vgpr4
.LBB30_1117:
	s_andn2_b64 vcc, exec, s[2:3]
	s_cbranch_vccnz .LBB30_1119
; %bb.1118:
	global_load_dword v4, v[0:1], off
	s_movk_i32 s2, 0x7fff
	s_waitcnt vmcnt(1)
	v_mov_b32_e32 v6, 0x7fc0
	s_waitcnt vmcnt(0)
	v_bfe_u32 v7, v4, 16, 1
	v_add3_u32 v7, v4, v7, s2
	v_lshrrev_b32_e32 v7, 16, v7
	v_cmp_o_f32_e32 vcc, v4, v4
	v_cndmask_b32_e32 v4, v6, v7, vcc
.LBB30_1119:
	s_mov_b64 s[2:3], 0
.LBB30_1120:
	s_andn2_b64 vcc, exec, s[2:3]
	s_cbranch_vccnz .LBB30_1122
; %bb.1121:
	global_load_dword v4, v[0:1], off
	s_movk_i32 s2, 0x7fff
	s_waitcnt vmcnt(1)
	v_mov_b32_e32 v7, 0x7fc0
	s_waitcnt vmcnt(0)
	v_cvt_f32_f16_e32 v6, v4
	v_cmp_o_f16_e32 vcc, v4, v4
	v_bfe_u32 v8, v6, 16, 1
	v_add3_u32 v6, v6, v8, s2
	v_lshrrev_b32_e32 v6, 16, v6
	v_cndmask_b32_e32 v4, v7, v6, vcc
.LBB30_1122:
	s_cbranch_execnz .LBB30_1133
.LBB30_1123:
	v_cmp_gt_i16_e32 vcc, 6, v3
	s_cbranch_vccnz .LBB30_1126
; %bb.1124:
	v_cmp_lt_i16_e32 vcc, 6, v3
	s_cbranch_vccz .LBB30_1127
; %bb.1125:
	global_load_dwordx2 v[6:7], v[0:1], off
	s_movk_i32 s2, 0x7fff
	s_waitcnt vmcnt(1)
	v_mov_b32_e32 v4, 0x7fc0
	s_waitcnt vmcnt(0)
	v_cvt_f32_f64_e32 v6, v[6:7]
	v_bfe_u32 v7, v6, 16, 1
	v_add3_u32 v7, v6, v7, s2
	v_lshrrev_b32_e32 v7, 16, v7
	v_cmp_o_f32_e32 vcc, v6, v6
	v_cndmask_b32_e32 v4, v4, v7, vcc
	s_mov_b64 s[2:3], 0
	s_branch .LBB30_1128
.LBB30_1126:
	s_mov_b64 s[2:3], -1
                                        ; implicit-def: $vgpr4
	s_branch .LBB30_1131
.LBB30_1127:
	s_mov_b64 s[2:3], -1
                                        ; implicit-def: $vgpr4
.LBB30_1128:
	s_andn2_b64 vcc, exec, s[2:3]
	s_cbranch_vccnz .LBB30_1130
; %bb.1129:
	global_load_dword v4, v[0:1], off
	s_movk_i32 s2, 0x7fff
	s_waitcnt vmcnt(1)
	v_mov_b32_e32 v6, 0x7fc0
	s_waitcnt vmcnt(0)
	v_bfe_u32 v7, v4, 16, 1
	v_add3_u32 v7, v4, v7, s2
	v_lshrrev_b32_e32 v7, 16, v7
	v_cmp_o_f32_e32 vcc, v4, v4
	v_cndmask_b32_e32 v4, v6, v7, vcc
.LBB30_1130:
	s_mov_b64 s[2:3], 0
.LBB30_1131:
	s_andn2_b64 vcc, exec, s[2:3]
	s_cbranch_vccnz .LBB30_1133
; %bb.1132:
	global_load_ushort v4, v[0:1], off
	s_movk_i32 s2, 0x7fff
	s_waitcnt vmcnt(1)
	v_mov_b32_e32 v7, 0x7fc0
	s_waitcnt vmcnt(0)
	v_cvt_f32_f16_e32 v6, v4
	v_cmp_o_f16_e32 vcc, v4, v4
	v_bfe_u32 v8, v6, 16, 1
	v_add3_u32 v6, v6, v8, s2
	v_lshrrev_b32_e32 v6, 16, v6
	v_cndmask_b32_e32 v4, v7, v6, vcc
.LBB30_1133:
	s_cbranch_execnz .LBB30_1152
.LBB30_1134:
	v_cmp_gt_i16_e32 vcc, 2, v3
	s_cbranch_vccnz .LBB30_1138
; %bb.1135:
	v_cmp_gt_i16_e32 vcc, 3, v3
	s_cbranch_vccnz .LBB30_1139
; %bb.1136:
	v_cmp_lt_i16_e32 vcc, 3, v3
	s_cbranch_vccz .LBB30_1140
; %bb.1137:
	global_load_dwordx2 v[6:7], v[0:1], off
	s_movk_i32 s2, 0x7fff
	s_waitcnt vmcnt(0)
	v_xor_b32_e32 v8, v6, v7
	v_ffbh_i32_e32 v4, v7
	v_ashrrev_i32_e32 v8, 31, v8
	v_add_u32_e32 v4, -1, v4
	v_add_u32_e32 v8, 32, v8
	v_min_u32_e32 v4, v4, v8
	v_lshlrev_b64 v[6:7], v4, v[6:7]
	v_min_u32_e32 v6, 1, v6
	v_or_b32_e32 v6, v7, v6
	v_cvt_f32_i32_e32 v6, v6
	v_sub_u32_e32 v4, 32, v4
	v_ldexp_f32 v4, v6, v4
	v_bfe_u32 v6, v4, 16, 1
	v_add3_u32 v4, v4, v6, s2
	v_lshrrev_b32_e32 v4, 16, v4
	s_mov_b64 s[2:3], 0
	s_branch .LBB30_1141
.LBB30_1138:
                                        ; implicit-def: $vgpr4
	s_branch .LBB30_1147
.LBB30_1139:
	s_mov_b64 s[2:3], -1
                                        ; implicit-def: $vgpr4
	s_branch .LBB30_1144
.LBB30_1140:
	s_mov_b64 s[2:3], -1
                                        ; implicit-def: $vgpr4
.LBB30_1141:
	s_andn2_b64 vcc, exec, s[2:3]
	s_cbranch_vccnz .LBB30_1143
; %bb.1142:
	global_load_dword v4, v[0:1], off
	s_movk_i32 s2, 0x7fff
	s_waitcnt vmcnt(0)
	v_cvt_f32_i32_e32 v4, v4
	v_bfe_u32 v6, v4, 16, 1
	v_add3_u32 v4, v4, v6, s2
	v_lshrrev_b32_e32 v4, 16, v4
.LBB30_1143:
	s_mov_b64 s[2:3], 0
.LBB30_1144:
	s_andn2_b64 vcc, exec, s[2:3]
	s_cbranch_vccnz .LBB30_1146
; %bb.1145:
	global_load_sshort v4, v[0:1], off
	s_movk_i32 s2, 0x7fff
	s_waitcnt vmcnt(0)
	v_cvt_f32_i32_e32 v4, v4
	v_bfe_u32 v6, v4, 16, 1
	v_add3_u32 v4, v4, v6, s2
	v_lshrrev_b32_e32 v4, 16, v4
.LBB30_1146:
	s_cbranch_execnz .LBB30_1152
.LBB30_1147:
	v_cmp_lt_i16_e32 vcc, 0, v3
	s_cbranch_vccz .LBB30_1149
; %bb.1148:
	global_load_sbyte v4, v[0:1], off
	s_movk_i32 s2, 0x7fff
	s_waitcnt vmcnt(0)
	v_cvt_f32_i32_e32 v4, v4
	v_bfe_u32 v6, v4, 16, 1
	v_add3_u32 v4, v4, v6, s2
	v_lshrrev_b32_e32 v4, 16, v4
	s_mov_b64 s[2:3], 0
	s_branch .LBB30_1150
.LBB30_1149:
	s_mov_b64 s[2:3], -1
                                        ; implicit-def: $vgpr4
.LBB30_1150:
	s_andn2_b64 vcc, exec, s[2:3]
	s_cbranch_vccnz .LBB30_1152
; %bb.1151:
	global_load_ubyte v0, v[0:1], off
	s_movk_i32 s2, 0x7fff
	s_waitcnt vmcnt(0)
	v_cvt_f32_ubyte0_e32 v0, v0
	v_bfe_u32 v1, v0, 16, 1
	v_add3_u32 v0, v0, v1, s2
	v_lshrrev_b32_e32 v4, 16, v0
.LBB30_1152:
.LBB30_1153:
	s_lshl_b32 s13, s13, 7
	v_add_u32_e32 v5, s13, v5
	v_ashrrev_i32_e32 v1, 31, v5
	s_waitcnt vmcnt(0)
	v_mov_b32_e32 v6, s11
	v_add_co_u32_e32 v0, vcc, s10, v5
	v_addc_co_u32_e32 v1, vcc, v6, v1, vcc
	s_and_b64 vcc, exec, s[0:1]
	s_cbranch_vccnz .LBB30_1160
; %bb.1154:
	v_cmp_lt_i16_e32 vcc, 25, v3
	s_mov_b64 s[18:19], 0
	s_cbranch_vccz .LBB30_1162
; %bb.1155:
	v_cmp_lt_i16_e32 vcc, 28, v3
	s_cbranch_vccz .LBB30_1163
; %bb.1156:
	v_cmp_lt_i16_e32 vcc, 43, v3
	s_cbranch_vccz .LBB30_1164
; %bb.1157:
	v_cmp_lt_i16_e32 vcc, 45, v3
	s_cbranch_vccz .LBB30_1166
; %bb.1158:
	v_cmp_eq_u16_e32 vcc, 46, v3
	s_mov_b64 s[22:23], 0
	s_cbranch_vccz .LBB30_1169
; %bb.1159:
	global_load_dword v6, v[0:1], off
	s_mov_b64 s[2:3], 0
	s_mov_b64 s[20:21], -1
	s_branch .LBB30_1170
.LBB30_1160:
	s_mov_b64 s[20:21], 0
                                        ; implicit-def: $vgpr6
	s_cbranch_execnz .LBB30_1235
.LBB30_1161:
	s_andn2_b64 vcc, exec, s[20:21]
	s_cbranch_vccnz .LBB30_1548
	s_branch .LBB30_1282
.LBB30_1162:
	s_mov_b64 s[20:21], 0
	s_mov_b64 s[2:3], 0
                                        ; implicit-def: $vgpr6
	s_cbranch_execnz .LBB30_1199
	s_branch .LBB30_1231
.LBB30_1163:
	s_mov_b64 s[22:23], -1
	s_mov_b64 s[20:21], 0
	s_mov_b64 s[2:3], 0
                                        ; implicit-def: $vgpr6
	s_branch .LBB30_1180
.LBB30_1164:
	s_mov_b64 s[22:23], -1
	s_mov_b64 s[20:21], 0
	s_mov_b64 s[2:3], 0
                                        ; implicit-def: $vgpr6
	s_branch .LBB30_1175
.LBB30_1165:
	s_or_b64 s[16:17], s[6:7], exec
	s_trap 2
                                        ; implicit-def: $vgpr4
	s_cbranch_execz .LBB30_1106
	s_branch .LBB30_1107
.LBB30_1166:
	s_mov_b64 s[22:23], -1
	s_mov_b64 s[20:21], 0
	s_mov_b64 s[2:3], 0
                                        ; implicit-def: $vgpr6
	s_branch .LBB30_1170
.LBB30_1167:
	s_or_saveexec_b64 s[26:27], s[26:27]
                                        ; implicit-def: $sgpr28
	s_xor_b64 exec, exec, s[26:27]
	s_cbranch_execz .LBB30_954
.LBB30_1168:
	s_mov_b32 s28, 0x42800000
	v_add_f32_e64 v5, |v7|, s28
	v_and_b32_e32 v5, 0xff, v5
	v_cmp_ne_u32_e32 vcc, 0, v5
	s_andn2_b64 s[24:25], s[24:25], exec
	s_and_b64 s[30:31], vcc, exec
	s_mov_b32 s28, 0
	s_or_b64 s[24:25], s[24:25], s[30:31]
	s_or_b64 exec, exec, s[26:27]
	v_mov_b32_e32 v8, s28
	s_and_saveexec_b64 s[26:27], s[24:25]
	s_cbranch_execnz .LBB30_955
	s_branch .LBB30_956
.LBB30_1169:
	s_mov_b64 s[2:3], -1
                                        ; implicit-def: $vgpr6
	s_mov_b64 s[20:21], 0
.LBB30_1170:
	s_and_b64 vcc, exec, s[22:23]
	s_cbranch_vccz .LBB30_1174
; %bb.1171:
	v_cmp_eq_u16_e32 vcc, 44, v3
	s_cbranch_vccz .LBB30_1173
; %bb.1172:
	global_load_ubyte v6, v[0:1], off
	s_movk_i32 s20, 0xff
	v_mov_b32_e32 v7, 0x7f800001
	v_mov_b32_e32 v8, 0x400000
	v_mov_b32_e32 v9, 0x7fc0
	s_mov_b64 s[2:3], 0
	s_waitcnt vmcnt(0)
	v_lshlrev_b32_e32 v10, 23, v6
	v_cmp_ne_u32_e32 vcc, s20, v6
	v_cndmask_b32_e32 v7, v7, v10, vcc
	v_cmp_ne_u32_e32 vcc, 0, v6
	v_cndmask_b32_e32 v6, v8, v7, vcc
	v_add_u32_e32 v7, 0x7fff, v6
	v_lshrrev_b32_e32 v7, 16, v7
	v_cmp_o_f32_e32 vcc, v6, v6
	v_cndmask_b32_e32 v6, v9, v7, vcc
	s_mov_b64 s[20:21], -1
	s_branch .LBB30_1174
.LBB30_1173:
	s_mov_b64 s[2:3], -1
                                        ; implicit-def: $vgpr6
.LBB30_1174:
	s_mov_b64 s[22:23], 0
.LBB30_1175:
	s_and_b64 vcc, exec, s[22:23]
	s_cbranch_vccz .LBB30_1179
; %bb.1176:
	v_cmp_eq_u16_e32 vcc, 29, v3
	s_cbranch_vccz .LBB30_1178
; %bb.1177:
	global_load_dwordx2 v[6:7], v[0:1], off
	s_movk_i32 s20, 0x7fff
	s_mov_b64 s[2:3], 0
	s_mov_b64 s[22:23], 0
	s_waitcnt vmcnt(0)
	v_ffbh_u32_e32 v8, v7
	v_min_u32_e32 v8, 32, v8
	v_lshlrev_b64 v[6:7], v8, v[6:7]
	v_min_u32_e32 v6, 1, v6
	v_or_b32_e32 v6, v7, v6
	v_cvt_f32_u32_e32 v6, v6
	v_sub_u32_e32 v7, 32, v8
	v_ldexp_f32 v6, v6, v7
	v_bfe_u32 v7, v6, 16, 1
	v_add3_u32 v6, v6, v7, s20
	v_lshrrev_b32_e32 v6, 16, v6
	s_mov_b64 s[20:21], -1
	s_branch .LBB30_1180
.LBB30_1178:
	s_mov_b64 s[2:3], -1
                                        ; implicit-def: $vgpr6
.LBB30_1179:
	s_mov_b64 s[22:23], 0
.LBB30_1180:
	s_and_b64 vcc, exec, s[22:23]
	s_cbranch_vccz .LBB30_1198
; %bb.1181:
	v_cmp_gt_i16_e32 vcc, 27, v3
	s_cbranch_vccnz .LBB30_1184
; %bb.1182:
	v_cmp_lt_i16_e32 vcc, 27, v3
	s_cbranch_vccz .LBB30_1185
; %bb.1183:
	global_load_dword v6, v[0:1], off
	s_movk_i32 s20, 0x7fff
	s_waitcnt vmcnt(0)
	v_cvt_f32_u32_e32 v6, v6
	v_bfe_u32 v7, v6, 16, 1
	v_add3_u32 v6, v6, v7, s20
	v_lshrrev_b32_e32 v6, 16, v6
	s_mov_b64 s[20:21], 0
	s_branch .LBB30_1186
.LBB30_1184:
	s_mov_b64 s[20:21], -1
                                        ; implicit-def: $vgpr6
	s_branch .LBB30_1189
.LBB30_1185:
	s_mov_b64 s[20:21], -1
                                        ; implicit-def: $vgpr6
.LBB30_1186:
	s_andn2_b64 vcc, exec, s[20:21]
	s_cbranch_vccnz .LBB30_1188
; %bb.1187:
	global_load_ushort v6, v[0:1], off
	s_movk_i32 s20, 0x7fff
	s_waitcnt vmcnt(0)
	v_cvt_f32_u32_e32 v6, v6
	v_bfe_u32 v7, v6, 16, 1
	v_add3_u32 v6, v6, v7, s20
	v_lshrrev_b32_e32 v6, 16, v6
.LBB30_1188:
	s_mov_b64 s[20:21], 0
.LBB30_1189:
	s_andn2_b64 vcc, exec, s[20:21]
	s_cbranch_vccnz .LBB30_1197
; %bb.1190:
	global_load_ubyte v6, v[0:1], off
	s_movk_i32 s20, 0x7f
                                        ; implicit-def: $sgpr26
	s_waitcnt vmcnt(0)
	v_cmp_lt_i16_e32 vcc, s20, v6
	s_mov_b64 s[20:21], 0
	s_and_saveexec_b64 s[22:23], vcc
	s_xor_b64 s[22:23], exec, s[22:23]
	s_cbranch_execz .LBB30_1210
; %bb.1191:
	s_movk_i32 s20, 0x80
	v_cmp_eq_u16_e32 vcc, s20, v6
	s_mov_b64 s[20:21], -1
                                        ; implicit-def: $sgpr26
	s_and_saveexec_b64 s[24:25], vcc
; %bb.1192:
	s_mov_b32 s26, 0x7f800001
	s_xor_b64 s[20:21], exec, -1
; %bb.1193:
	s_or_b64 exec, exec, s[24:25]
	s_and_b64 s[20:21], s[20:21], exec
	s_or_saveexec_b64 s[22:23], s[22:23]
	v_mov_b32_e32 v7, s26
	s_xor_b64 exec, exec, s[22:23]
	s_cbranch_execnz .LBB30_1211
.LBB30_1194:
	s_or_b64 exec, exec, s[22:23]
	s_and_saveexec_b64 s[22:23], s[20:21]
	s_cbranch_execz .LBB30_1196
.LBB30_1195:
	v_lshlrev_b32_e32 v7, 24, v6
	v_and_b32_e32 v6, 0xffff, v6
	v_and_b32_e32 v8, 7, v6
	v_ffbh_u32_e32 v10, v8
	v_min_u32_e32 v10, 32, v10
	v_subrev_u32_e32 v11, 28, v10
	v_bfe_u32 v9, v6, 3, 4
	v_lshlrev_b32_e32 v6, v11, v6
	v_sub_u32_e32 v10, 29, v10
	v_and_b32_e32 v6, 7, v6
	v_cmp_eq_u32_e32 vcc, 0, v9
	v_cndmask_b32_e32 v9, v9, v10, vcc
	v_cndmask_b32_e32 v6, v8, v6, vcc
	v_mov_b32_e32 v8, 0x3b800000
	v_lshlrev_b32_e32 v6, 20, v6
	v_and_b32_e32 v7, 0x80000000, v7
	v_lshl_add_u32 v8, v9, 23, v8
	v_or3_b32 v7, v7, v8, v6
.LBB30_1196:
	s_or_b64 exec, exec, s[22:23]
	v_bfe_u32 v6, v7, 16, 1
	s_movk_i32 s20, 0x7fff
	v_add3_u32 v6, v7, v6, s20
	v_lshrrev_b32_e32 v6, 16, v6
	v_mov_b32_e32 v8, 0x7fc0
	v_cmp_o_f32_e32 vcc, v7, v7
	v_cndmask_b32_e32 v6, v8, v6, vcc
.LBB30_1197:
	s_mov_b64 s[20:21], -1
.LBB30_1198:
	s_branch .LBB30_1231
.LBB30_1199:
	v_cmp_lt_i16_e32 vcc, 22, v3
	s_cbranch_vccz .LBB30_1209
; %bb.1200:
	v_cmp_gt_i16_e32 vcc, 24, v3
	s_cbranch_vccnz .LBB30_1212
; %bb.1201:
	v_cmp_lt_i16_e32 vcc, 24, v3
	s_cbranch_vccz .LBB30_1213
; %bb.1202:
	global_load_ubyte v6, v[0:1], off
	s_movk_i32 s18, 0x7f
                                        ; implicit-def: $sgpr24
	s_waitcnt vmcnt(0)
	v_cmp_lt_i16_e32 vcc, s18, v6
	s_mov_b64 s[18:19], 0
	s_and_saveexec_b64 s[20:21], vcc
	s_xor_b64 s[20:21], exec, s[20:21]
	s_cbranch_execz .LBB30_1225
; %bb.1203:
	s_movk_i32 s18, 0x80
	v_cmp_eq_u16_e32 vcc, s18, v6
	s_mov_b64 s[18:19], -1
                                        ; implicit-def: $sgpr24
	s_and_saveexec_b64 s[22:23], vcc
; %bb.1204:
	s_mov_b32 s24, 0x7f800001
	s_xor_b64 s[18:19], exec, -1
; %bb.1205:
	s_or_b64 exec, exec, s[22:23]
	s_and_b64 s[18:19], s[18:19], exec
	s_or_saveexec_b64 s[20:21], s[20:21]
	v_mov_b32_e32 v7, s24
	s_xor_b64 exec, exec, s[20:21]
	s_cbranch_execnz .LBB30_1226
.LBB30_1206:
	s_or_b64 exec, exec, s[20:21]
	s_and_saveexec_b64 s[20:21], s[18:19]
	s_cbranch_execz .LBB30_1208
.LBB30_1207:
	v_lshlrev_b32_e32 v7, 24, v6
	v_and_b32_e32 v6, 0xffff, v6
	v_and_b32_e32 v8, 3, v6
	v_ffbh_u32_e32 v10, v8
	v_min_u32_e32 v10, 32, v10
	v_subrev_u32_e32 v11, 29, v10
	v_bfe_u32 v9, v6, 2, 5
	v_lshlrev_b32_e32 v6, v11, v6
	v_sub_u32_e32 v10, 30, v10
	v_and_b32_e32 v6, 3, v6
	v_cmp_eq_u32_e32 vcc, 0, v9
	v_cndmask_b32_e32 v9, v9, v10, vcc
	v_cndmask_b32_e32 v6, v8, v6, vcc
	v_mov_b32_e32 v8, 0x37800000
	v_lshlrev_b32_e32 v6, 21, v6
	v_and_b32_e32 v7, 0x80000000, v7
	v_lshl_add_u32 v8, v9, 23, v8
	v_or3_b32 v7, v7, v8, v6
.LBB30_1208:
	s_or_b64 exec, exec, s[20:21]
	v_bfe_u32 v6, v7, 16, 1
	s_movk_i32 s18, 0x7fff
	v_add3_u32 v6, v7, v6, s18
	v_lshrrev_b32_e32 v6, 16, v6
	v_mov_b32_e32 v8, 0x7fc0
	v_cmp_o_f32_e32 vcc, v7, v7
	v_cndmask_b32_e32 v6, v8, v6, vcc
	s_mov_b64 s[18:19], 0
	s_branch .LBB30_1214
.LBB30_1209:
	s_mov_b64 s[18:19], -1
                                        ; implicit-def: $vgpr6
	s_branch .LBB30_1220
.LBB30_1210:
	s_or_saveexec_b64 s[22:23], s[22:23]
	v_mov_b32_e32 v7, s26
	s_xor_b64 exec, exec, s[22:23]
	s_cbranch_execz .LBB30_1194
.LBB30_1211:
	v_cmp_ne_u16_e32 vcc, 0, v6
	s_andn2_b64 s[20:21], s[20:21], exec
	s_and_b64 s[24:25], vcc, exec
	v_mov_b32_e32 v7, 0
	s_or_b64 s[20:21], s[20:21], s[24:25]
	s_or_b64 exec, exec, s[22:23]
	s_and_saveexec_b64 s[22:23], s[20:21]
	s_cbranch_execnz .LBB30_1195
	s_branch .LBB30_1196
.LBB30_1212:
	s_mov_b64 s[18:19], -1
                                        ; implicit-def: $vgpr6
	s_branch .LBB30_1217
.LBB30_1213:
	s_mov_b64 s[18:19], -1
                                        ; implicit-def: $vgpr6
.LBB30_1214:
	s_and_b64 vcc, exec, s[18:19]
	s_cbranch_vccz .LBB30_1216
; %bb.1215:
	global_load_ubyte v6, v[0:1], off
	s_mov_b32 s18, 0x7f800000
	s_brev_b32 s19, 1
	s_movk_i32 s20, 0x7fff
	v_mov_b32_e32 v7, 0x7fc0
	s_waitcnt vmcnt(0)
	v_lshlrev_b32_e32 v6, 24, v6
	v_and_b32_e32 v8, 0x7f000000, v6
	v_ffbh_u32_e32 v9, v8
	v_min_u32_e32 v9, 32, v9
	v_sub_u32_e64 v9, v9, 4 clamp
	v_lshlrev_b32_e32 v11, v9, v8
	v_lshlrev_b32_e32 v9, 23, v9
	v_lshrrev_b32_e32 v11, 4, v11
	v_add_u32_e32 v10, 0x1000000, v8
	v_sub_u32_e32 v9, v11, v9
	v_ashrrev_i32_e32 v10, 8, v10
	v_add_u32_e32 v9, 0x3c000000, v9
	v_and_or_b32 v9, v10, s18, v9
	v_cmp_ne_u32_e32 vcc, 0, v8
	v_cndmask_b32_e32 v8, 0, v9, vcc
	v_and_or_b32 v6, v6, s19, v8
	v_bfe_u32 v8, v8, 16, 1
	v_add3_u32 v8, v6, v8, s20
	v_lshrrev_b32_e32 v8, 16, v8
	v_cmp_o_f32_e32 vcc, v6, v6
	v_cndmask_b32_e32 v6, v7, v8, vcc
.LBB30_1216:
	s_mov_b64 s[18:19], 0
.LBB30_1217:
	s_andn2_b64 vcc, exec, s[18:19]
	s_cbranch_vccnz .LBB30_1219
; %bb.1218:
	global_load_ubyte v6, v[0:1], off
	s_movk_i32 s18, 0x7f00
	s_brev_b32 s19, 16
	s_brev_b32 s20, 1
	s_movk_i32 s21, 0x7fff
	v_mov_b32_e32 v7, 0x7fc0
	s_waitcnt vmcnt(0)
	v_lshlrev_b16_e32 v8, 8, v6
	v_lshlrev_b32_e32 v6, 25, v6
	v_lshrrev_b32_e32 v9, 4, v6
	v_and_or_b32 v10, v8, s18, 0.5
	v_or_b32_e32 v9, 0x70000000, v9
	v_add_f32_e32 v10, -0.5, v10
	v_mul_f32_e32 v9, 0x7800000, v9
	v_cmp_gt_u32_e32 vcc, s19, v6
	v_bfe_i32 v8, v8, 0, 16
	v_cndmask_b32_e32 v6, v9, v10, vcc
	v_and_or_b32 v8, v8, s20, v6
	v_bfe_u32 v6, v6, 16, 1
	v_add3_u32 v6, v8, v6, s21
	v_lshrrev_b32_e32 v6, 16, v6
	v_cmp_o_f32_e32 vcc, v8, v8
	v_cndmask_b32_e32 v6, v7, v6, vcc
.LBB30_1219:
	s_mov_b64 s[18:19], 0
	s_mov_b64 s[20:21], -1
.LBB30_1220:
	s_andn2_b64 vcc, exec, s[18:19]
	s_mov_b64 s[18:19], 0
	s_cbranch_vccnz .LBB30_1231
; %bb.1221:
	v_cmp_lt_i16_e32 vcc, 14, v3
	s_cbranch_vccz .LBB30_1224
; %bb.1222:
	v_cmp_eq_u16_e32 vcc, 15, v3
	s_cbranch_vccz .LBB30_1227
; %bb.1223:
	global_load_ushort v6, v[0:1], off
	s_mov_b64 s[2:3], 0
	s_mov_b64 s[20:21], -1
	s_branch .LBB30_1228
.LBB30_1224:
	s_mov_b64 s[22:23], -1
                                        ; implicit-def: $vgpr6
	s_branch .LBB30_1229
.LBB30_1225:
	s_or_saveexec_b64 s[20:21], s[20:21]
	v_mov_b32_e32 v7, s24
	s_xor_b64 exec, exec, s[20:21]
	s_cbranch_execz .LBB30_1206
.LBB30_1226:
	v_cmp_ne_u16_e32 vcc, 0, v6
	s_andn2_b64 s[18:19], s[18:19], exec
	s_and_b64 s[22:23], vcc, exec
	v_mov_b32_e32 v7, 0
	s_or_b64 s[18:19], s[18:19], s[22:23]
	s_or_b64 exec, exec, s[20:21]
	s_and_saveexec_b64 s[20:21], s[18:19]
	s_cbranch_execnz .LBB30_1207
	s_branch .LBB30_1208
.LBB30_1227:
	s_mov_b64 s[2:3], -1
                                        ; implicit-def: $vgpr6
.LBB30_1228:
	s_mov_b64 s[22:23], 0
.LBB30_1229:
	s_and_b64 vcc, exec, s[22:23]
	s_cbranch_vccz .LBB30_1231
; %bb.1230:
	v_cmp_ne_u16_e64 s[2:3], 11, v3
	s_mov_b64 s[18:19], -1
                                        ; implicit-def: $vgpr6
.LBB30_1231:
	s_and_b64 vcc, exec, s[2:3]
	s_cbranch_vccnz .LBB30_1294
; %bb.1232:
	s_andn2_b64 vcc, exec, s[18:19]
	s_cbranch_vccnz .LBB30_1234
.LBB30_1233:
	global_load_ubyte v6, v[0:1], off
	s_mov_b64 s[20:21], -1
	s_waitcnt vmcnt(0)
	v_cmp_ne_u16_e32 vcc, 0, v6
	v_cndmask_b32_e64 v6, 0, 1.0, vcc
	v_lshrrev_b32_e32 v6, 16, v6
.LBB30_1234:
	s_branch .LBB30_1161
.LBB30_1235:
	v_cmp_gt_i16_e32 vcc, 5, v3
	s_cbranch_vccnz .LBB30_1240
; %bb.1236:
	v_cmp_gt_i16_e32 vcc, 8, v3
	s_cbranch_vccnz .LBB30_1241
; %bb.1237:
	;; [unrolled: 3-line block ×3, first 2 shown]
	v_cmp_lt_i16_e32 vcc, 9, v3
	s_cbranch_vccz .LBB30_1243
; %bb.1239:
	global_load_dwordx2 v[6:7], v[0:1], off
	s_movk_i32 s2, 0x7fff
	v_mov_b32_e32 v8, 0x7fc0
	s_waitcnt vmcnt(0)
	v_cvt_f32_f64_e32 v6, v[6:7]
	v_bfe_u32 v7, v6, 16, 1
	v_add3_u32 v7, v6, v7, s2
	v_lshrrev_b32_e32 v7, 16, v7
	v_cmp_o_f32_e32 vcc, v6, v6
	v_cndmask_b32_e32 v6, v8, v7, vcc
	s_mov_b64 s[2:3], 0
	s_branch .LBB30_1244
.LBB30_1240:
                                        ; implicit-def: $vgpr6
	s_branch .LBB30_1262
.LBB30_1241:
	s_mov_b64 s[2:3], -1
                                        ; implicit-def: $vgpr6
	s_branch .LBB30_1250
.LBB30_1242:
	s_mov_b64 s[2:3], -1
                                        ; implicit-def: $vgpr6
	s_branch .LBB30_1247
.LBB30_1243:
	s_mov_b64 s[2:3], -1
                                        ; implicit-def: $vgpr6
.LBB30_1244:
	s_andn2_b64 vcc, exec, s[2:3]
	s_cbranch_vccnz .LBB30_1246
; %bb.1245:
	global_load_dword v6, v[0:1], off
	s_movk_i32 s2, 0x7fff
	v_mov_b32_e32 v7, 0x7fc0
	s_waitcnt vmcnt(0)
	v_bfe_u32 v8, v6, 16, 1
	v_add3_u32 v8, v6, v8, s2
	v_lshrrev_b32_e32 v8, 16, v8
	v_cmp_o_f32_e32 vcc, v6, v6
	v_cndmask_b32_e32 v6, v7, v8, vcc
.LBB30_1246:
	s_mov_b64 s[2:3], 0
.LBB30_1247:
	s_andn2_b64 vcc, exec, s[2:3]
	s_cbranch_vccnz .LBB30_1249
; %bb.1248:
	global_load_dword v6, v[0:1], off
	s_movk_i32 s2, 0x7fff
	v_mov_b32_e32 v8, 0x7fc0
	s_waitcnt vmcnt(0)
	v_cvt_f32_f16_e32 v7, v6
	v_cmp_o_f16_e32 vcc, v6, v6
	v_bfe_u32 v9, v7, 16, 1
	v_add3_u32 v7, v7, v9, s2
	v_lshrrev_b32_e32 v7, 16, v7
	v_cndmask_b32_e32 v6, v8, v7, vcc
.LBB30_1249:
	s_mov_b64 s[2:3], 0
.LBB30_1250:
	s_andn2_b64 vcc, exec, s[2:3]
	s_cbranch_vccnz .LBB30_1261
; %bb.1251:
	v_cmp_gt_i16_e32 vcc, 6, v3
	s_cbranch_vccnz .LBB30_1254
; %bb.1252:
	v_cmp_lt_i16_e32 vcc, 6, v3
	s_cbranch_vccz .LBB30_1255
; %bb.1253:
	global_load_dwordx2 v[6:7], v[0:1], off
	s_movk_i32 s2, 0x7fff
	v_mov_b32_e32 v8, 0x7fc0
	s_waitcnt vmcnt(0)
	v_cvt_f32_f64_e32 v6, v[6:7]
	v_bfe_u32 v7, v6, 16, 1
	v_add3_u32 v7, v6, v7, s2
	v_lshrrev_b32_e32 v7, 16, v7
	v_cmp_o_f32_e32 vcc, v6, v6
	v_cndmask_b32_e32 v6, v8, v7, vcc
	s_mov_b64 s[2:3], 0
	s_branch .LBB30_1256
.LBB30_1254:
	s_mov_b64 s[2:3], -1
                                        ; implicit-def: $vgpr6
	s_branch .LBB30_1259
.LBB30_1255:
	s_mov_b64 s[2:3], -1
                                        ; implicit-def: $vgpr6
.LBB30_1256:
	s_andn2_b64 vcc, exec, s[2:3]
	s_cbranch_vccnz .LBB30_1258
; %bb.1257:
	global_load_dword v6, v[0:1], off
	s_movk_i32 s2, 0x7fff
	v_mov_b32_e32 v7, 0x7fc0
	s_waitcnt vmcnt(0)
	v_bfe_u32 v8, v6, 16, 1
	v_add3_u32 v8, v6, v8, s2
	v_lshrrev_b32_e32 v8, 16, v8
	v_cmp_o_f32_e32 vcc, v6, v6
	v_cndmask_b32_e32 v6, v7, v8, vcc
.LBB30_1258:
	s_mov_b64 s[2:3], 0
.LBB30_1259:
	s_andn2_b64 vcc, exec, s[2:3]
	s_cbranch_vccnz .LBB30_1261
; %bb.1260:
	global_load_ushort v6, v[0:1], off
	s_movk_i32 s2, 0x7fff
	v_mov_b32_e32 v8, 0x7fc0
	s_waitcnt vmcnt(0)
	v_cvt_f32_f16_e32 v7, v6
	v_cmp_o_f16_e32 vcc, v6, v6
	v_bfe_u32 v9, v7, 16, 1
	v_add3_u32 v7, v7, v9, s2
	v_lshrrev_b32_e32 v7, 16, v7
	v_cndmask_b32_e32 v6, v8, v7, vcc
.LBB30_1261:
	s_cbranch_execnz .LBB30_1281
.LBB30_1262:
	v_cmp_gt_i16_e32 vcc, 2, v3
	s_cbranch_vccnz .LBB30_1266
; %bb.1263:
	v_cmp_gt_i16_e32 vcc, 3, v3
	s_cbranch_vccnz .LBB30_1267
; %bb.1264:
	v_cmp_lt_i16_e32 vcc, 3, v3
	s_cbranch_vccz .LBB30_1268
; %bb.1265:
	global_load_dwordx2 v[6:7], v[0:1], off
	s_movk_i32 s2, 0x7fff
	s_waitcnt vmcnt(0)
	v_xor_b32_e32 v9, v6, v7
	v_ffbh_i32_e32 v8, v7
	v_ashrrev_i32_e32 v9, 31, v9
	v_add_u32_e32 v8, -1, v8
	v_add_u32_e32 v9, 32, v9
	v_min_u32_e32 v8, v8, v9
	v_lshlrev_b64 v[6:7], v8, v[6:7]
	v_min_u32_e32 v6, 1, v6
	v_or_b32_e32 v6, v7, v6
	v_cvt_f32_i32_e32 v6, v6
	v_sub_u32_e32 v7, 32, v8
	v_ldexp_f32 v6, v6, v7
	v_bfe_u32 v7, v6, 16, 1
	v_add3_u32 v6, v6, v7, s2
	v_lshrrev_b32_e32 v6, 16, v6
	s_mov_b64 s[2:3], 0
	s_branch .LBB30_1269
.LBB30_1266:
	s_mov_b64 s[2:3], -1
                                        ; implicit-def: $vgpr6
	s_branch .LBB30_1275
.LBB30_1267:
	s_mov_b64 s[2:3], -1
                                        ; implicit-def: $vgpr6
	s_branch .LBB30_1272
.LBB30_1268:
	s_mov_b64 s[2:3], -1
                                        ; implicit-def: $vgpr6
.LBB30_1269:
	s_andn2_b64 vcc, exec, s[2:3]
	s_cbranch_vccnz .LBB30_1271
; %bb.1270:
	global_load_dword v6, v[0:1], off
	s_movk_i32 s2, 0x7fff
	s_waitcnt vmcnt(0)
	v_cvt_f32_i32_e32 v6, v6
	v_bfe_u32 v7, v6, 16, 1
	v_add3_u32 v6, v6, v7, s2
	v_lshrrev_b32_e32 v6, 16, v6
.LBB30_1271:
	s_mov_b64 s[2:3], 0
.LBB30_1272:
	s_andn2_b64 vcc, exec, s[2:3]
	s_cbranch_vccnz .LBB30_1274
; %bb.1273:
	global_load_sshort v6, v[0:1], off
	s_movk_i32 s2, 0x7fff
	s_waitcnt vmcnt(0)
	v_cvt_f32_i32_e32 v6, v6
	v_bfe_u32 v7, v6, 16, 1
	v_add3_u32 v6, v6, v7, s2
	v_lshrrev_b32_e32 v6, 16, v6
.LBB30_1274:
	s_mov_b64 s[2:3], 0
.LBB30_1275:
	s_andn2_b64 vcc, exec, s[2:3]
	s_cbranch_vccnz .LBB30_1281
; %bb.1276:
	v_cmp_lt_i16_e32 vcc, 0, v3
	s_cbranch_vccz .LBB30_1278
; %bb.1277:
	global_load_sbyte v6, v[0:1], off
	s_movk_i32 s2, 0x7fff
	s_waitcnt vmcnt(0)
	v_cvt_f32_i32_e32 v6, v6
	v_bfe_u32 v7, v6, 16, 1
	v_add3_u32 v6, v6, v7, s2
	v_lshrrev_b32_e32 v6, 16, v6
	s_mov_b64 s[2:3], 0
	s_branch .LBB30_1279
.LBB30_1278:
	s_mov_b64 s[2:3], -1
                                        ; implicit-def: $vgpr6
.LBB30_1279:
	s_andn2_b64 vcc, exec, s[2:3]
	s_cbranch_vccnz .LBB30_1281
; %bb.1280:
	global_load_ubyte v0, v[0:1], off
	s_movk_i32 s2, 0x7fff
	s_waitcnt vmcnt(0)
	v_cvt_f32_ubyte0_e32 v0, v0
	v_bfe_u32 v1, v0, 16, 1
	v_add3_u32 v0, v0, v1, s2
	v_lshrrev_b32_e32 v6, 16, v0
.LBB30_1281:
.LBB30_1282:
	v_add_u32_e32 v5, s13, v5
	v_ashrrev_i32_e32 v1, 31, v5
	v_mov_b32_e32 v7, s11
	v_add_co_u32_e32 v0, vcc, s10, v5
	v_addc_co_u32_e32 v1, vcc, v7, v1, vcc
	s_and_b64 vcc, exec, s[0:1]
	s_cbranch_vccnz .LBB30_1289
; %bb.1283:
	v_cmp_lt_i16_e32 vcc, 25, v3
	s_mov_b64 s[18:19], 0
	s_cbranch_vccz .LBB30_1291
; %bb.1284:
	v_cmp_lt_i16_e32 vcc, 28, v3
	s_cbranch_vccz .LBB30_1292
; %bb.1285:
	v_cmp_lt_i16_e32 vcc, 43, v3
	;; [unrolled: 3-line block ×3, first 2 shown]
	s_cbranch_vccz .LBB30_1295
; %bb.1287:
	v_cmp_eq_u16_e32 vcc, 46, v3
	s_mov_b64 s[22:23], 0
	s_cbranch_vccz .LBB30_1296
; %bb.1288:
	global_load_dword v7, v[0:1], off
	s_mov_b64 s[2:3], 0
	s_mov_b64 s[20:21], -1
	s_branch .LBB30_1297
.LBB30_1289:
	s_mov_b64 s[20:21], 0
                                        ; implicit-def: $vgpr7
	s_cbranch_execnz .LBB30_1363
.LBB30_1290:
	s_andn2_b64 vcc, exec, s[20:21]
	s_cbranch_vccnz .LBB30_1548
	s_branch .LBB30_1411
.LBB30_1291:
	s_mov_b64 s[22:23], -1
	s_mov_b64 s[20:21], 0
	s_mov_b64 s[2:3], 0
                                        ; implicit-def: $vgpr7
	s_branch .LBB30_1326
.LBB30_1292:
	s_mov_b64 s[22:23], -1
	s_mov_b64 s[20:21], 0
	s_mov_b64 s[2:3], 0
                                        ; implicit-def: $vgpr7
	s_branch .LBB30_1307
.LBB30_1293:
	s_mov_b64 s[22:23], -1
	s_mov_b64 s[20:21], 0
	s_mov_b64 s[2:3], 0
                                        ; implicit-def: $vgpr7
	s_branch .LBB30_1302
.LBB30_1294:
	s_trap 2
	s_or_b64 s[16:17], s[16:17], exec
                                        ; implicit-def: $vgpr6
	s_cbranch_execz .LBB30_1233
	s_branch .LBB30_1234
.LBB30_1295:
	s_mov_b64 s[22:23], -1
	s_mov_b64 s[20:21], 0
	s_mov_b64 s[2:3], 0
                                        ; implicit-def: $vgpr7
	s_branch .LBB30_1297
.LBB30_1296:
	s_mov_b64 s[2:3], -1
                                        ; implicit-def: $vgpr7
	s_mov_b64 s[20:21], 0
.LBB30_1297:
	s_and_b64 vcc, exec, s[22:23]
	s_cbranch_vccz .LBB30_1301
; %bb.1298:
	v_cmp_eq_u16_e32 vcc, 44, v3
	s_cbranch_vccz .LBB30_1300
; %bb.1299:
	global_load_ubyte v7, v[0:1], off
	s_movk_i32 s20, 0xff
	v_mov_b32_e32 v8, 0x7f800001
	v_mov_b32_e32 v9, 0x400000
	;; [unrolled: 1-line block ×3, first 2 shown]
	s_mov_b64 s[2:3], 0
	s_waitcnt vmcnt(0)
	v_lshlrev_b32_e32 v11, 23, v7
	v_cmp_ne_u32_e32 vcc, s20, v7
	v_cndmask_b32_e32 v8, v8, v11, vcc
	v_cmp_ne_u32_e32 vcc, 0, v7
	v_cndmask_b32_e32 v7, v9, v8, vcc
	v_add_u32_e32 v8, 0x7fff, v7
	v_lshrrev_b32_e32 v8, 16, v8
	v_cmp_o_f32_e32 vcc, v7, v7
	v_cndmask_b32_e32 v7, v10, v8, vcc
	s_mov_b64 s[20:21], -1
	s_branch .LBB30_1301
.LBB30_1300:
	s_mov_b64 s[2:3], -1
                                        ; implicit-def: $vgpr7
.LBB30_1301:
	s_mov_b64 s[22:23], 0
.LBB30_1302:
	s_and_b64 vcc, exec, s[22:23]
	s_cbranch_vccz .LBB30_1306
; %bb.1303:
	v_cmp_eq_u16_e32 vcc, 29, v3
	s_cbranch_vccz .LBB30_1305
; %bb.1304:
	global_load_dwordx2 v[8:9], v[0:1], off
	s_movk_i32 s20, 0x7fff
	s_mov_b64 s[2:3], 0
	s_mov_b64 s[22:23], 0
	s_waitcnt vmcnt(0)
	v_ffbh_u32_e32 v7, v9
	v_min_u32_e32 v7, 32, v7
	v_lshlrev_b64 v[8:9], v7, v[8:9]
	v_min_u32_e32 v8, 1, v8
	v_or_b32_e32 v8, v9, v8
	v_cvt_f32_u32_e32 v8, v8
	v_sub_u32_e32 v7, 32, v7
	v_ldexp_f32 v7, v8, v7
	v_bfe_u32 v8, v7, 16, 1
	v_add3_u32 v7, v7, v8, s20
	v_lshrrev_b32_e32 v7, 16, v7
	s_mov_b64 s[20:21], -1
	s_branch .LBB30_1307
.LBB30_1305:
	s_mov_b64 s[2:3], -1
                                        ; implicit-def: $vgpr7
.LBB30_1306:
	s_mov_b64 s[22:23], 0
.LBB30_1307:
	s_and_b64 vcc, exec, s[22:23]
	s_cbranch_vccz .LBB30_1325
; %bb.1308:
	v_cmp_gt_i16_e32 vcc, 27, v3
	s_cbranch_vccnz .LBB30_1311
; %bb.1309:
	v_cmp_lt_i16_e32 vcc, 27, v3
	s_cbranch_vccz .LBB30_1312
; %bb.1310:
	global_load_dword v7, v[0:1], off
	s_movk_i32 s20, 0x7fff
	s_waitcnt vmcnt(0)
	v_cvt_f32_u32_e32 v7, v7
	v_bfe_u32 v8, v7, 16, 1
	v_add3_u32 v7, v7, v8, s20
	v_lshrrev_b32_e32 v7, 16, v7
	s_mov_b64 s[20:21], 0
	s_branch .LBB30_1313
.LBB30_1311:
	s_mov_b64 s[20:21], -1
                                        ; implicit-def: $vgpr7
	s_branch .LBB30_1316
.LBB30_1312:
	s_mov_b64 s[20:21], -1
                                        ; implicit-def: $vgpr7
.LBB30_1313:
	s_andn2_b64 vcc, exec, s[20:21]
	s_cbranch_vccnz .LBB30_1315
; %bb.1314:
	global_load_ushort v7, v[0:1], off
	s_movk_i32 s20, 0x7fff
	s_waitcnt vmcnt(0)
	v_cvt_f32_u32_e32 v7, v7
	v_bfe_u32 v8, v7, 16, 1
	v_add3_u32 v7, v7, v8, s20
	v_lshrrev_b32_e32 v7, 16, v7
.LBB30_1315:
	s_mov_b64 s[20:21], 0
.LBB30_1316:
	s_andn2_b64 vcc, exec, s[20:21]
	s_cbranch_vccnz .LBB30_1324
; %bb.1317:
	global_load_ubyte v7, v[0:1], off
	s_movk_i32 s20, 0x7f
                                        ; implicit-def: $sgpr26
	s_waitcnt vmcnt(0)
	v_cmp_lt_i16_e32 vcc, s20, v7
	s_mov_b64 s[20:21], 0
	s_and_saveexec_b64 s[22:23], vcc
	s_xor_b64 s[22:23], exec, s[22:23]
	s_cbranch_execz .LBB30_1338
; %bb.1318:
	s_movk_i32 s20, 0x80
	v_cmp_eq_u16_e32 vcc, s20, v7
	s_mov_b64 s[20:21], -1
                                        ; implicit-def: $sgpr26
	s_and_saveexec_b64 s[24:25], vcc
; %bb.1319:
	s_mov_b32 s26, 0x7f800001
	s_xor_b64 s[20:21], exec, -1
; %bb.1320:
	s_or_b64 exec, exec, s[24:25]
	s_and_b64 s[20:21], s[20:21], exec
	s_or_saveexec_b64 s[22:23], s[22:23]
	v_mov_b32_e32 v8, s26
	s_xor_b64 exec, exec, s[22:23]
	s_cbranch_execnz .LBB30_1339
.LBB30_1321:
	s_or_b64 exec, exec, s[22:23]
	s_and_saveexec_b64 s[22:23], s[20:21]
	s_cbranch_execz .LBB30_1323
.LBB30_1322:
	v_lshlrev_b32_e32 v8, 24, v7
	v_and_b32_e32 v7, 0xffff, v7
	v_and_b32_e32 v9, 7, v7
	v_ffbh_u32_e32 v11, v9
	v_min_u32_e32 v11, 32, v11
	v_subrev_u32_e32 v12, 28, v11
	v_bfe_u32 v10, v7, 3, 4
	v_lshlrev_b32_e32 v7, v12, v7
	v_sub_u32_e32 v11, 29, v11
	v_and_b32_e32 v7, 7, v7
	v_cmp_eq_u32_e32 vcc, 0, v10
	v_cndmask_b32_e32 v10, v10, v11, vcc
	v_cndmask_b32_e32 v7, v9, v7, vcc
	v_mov_b32_e32 v9, 0x3b800000
	v_lshlrev_b32_e32 v7, 20, v7
	v_and_b32_e32 v8, 0x80000000, v8
	v_lshl_add_u32 v9, v10, 23, v9
	v_or3_b32 v8, v8, v9, v7
.LBB30_1323:
	s_or_b64 exec, exec, s[22:23]
	v_bfe_u32 v7, v8, 16, 1
	s_movk_i32 s20, 0x7fff
	v_add3_u32 v7, v8, v7, s20
	v_lshrrev_b32_e32 v7, 16, v7
	v_mov_b32_e32 v9, 0x7fc0
	v_cmp_o_f32_e32 vcc, v8, v8
	v_cndmask_b32_e32 v7, v9, v7, vcc
.LBB30_1324:
	s_mov_b64 s[20:21], -1
.LBB30_1325:
	s_mov_b64 s[22:23], 0
.LBB30_1326:
	s_and_b64 vcc, exec, s[22:23]
	s_cbranch_vccz .LBB30_1359
; %bb.1327:
	v_cmp_lt_i16_e32 vcc, 22, v3
	s_cbranch_vccz .LBB30_1337
; %bb.1328:
	v_cmp_gt_i16_e32 vcc, 24, v3
	s_cbranch_vccnz .LBB30_1340
; %bb.1329:
	v_cmp_lt_i16_e32 vcc, 24, v3
	s_cbranch_vccz .LBB30_1341
; %bb.1330:
	global_load_ubyte v7, v[0:1], off
	s_movk_i32 s18, 0x7f
                                        ; implicit-def: $sgpr24
	s_waitcnt vmcnt(0)
	v_cmp_lt_i16_e32 vcc, s18, v7
	s_mov_b64 s[18:19], 0
	s_and_saveexec_b64 s[20:21], vcc
	s_xor_b64 s[20:21], exec, s[20:21]
	s_cbranch_execz .LBB30_1353
; %bb.1331:
	s_movk_i32 s18, 0x80
	v_cmp_eq_u16_e32 vcc, s18, v7
	s_mov_b64 s[18:19], -1
                                        ; implicit-def: $sgpr24
	s_and_saveexec_b64 s[22:23], vcc
; %bb.1332:
	s_mov_b32 s24, 0x7f800001
	s_xor_b64 s[18:19], exec, -1
; %bb.1333:
	s_or_b64 exec, exec, s[22:23]
	s_and_b64 s[18:19], s[18:19], exec
	s_or_saveexec_b64 s[20:21], s[20:21]
	v_mov_b32_e32 v8, s24
	s_xor_b64 exec, exec, s[20:21]
	s_cbranch_execnz .LBB30_1354
.LBB30_1334:
	s_or_b64 exec, exec, s[20:21]
	s_and_saveexec_b64 s[20:21], s[18:19]
	s_cbranch_execz .LBB30_1336
.LBB30_1335:
	v_lshlrev_b32_e32 v8, 24, v7
	v_and_b32_e32 v7, 0xffff, v7
	v_and_b32_e32 v9, 3, v7
	v_ffbh_u32_e32 v11, v9
	v_min_u32_e32 v11, 32, v11
	v_subrev_u32_e32 v12, 29, v11
	v_bfe_u32 v10, v7, 2, 5
	v_lshlrev_b32_e32 v7, v12, v7
	v_sub_u32_e32 v11, 30, v11
	v_and_b32_e32 v7, 3, v7
	v_cmp_eq_u32_e32 vcc, 0, v10
	v_cndmask_b32_e32 v10, v10, v11, vcc
	v_cndmask_b32_e32 v7, v9, v7, vcc
	v_mov_b32_e32 v9, 0x37800000
	v_lshlrev_b32_e32 v7, 21, v7
	v_and_b32_e32 v8, 0x80000000, v8
	v_lshl_add_u32 v9, v10, 23, v9
	v_or3_b32 v8, v8, v9, v7
.LBB30_1336:
	s_or_b64 exec, exec, s[20:21]
	v_bfe_u32 v7, v8, 16, 1
	s_movk_i32 s18, 0x7fff
	v_add3_u32 v7, v8, v7, s18
	v_lshrrev_b32_e32 v7, 16, v7
	v_mov_b32_e32 v9, 0x7fc0
	v_cmp_o_f32_e32 vcc, v8, v8
	v_cndmask_b32_e32 v7, v9, v7, vcc
	s_mov_b64 s[18:19], 0
	s_branch .LBB30_1342
.LBB30_1337:
	s_mov_b64 s[18:19], -1
                                        ; implicit-def: $vgpr7
	s_branch .LBB30_1348
.LBB30_1338:
	s_or_saveexec_b64 s[22:23], s[22:23]
	v_mov_b32_e32 v8, s26
	s_xor_b64 exec, exec, s[22:23]
	s_cbranch_execz .LBB30_1321
.LBB30_1339:
	v_cmp_ne_u16_e32 vcc, 0, v7
	s_andn2_b64 s[20:21], s[20:21], exec
	s_and_b64 s[24:25], vcc, exec
	v_mov_b32_e32 v8, 0
	s_or_b64 s[20:21], s[20:21], s[24:25]
	s_or_b64 exec, exec, s[22:23]
	s_and_saveexec_b64 s[22:23], s[20:21]
	s_cbranch_execnz .LBB30_1322
	s_branch .LBB30_1323
.LBB30_1340:
	s_mov_b64 s[18:19], -1
                                        ; implicit-def: $vgpr7
	s_branch .LBB30_1345
.LBB30_1341:
	s_mov_b64 s[18:19], -1
                                        ; implicit-def: $vgpr7
.LBB30_1342:
	s_and_b64 vcc, exec, s[18:19]
	s_cbranch_vccz .LBB30_1344
; %bb.1343:
	global_load_ubyte v7, v[0:1], off
	s_mov_b32 s18, 0x7f800000
	s_brev_b32 s19, 1
	s_movk_i32 s20, 0x7fff
	v_mov_b32_e32 v8, 0x7fc0
	s_waitcnt vmcnt(0)
	v_lshlrev_b32_e32 v7, 24, v7
	v_and_b32_e32 v9, 0x7f000000, v7
	v_ffbh_u32_e32 v10, v9
	v_min_u32_e32 v10, 32, v10
	v_sub_u32_e64 v10, v10, 4 clamp
	v_lshlrev_b32_e32 v12, v10, v9
	v_lshlrev_b32_e32 v10, 23, v10
	v_lshrrev_b32_e32 v12, 4, v12
	v_add_u32_e32 v11, 0x1000000, v9
	v_sub_u32_e32 v10, v12, v10
	v_ashrrev_i32_e32 v11, 8, v11
	v_add_u32_e32 v10, 0x3c000000, v10
	v_and_or_b32 v10, v11, s18, v10
	v_cmp_ne_u32_e32 vcc, 0, v9
	v_cndmask_b32_e32 v9, 0, v10, vcc
	v_and_or_b32 v7, v7, s19, v9
	v_bfe_u32 v9, v9, 16, 1
	v_add3_u32 v9, v7, v9, s20
	v_lshrrev_b32_e32 v9, 16, v9
	v_cmp_o_f32_e32 vcc, v7, v7
	v_cndmask_b32_e32 v7, v8, v9, vcc
.LBB30_1344:
	s_mov_b64 s[18:19], 0
.LBB30_1345:
	s_andn2_b64 vcc, exec, s[18:19]
	s_cbranch_vccnz .LBB30_1347
; %bb.1346:
	global_load_ubyte v7, v[0:1], off
	s_movk_i32 s18, 0x7f00
	s_brev_b32 s19, 16
	s_brev_b32 s20, 1
	s_movk_i32 s21, 0x7fff
	v_mov_b32_e32 v8, 0x7fc0
	s_waitcnt vmcnt(0)
	v_lshlrev_b16_e32 v9, 8, v7
	v_lshlrev_b32_e32 v7, 25, v7
	v_lshrrev_b32_e32 v10, 4, v7
	v_and_or_b32 v11, v9, s18, 0.5
	v_or_b32_e32 v10, 0x70000000, v10
	v_add_f32_e32 v11, -0.5, v11
	v_mul_f32_e32 v10, 0x7800000, v10
	v_cmp_gt_u32_e32 vcc, s19, v7
	v_bfe_i32 v9, v9, 0, 16
	v_cndmask_b32_e32 v7, v10, v11, vcc
	v_and_or_b32 v9, v9, s20, v7
	v_bfe_u32 v7, v7, 16, 1
	v_add3_u32 v7, v9, v7, s21
	v_lshrrev_b32_e32 v7, 16, v7
	v_cmp_o_f32_e32 vcc, v9, v9
	v_cndmask_b32_e32 v7, v8, v7, vcc
.LBB30_1347:
	s_mov_b64 s[18:19], 0
	s_mov_b64 s[20:21], -1
.LBB30_1348:
	s_andn2_b64 vcc, exec, s[18:19]
	s_mov_b64 s[18:19], 0
	s_cbranch_vccnz .LBB30_1359
; %bb.1349:
	v_cmp_lt_i16_e32 vcc, 14, v3
	s_cbranch_vccz .LBB30_1352
; %bb.1350:
	v_cmp_eq_u16_e32 vcc, 15, v3
	s_cbranch_vccz .LBB30_1355
; %bb.1351:
	global_load_ushort v7, v[0:1], off
	s_mov_b64 s[2:3], 0
	s_mov_b64 s[20:21], -1
	s_branch .LBB30_1356
.LBB30_1352:
	s_mov_b64 s[22:23], -1
                                        ; implicit-def: $vgpr7
	s_branch .LBB30_1357
.LBB30_1353:
	s_or_saveexec_b64 s[20:21], s[20:21]
	v_mov_b32_e32 v8, s24
	s_xor_b64 exec, exec, s[20:21]
	s_cbranch_execz .LBB30_1334
.LBB30_1354:
	v_cmp_ne_u16_e32 vcc, 0, v7
	s_andn2_b64 s[18:19], s[18:19], exec
	s_and_b64 s[22:23], vcc, exec
	v_mov_b32_e32 v8, 0
	s_or_b64 s[18:19], s[18:19], s[22:23]
	s_or_b64 exec, exec, s[20:21]
	s_and_saveexec_b64 s[20:21], s[18:19]
	s_cbranch_execnz .LBB30_1335
	s_branch .LBB30_1336
.LBB30_1355:
	s_mov_b64 s[2:3], -1
                                        ; implicit-def: $vgpr7
.LBB30_1356:
	s_mov_b64 s[22:23], 0
.LBB30_1357:
	s_and_b64 vcc, exec, s[22:23]
	s_cbranch_vccz .LBB30_1359
; %bb.1358:
	v_cmp_ne_u16_e64 s[2:3], 11, v3
	s_mov_b64 s[18:19], -1
                                        ; implicit-def: $vgpr7
.LBB30_1359:
	s_and_b64 vcc, exec, s[2:3]
	s_cbranch_vccnz .LBB30_1422
; %bb.1360:
	s_andn2_b64 vcc, exec, s[18:19]
	s_cbranch_vccnz .LBB30_1362
.LBB30_1361:
	global_load_ubyte v7, v[0:1], off
	s_mov_b64 s[20:21], -1
	s_waitcnt vmcnt(0)
	v_cmp_ne_u16_e32 vcc, 0, v7
	v_cndmask_b32_e64 v7, 0, 1.0, vcc
	v_lshrrev_b32_e32 v7, 16, v7
.LBB30_1362:
	s_branch .LBB30_1290
.LBB30_1363:
	v_cmp_gt_i16_e32 vcc, 5, v3
	s_cbranch_vccnz .LBB30_1368
; %bb.1364:
	v_cmp_gt_i16_e32 vcc, 8, v3
	s_cbranch_vccnz .LBB30_1369
; %bb.1365:
	;; [unrolled: 3-line block ×3, first 2 shown]
	v_cmp_lt_i16_e32 vcc, 9, v3
	s_cbranch_vccz .LBB30_1371
; %bb.1367:
	global_load_dwordx2 v[8:9], v[0:1], off
	s_movk_i32 s2, 0x7fff
	s_waitcnt vmcnt(1)
	v_mov_b32_e32 v7, 0x7fc0
	s_waitcnt vmcnt(0)
	v_cvt_f32_f64_e32 v8, v[8:9]
	v_bfe_u32 v9, v8, 16, 1
	v_add3_u32 v9, v8, v9, s2
	v_lshrrev_b32_e32 v9, 16, v9
	v_cmp_o_f32_e32 vcc, v8, v8
	v_cndmask_b32_e32 v7, v7, v9, vcc
	s_mov_b64 s[2:3], 0
	s_branch .LBB30_1372
.LBB30_1368:
	s_mov_b64 s[2:3], -1
                                        ; implicit-def: $vgpr7
	s_branch .LBB30_1390
.LBB30_1369:
	s_mov_b64 s[2:3], -1
                                        ; implicit-def: $vgpr7
	s_branch .LBB30_1378
.LBB30_1370:
	s_mov_b64 s[2:3], -1
                                        ; implicit-def: $vgpr7
	s_branch .LBB30_1375
.LBB30_1371:
	s_mov_b64 s[2:3], -1
                                        ; implicit-def: $vgpr7
.LBB30_1372:
	s_andn2_b64 vcc, exec, s[2:3]
	s_cbranch_vccnz .LBB30_1374
; %bb.1373:
	global_load_dword v7, v[0:1], off
	s_movk_i32 s2, 0x7fff
	v_mov_b32_e32 v8, 0x7fc0
	s_waitcnt vmcnt(0)
	v_bfe_u32 v9, v7, 16, 1
	v_add3_u32 v9, v7, v9, s2
	v_lshrrev_b32_e32 v9, 16, v9
	v_cmp_o_f32_e32 vcc, v7, v7
	v_cndmask_b32_e32 v7, v8, v9, vcc
.LBB30_1374:
	s_mov_b64 s[2:3], 0
.LBB30_1375:
	s_andn2_b64 vcc, exec, s[2:3]
	s_cbranch_vccnz .LBB30_1377
; %bb.1376:
	global_load_dword v7, v[0:1], off
	s_movk_i32 s2, 0x7fff
	v_mov_b32_e32 v9, 0x7fc0
	s_waitcnt vmcnt(0)
	v_cvt_f32_f16_e32 v8, v7
	v_cmp_o_f16_e32 vcc, v7, v7
	v_bfe_u32 v10, v8, 16, 1
	v_add3_u32 v8, v8, v10, s2
	v_lshrrev_b32_e32 v8, 16, v8
	v_cndmask_b32_e32 v7, v9, v8, vcc
.LBB30_1377:
	s_mov_b64 s[2:3], 0
.LBB30_1378:
	s_andn2_b64 vcc, exec, s[2:3]
	s_cbranch_vccnz .LBB30_1389
; %bb.1379:
	v_cmp_gt_i16_e32 vcc, 6, v3
	s_cbranch_vccnz .LBB30_1382
; %bb.1380:
	v_cmp_lt_i16_e32 vcc, 6, v3
	s_cbranch_vccz .LBB30_1383
; %bb.1381:
	global_load_dwordx2 v[8:9], v[0:1], off
	s_movk_i32 s2, 0x7fff
	s_waitcnt vmcnt(1)
	v_mov_b32_e32 v7, 0x7fc0
	s_waitcnt vmcnt(0)
	v_cvt_f32_f64_e32 v8, v[8:9]
	v_bfe_u32 v9, v8, 16, 1
	v_add3_u32 v9, v8, v9, s2
	v_lshrrev_b32_e32 v9, 16, v9
	v_cmp_o_f32_e32 vcc, v8, v8
	v_cndmask_b32_e32 v7, v7, v9, vcc
	s_mov_b64 s[2:3], 0
	s_branch .LBB30_1384
.LBB30_1382:
	s_mov_b64 s[2:3], -1
                                        ; implicit-def: $vgpr7
	s_branch .LBB30_1387
.LBB30_1383:
	s_mov_b64 s[2:3], -1
                                        ; implicit-def: $vgpr7
.LBB30_1384:
	s_andn2_b64 vcc, exec, s[2:3]
	s_cbranch_vccnz .LBB30_1386
; %bb.1385:
	global_load_dword v7, v[0:1], off
	s_movk_i32 s2, 0x7fff
	v_mov_b32_e32 v8, 0x7fc0
	s_waitcnt vmcnt(0)
	v_bfe_u32 v9, v7, 16, 1
	v_add3_u32 v9, v7, v9, s2
	v_lshrrev_b32_e32 v9, 16, v9
	v_cmp_o_f32_e32 vcc, v7, v7
	v_cndmask_b32_e32 v7, v8, v9, vcc
.LBB30_1386:
	s_mov_b64 s[2:3], 0
.LBB30_1387:
	s_andn2_b64 vcc, exec, s[2:3]
	s_cbranch_vccnz .LBB30_1389
; %bb.1388:
	global_load_ushort v7, v[0:1], off
	s_movk_i32 s2, 0x7fff
	v_mov_b32_e32 v9, 0x7fc0
	s_waitcnt vmcnt(0)
	v_cvt_f32_f16_e32 v8, v7
	v_cmp_o_f16_e32 vcc, v7, v7
	v_bfe_u32 v10, v8, 16, 1
	v_add3_u32 v8, v8, v10, s2
	v_lshrrev_b32_e32 v8, 16, v8
	v_cndmask_b32_e32 v7, v9, v8, vcc
.LBB30_1389:
	s_mov_b64 s[2:3], 0
.LBB30_1390:
	s_andn2_b64 vcc, exec, s[2:3]
	s_cbranch_vccnz .LBB30_1410
; %bb.1391:
	v_cmp_gt_i16_e32 vcc, 2, v3
	s_cbranch_vccnz .LBB30_1395
; %bb.1392:
	v_cmp_gt_i16_e32 vcc, 3, v3
	s_cbranch_vccnz .LBB30_1396
; %bb.1393:
	v_cmp_lt_i16_e32 vcc, 3, v3
	s_cbranch_vccz .LBB30_1397
; %bb.1394:
	global_load_dwordx2 v[8:9], v[0:1], off
	s_movk_i32 s2, 0x7fff
	s_waitcnt vmcnt(0)
	v_xor_b32_e32 v10, v8, v9
	v_ffbh_i32_e32 v7, v9
	v_ashrrev_i32_e32 v10, 31, v10
	v_add_u32_e32 v7, -1, v7
	v_add_u32_e32 v10, 32, v10
	v_min_u32_e32 v7, v7, v10
	v_lshlrev_b64 v[8:9], v7, v[8:9]
	v_min_u32_e32 v8, 1, v8
	v_or_b32_e32 v8, v9, v8
	v_cvt_f32_i32_e32 v8, v8
	v_sub_u32_e32 v7, 32, v7
	v_ldexp_f32 v7, v8, v7
	v_bfe_u32 v8, v7, 16, 1
	v_add3_u32 v7, v7, v8, s2
	v_lshrrev_b32_e32 v7, 16, v7
	s_mov_b64 s[2:3], 0
	s_branch .LBB30_1398
.LBB30_1395:
	s_mov_b64 s[2:3], -1
                                        ; implicit-def: $vgpr7
	s_branch .LBB30_1404
.LBB30_1396:
	s_mov_b64 s[2:3], -1
                                        ; implicit-def: $vgpr7
	s_branch .LBB30_1401
.LBB30_1397:
	s_mov_b64 s[2:3], -1
                                        ; implicit-def: $vgpr7
.LBB30_1398:
	s_andn2_b64 vcc, exec, s[2:3]
	s_cbranch_vccnz .LBB30_1400
; %bb.1399:
	global_load_dword v7, v[0:1], off
	s_movk_i32 s2, 0x7fff
	s_waitcnt vmcnt(0)
	v_cvt_f32_i32_e32 v7, v7
	v_bfe_u32 v8, v7, 16, 1
	v_add3_u32 v7, v7, v8, s2
	v_lshrrev_b32_e32 v7, 16, v7
.LBB30_1400:
	s_mov_b64 s[2:3], 0
.LBB30_1401:
	s_andn2_b64 vcc, exec, s[2:3]
	s_cbranch_vccnz .LBB30_1403
; %bb.1402:
	global_load_sshort v7, v[0:1], off
	s_movk_i32 s2, 0x7fff
	s_waitcnt vmcnt(0)
	v_cvt_f32_i32_e32 v7, v7
	v_bfe_u32 v8, v7, 16, 1
	v_add3_u32 v7, v7, v8, s2
	v_lshrrev_b32_e32 v7, 16, v7
.LBB30_1403:
	s_mov_b64 s[2:3], 0
.LBB30_1404:
	s_andn2_b64 vcc, exec, s[2:3]
	s_cbranch_vccnz .LBB30_1410
; %bb.1405:
	v_cmp_lt_i16_e32 vcc, 0, v3
	s_cbranch_vccz .LBB30_1407
; %bb.1406:
	global_load_sbyte v7, v[0:1], off
	s_movk_i32 s2, 0x7fff
	s_waitcnt vmcnt(0)
	v_cvt_f32_i32_e32 v7, v7
	v_bfe_u32 v8, v7, 16, 1
	v_add3_u32 v7, v7, v8, s2
	v_lshrrev_b32_e32 v7, 16, v7
	s_mov_b64 s[2:3], 0
	s_branch .LBB30_1408
.LBB30_1407:
	s_mov_b64 s[2:3], -1
                                        ; implicit-def: $vgpr7
.LBB30_1408:
	s_andn2_b64 vcc, exec, s[2:3]
	s_cbranch_vccnz .LBB30_1410
; %bb.1409:
	global_load_ubyte v0, v[0:1], off
	s_movk_i32 s2, 0x7fff
	s_waitcnt vmcnt(0)
	v_cvt_f32_ubyte0_e32 v0, v0
	v_bfe_u32 v1, v0, 16, 1
	v_add3_u32 v0, v0, v1, s2
	v_lshrrev_b32_e32 v7, 16, v0
.LBB30_1410:
.LBB30_1411:
	v_add_u32_e32 v0, s13, v5
	v_ashrrev_i32_e32 v1, 31, v0
	v_mov_b32_e32 v5, s11
	v_add_co_u32_e32 v0, vcc, s10, v0
	v_addc_co_u32_e32 v1, vcc, v5, v1, vcc
	s_and_b64 vcc, exec, s[0:1]
	s_cbranch_vccnz .LBB30_1418
; %bb.1412:
	v_cmp_lt_i16_e32 vcc, 25, v3
	s_mov_b64 s[2:3], 0
	s_cbranch_vccz .LBB30_1419
; %bb.1413:
	v_cmp_lt_i16_e32 vcc, 28, v3
	s_cbranch_vccz .LBB30_1420
; %bb.1414:
	v_cmp_lt_i16_e32 vcc, 43, v3
	;; [unrolled: 3-line block ×3, first 2 shown]
	s_cbranch_vccz .LBB30_1423
; %bb.1416:
	v_cmp_eq_u16_e32 vcc, 46, v3
	s_mov_b64 s[18:19], 0
	s_cbranch_vccz .LBB30_1424
; %bb.1417:
	global_load_dword v8, v[0:1], off
	s_mov_b64 s[0:1], 0
	s_mov_b64 s[10:11], -1
	s_branch .LBB30_1425
.LBB30_1418:
	s_mov_b64 s[0:1], -1
	s_mov_b64 s[10:11], 0
                                        ; implicit-def: $vgpr8
	s_branch .LBB30_1491
.LBB30_1419:
	s_mov_b64 s[18:19], -1
	s_mov_b64 s[10:11], 0
	s_mov_b64 s[0:1], 0
                                        ; implicit-def: $vgpr8
	s_branch .LBB30_1454
.LBB30_1420:
	s_mov_b64 s[18:19], -1
	s_mov_b64 s[10:11], 0
	s_mov_b64 s[0:1], 0
                                        ; implicit-def: $vgpr8
	s_branch .LBB30_1435
.LBB30_1421:
	s_mov_b64 s[18:19], -1
	s_mov_b64 s[10:11], 0
	s_mov_b64 s[0:1], 0
                                        ; implicit-def: $vgpr8
	s_branch .LBB30_1430
.LBB30_1422:
	s_trap 2
	s_or_b64 s[16:17], s[16:17], exec
                                        ; implicit-def: $vgpr7
	s_cbranch_execz .LBB30_1361
	s_branch .LBB30_1362
.LBB30_1423:
	s_mov_b64 s[18:19], -1
	s_mov_b64 s[10:11], 0
	s_mov_b64 s[0:1], 0
                                        ; implicit-def: $vgpr8
	s_branch .LBB30_1425
.LBB30_1424:
	s_mov_b64 s[0:1], -1
                                        ; implicit-def: $vgpr8
	s_mov_b64 s[10:11], 0
.LBB30_1425:
	s_and_b64 vcc, exec, s[18:19]
	s_cbranch_vccz .LBB30_1429
; %bb.1426:
	v_cmp_eq_u16_e32 vcc, 44, v3
	s_cbranch_vccz .LBB30_1428
; %bb.1427:
	global_load_ubyte v5, v[0:1], off
	s_movk_i32 s10, 0xff
	s_waitcnt vmcnt(1)
	v_mov_b32_e32 v8, 0x7f800001
	v_mov_b32_e32 v9, 0x400000
	;; [unrolled: 1-line block ×3, first 2 shown]
	s_mov_b64 s[0:1], 0
	s_waitcnt vmcnt(0)
	v_lshlrev_b32_e32 v11, 23, v5
	v_cmp_ne_u32_e32 vcc, s10, v5
	v_cndmask_b32_e32 v8, v8, v11, vcc
	v_cmp_ne_u32_e32 vcc, 0, v5
	v_cndmask_b32_e32 v5, v9, v8, vcc
	v_add_u32_e32 v8, 0x7fff, v5
	v_lshrrev_b32_e32 v8, 16, v8
	v_cmp_o_f32_e32 vcc, v5, v5
	v_cndmask_b32_e32 v8, v10, v8, vcc
	s_mov_b64 s[10:11], -1
	s_branch .LBB30_1429
.LBB30_1428:
	s_mov_b64 s[0:1], -1
                                        ; implicit-def: $vgpr8
.LBB30_1429:
	s_mov_b64 s[18:19], 0
.LBB30_1430:
	s_and_b64 vcc, exec, s[18:19]
	s_cbranch_vccz .LBB30_1434
; %bb.1431:
	v_cmp_eq_u16_e32 vcc, 29, v3
	s_cbranch_vccz .LBB30_1433
; %bb.1432:
	global_load_dwordx2 v[8:9], v[0:1], off
	s_movk_i32 s10, 0x7fff
	s_mov_b64 s[0:1], 0
	s_mov_b64 s[18:19], 0
	s_waitcnt vmcnt(0)
	v_ffbh_u32_e32 v5, v9
	v_min_u32_e32 v5, 32, v5
	v_lshlrev_b64 v[8:9], v5, v[8:9]
	v_min_u32_e32 v8, 1, v8
	v_or_b32_e32 v8, v9, v8
	v_cvt_f32_u32_e32 v8, v8
	v_sub_u32_e32 v5, 32, v5
	v_ldexp_f32 v5, v8, v5
	v_bfe_u32 v8, v5, 16, 1
	v_add3_u32 v5, v5, v8, s10
	v_lshrrev_b32_e32 v8, 16, v5
	s_mov_b64 s[10:11], -1
	s_branch .LBB30_1435
.LBB30_1433:
	s_mov_b64 s[0:1], -1
                                        ; implicit-def: $vgpr8
.LBB30_1434:
	s_mov_b64 s[18:19], 0
.LBB30_1435:
	s_and_b64 vcc, exec, s[18:19]
	s_cbranch_vccz .LBB30_1453
; %bb.1436:
	v_cmp_gt_i16_e32 vcc, 27, v3
	s_cbranch_vccnz .LBB30_1439
; %bb.1437:
	v_cmp_lt_i16_e32 vcc, 27, v3
	s_cbranch_vccz .LBB30_1440
; %bb.1438:
	global_load_dword v5, v[0:1], off
	s_movk_i32 s10, 0x7fff
	s_waitcnt vmcnt(0)
	v_cvt_f32_u32_e32 v5, v5
	v_bfe_u32 v8, v5, 16, 1
	v_add3_u32 v5, v5, v8, s10
	v_lshrrev_b32_e32 v8, 16, v5
	s_mov_b64 s[10:11], 0
	s_branch .LBB30_1441
.LBB30_1439:
	s_mov_b64 s[10:11], -1
                                        ; implicit-def: $vgpr8
	s_branch .LBB30_1444
.LBB30_1440:
	s_mov_b64 s[10:11], -1
                                        ; implicit-def: $vgpr8
.LBB30_1441:
	s_andn2_b64 vcc, exec, s[10:11]
	s_cbranch_vccnz .LBB30_1443
; %bb.1442:
	global_load_ushort v5, v[0:1], off
	s_movk_i32 s10, 0x7fff
	s_waitcnt vmcnt(0)
	v_cvt_f32_u32_e32 v5, v5
	v_bfe_u32 v8, v5, 16, 1
	v_add3_u32 v5, v5, v8, s10
	v_lshrrev_b32_e32 v8, 16, v5
.LBB30_1443:
	s_mov_b64 s[10:11], 0
.LBB30_1444:
	s_andn2_b64 vcc, exec, s[10:11]
	s_cbranch_vccnz .LBB30_1452
; %bb.1445:
	global_load_ubyte v5, v[0:1], off
	s_movk_i32 s10, 0x7f
                                        ; implicit-def: $sgpr13
	s_waitcnt vmcnt(0)
	v_cmp_lt_i16_e32 vcc, s10, v5
	s_mov_b64 s[10:11], 0
	s_and_saveexec_b64 s[18:19], vcc
	s_xor_b64 s[18:19], exec, s[18:19]
	s_cbranch_execz .LBB30_1466
; %bb.1446:
	s_movk_i32 s10, 0x80
	v_cmp_eq_u16_e32 vcc, s10, v5
	s_mov_b64 s[10:11], -1
                                        ; implicit-def: $sgpr13
	s_and_saveexec_b64 s[20:21], vcc
; %bb.1447:
	s_mov_b32 s13, 0x7f800001
	s_xor_b64 s[10:11], exec, -1
; %bb.1448:
	s_or_b64 exec, exec, s[20:21]
	s_and_b64 s[10:11], s[10:11], exec
	s_or_saveexec_b64 s[18:19], s[18:19]
	v_mov_b32_e32 v8, s13
	s_xor_b64 exec, exec, s[18:19]
	s_cbranch_execnz .LBB30_1467
.LBB30_1449:
	s_or_b64 exec, exec, s[18:19]
	s_and_saveexec_b64 s[18:19], s[10:11]
	s_cbranch_execz .LBB30_1451
.LBB30_1450:
	v_lshlrev_b32_e32 v8, 24, v5
	v_and_b32_e32 v5, 0xffff, v5
	v_and_b32_e32 v9, 7, v5
	v_ffbh_u32_e32 v11, v9
	v_min_u32_e32 v11, 32, v11
	v_subrev_u32_e32 v12, 28, v11
	v_bfe_u32 v10, v5, 3, 4
	v_lshlrev_b32_e32 v5, v12, v5
	v_sub_u32_e32 v11, 29, v11
	v_and_b32_e32 v5, 7, v5
	v_cmp_eq_u32_e32 vcc, 0, v10
	v_cndmask_b32_e32 v10, v10, v11, vcc
	v_cndmask_b32_e32 v5, v9, v5, vcc
	v_mov_b32_e32 v9, 0x3b800000
	v_lshlrev_b32_e32 v5, 20, v5
	v_and_b32_e32 v8, 0x80000000, v8
	v_lshl_add_u32 v9, v10, 23, v9
	v_or3_b32 v8, v8, v9, v5
.LBB30_1451:
	s_or_b64 exec, exec, s[18:19]
	v_bfe_u32 v5, v8, 16, 1
	s_movk_i32 s10, 0x7fff
	v_add3_u32 v5, v8, v5, s10
	v_lshrrev_b32_e32 v5, 16, v5
	v_mov_b32_e32 v9, 0x7fc0
	v_cmp_o_f32_e32 vcc, v8, v8
	v_cndmask_b32_e32 v8, v9, v5, vcc
.LBB30_1452:
	s_mov_b64 s[10:11], -1
.LBB30_1453:
	s_mov_b64 s[18:19], 0
.LBB30_1454:
	s_and_b64 vcc, exec, s[18:19]
	s_cbranch_vccz .LBB30_1487
; %bb.1455:
	v_cmp_lt_i16_e32 vcc, 22, v3
	s_cbranch_vccz .LBB30_1465
; %bb.1456:
	v_cmp_gt_i16_e32 vcc, 24, v3
	s_cbranch_vccnz .LBB30_1468
; %bb.1457:
	v_cmp_lt_i16_e32 vcc, 24, v3
	s_cbranch_vccz .LBB30_1469
; %bb.1458:
	global_load_ubyte v5, v[0:1], off
	s_movk_i32 s2, 0x7f
                                        ; implicit-def: $sgpr13
	s_waitcnt vmcnt(0)
	v_cmp_lt_i16_e32 vcc, s2, v5
	s_mov_b64 s[2:3], 0
	s_and_saveexec_b64 s[10:11], vcc
	s_xor_b64 s[10:11], exec, s[10:11]
	s_cbranch_execz .LBB30_1481
; %bb.1459:
	s_movk_i32 s2, 0x80
	v_cmp_eq_u16_e32 vcc, s2, v5
	s_mov_b64 s[2:3], -1
                                        ; implicit-def: $sgpr13
	s_and_saveexec_b64 s[18:19], vcc
; %bb.1460:
	s_mov_b32 s13, 0x7f800001
	s_xor_b64 s[2:3], exec, -1
; %bb.1461:
	s_or_b64 exec, exec, s[18:19]
	s_and_b64 s[2:3], s[2:3], exec
	s_or_saveexec_b64 s[10:11], s[10:11]
	v_mov_b32_e32 v8, s13
	s_xor_b64 exec, exec, s[10:11]
	s_cbranch_execnz .LBB30_1482
.LBB30_1462:
	s_or_b64 exec, exec, s[10:11]
	s_and_saveexec_b64 s[10:11], s[2:3]
	s_cbranch_execz .LBB30_1464
.LBB30_1463:
	v_lshlrev_b32_e32 v8, 24, v5
	v_and_b32_e32 v5, 0xffff, v5
	v_and_b32_e32 v9, 3, v5
	v_ffbh_u32_e32 v11, v9
	v_min_u32_e32 v11, 32, v11
	v_subrev_u32_e32 v12, 29, v11
	v_bfe_u32 v10, v5, 2, 5
	v_lshlrev_b32_e32 v5, v12, v5
	v_sub_u32_e32 v11, 30, v11
	v_and_b32_e32 v5, 3, v5
	v_cmp_eq_u32_e32 vcc, 0, v10
	v_cndmask_b32_e32 v10, v10, v11, vcc
	v_cndmask_b32_e32 v5, v9, v5, vcc
	v_mov_b32_e32 v9, 0x37800000
	v_lshlrev_b32_e32 v5, 21, v5
	v_and_b32_e32 v8, 0x80000000, v8
	v_lshl_add_u32 v9, v10, 23, v9
	v_or3_b32 v8, v8, v9, v5
.LBB30_1464:
	s_or_b64 exec, exec, s[10:11]
	v_bfe_u32 v5, v8, 16, 1
	s_movk_i32 s2, 0x7fff
	v_add3_u32 v5, v8, v5, s2
	v_lshrrev_b32_e32 v5, 16, v5
	v_mov_b32_e32 v9, 0x7fc0
	v_cmp_o_f32_e32 vcc, v8, v8
	v_cndmask_b32_e32 v8, v9, v5, vcc
	s_mov_b64 s[2:3], 0
	s_branch .LBB30_1470
.LBB30_1465:
	s_mov_b64 s[2:3], -1
                                        ; implicit-def: $vgpr8
	s_branch .LBB30_1476
.LBB30_1466:
	s_or_saveexec_b64 s[18:19], s[18:19]
	v_mov_b32_e32 v8, s13
	s_xor_b64 exec, exec, s[18:19]
	s_cbranch_execz .LBB30_1449
.LBB30_1467:
	v_cmp_ne_u16_e32 vcc, 0, v5
	s_andn2_b64 s[10:11], s[10:11], exec
	s_and_b64 s[20:21], vcc, exec
	v_mov_b32_e32 v8, 0
	s_or_b64 s[10:11], s[10:11], s[20:21]
	s_or_b64 exec, exec, s[18:19]
	s_and_saveexec_b64 s[18:19], s[10:11]
	s_cbranch_execnz .LBB30_1450
	s_branch .LBB30_1451
.LBB30_1468:
	s_mov_b64 s[2:3], -1
                                        ; implicit-def: $vgpr8
	s_branch .LBB30_1473
.LBB30_1469:
	s_mov_b64 s[2:3], -1
                                        ; implicit-def: $vgpr8
.LBB30_1470:
	s_and_b64 vcc, exec, s[2:3]
	s_cbranch_vccz .LBB30_1472
; %bb.1471:
	global_load_ubyte v5, v[0:1], off
	s_mov_b32 s2, 0x7f800000
	s_brev_b32 s3, 1
	s_movk_i32 s10, 0x7fff
	s_waitcnt vmcnt(1)
	v_mov_b32_e32 v8, 0x7fc0
	s_waitcnt vmcnt(0)
	v_lshlrev_b32_e32 v5, 24, v5
	v_and_b32_e32 v9, 0x7f000000, v5
	v_ffbh_u32_e32 v10, v9
	v_min_u32_e32 v10, 32, v10
	v_sub_u32_e64 v10, v10, 4 clamp
	v_lshlrev_b32_e32 v12, v10, v9
	v_lshlrev_b32_e32 v10, 23, v10
	v_lshrrev_b32_e32 v12, 4, v12
	v_add_u32_e32 v11, 0x1000000, v9
	v_sub_u32_e32 v10, v12, v10
	v_ashrrev_i32_e32 v11, 8, v11
	v_add_u32_e32 v10, 0x3c000000, v10
	v_and_or_b32 v10, v11, s2, v10
	v_cmp_ne_u32_e32 vcc, 0, v9
	v_cndmask_b32_e32 v9, 0, v10, vcc
	v_and_or_b32 v5, v5, s3, v9
	v_bfe_u32 v9, v9, 16, 1
	v_add3_u32 v9, v5, v9, s10
	v_lshrrev_b32_e32 v9, 16, v9
	v_cmp_o_f32_e32 vcc, v5, v5
	v_cndmask_b32_e32 v8, v8, v9, vcc
.LBB30_1472:
	s_mov_b64 s[2:3], 0
.LBB30_1473:
	s_andn2_b64 vcc, exec, s[2:3]
	s_cbranch_vccnz .LBB30_1475
; %bb.1474:
	global_load_ubyte v5, v[0:1], off
	s_movk_i32 s2, 0x7f00
	s_brev_b32 s3, 16
	s_brev_b32 s10, 1
	s_movk_i32 s11, 0x7fff
	s_waitcnt vmcnt(1)
	v_mov_b32_e32 v8, 0x7fc0
	s_waitcnt vmcnt(0)
	v_lshlrev_b16_e32 v9, 8, v5
	v_lshlrev_b32_e32 v5, 25, v5
	v_lshrrev_b32_e32 v10, 4, v5
	v_and_or_b32 v11, v9, s2, 0.5
	v_or_b32_e32 v10, 0x70000000, v10
	v_add_f32_e32 v11, -0.5, v11
	v_mul_f32_e32 v10, 0x7800000, v10
	v_cmp_gt_u32_e32 vcc, s3, v5
	v_bfe_i32 v9, v9, 0, 16
	v_cndmask_b32_e32 v5, v10, v11, vcc
	v_and_or_b32 v9, v9, s10, v5
	v_bfe_u32 v5, v5, 16, 1
	v_add3_u32 v5, v9, v5, s11
	v_lshrrev_b32_e32 v5, 16, v5
	v_cmp_o_f32_e32 vcc, v9, v9
	v_cndmask_b32_e32 v8, v8, v5, vcc
.LBB30_1475:
	s_mov_b64 s[2:3], 0
	s_mov_b64 s[10:11], -1
.LBB30_1476:
	s_andn2_b64 vcc, exec, s[2:3]
	s_mov_b64 s[2:3], 0
	s_cbranch_vccnz .LBB30_1487
; %bb.1477:
	v_cmp_lt_i16_e32 vcc, 14, v3
	s_cbranch_vccz .LBB30_1480
; %bb.1478:
	v_cmp_eq_u16_e32 vcc, 15, v3
	s_cbranch_vccz .LBB30_1483
; %bb.1479:
	global_load_ushort v8, v[0:1], off
	s_mov_b64 s[0:1], 0
	s_mov_b64 s[10:11], -1
	s_branch .LBB30_1484
.LBB30_1480:
	s_mov_b64 s[18:19], -1
                                        ; implicit-def: $vgpr8
	s_branch .LBB30_1485
.LBB30_1481:
	s_or_saveexec_b64 s[10:11], s[10:11]
	v_mov_b32_e32 v8, s13
	s_xor_b64 exec, exec, s[10:11]
	s_cbranch_execz .LBB30_1462
.LBB30_1482:
	v_cmp_ne_u16_e32 vcc, 0, v5
	s_andn2_b64 s[2:3], s[2:3], exec
	s_and_b64 s[18:19], vcc, exec
	v_mov_b32_e32 v8, 0
	s_or_b64 s[2:3], s[2:3], s[18:19]
	s_or_b64 exec, exec, s[10:11]
	s_and_saveexec_b64 s[10:11], s[2:3]
	s_cbranch_execnz .LBB30_1463
	s_branch .LBB30_1464
.LBB30_1483:
	s_mov_b64 s[0:1], -1
                                        ; implicit-def: $vgpr8
.LBB30_1484:
	s_mov_b64 s[18:19], 0
.LBB30_1485:
	s_and_b64 vcc, exec, s[18:19]
	s_cbranch_vccz .LBB30_1487
; %bb.1486:
	v_cmp_ne_u16_e64 s[0:1], 11, v3
	s_mov_b64 s[2:3], -1
                                        ; implicit-def: $vgpr8
.LBB30_1487:
	s_and_b64 vcc, exec, s[0:1]
	s_cbranch_vccnz .LBB30_1597
; %bb.1488:
	s_andn2_b64 vcc, exec, s[2:3]
	s_cbranch_vccnz .LBB30_1490
.LBB30_1489:
	global_load_ubyte v5, v[0:1], off
	s_mov_b64 s[10:11], -1
	s_waitcnt vmcnt(0)
	v_cmp_ne_u16_e32 vcc, 0, v5
	v_cndmask_b32_e64 v5, 0, 1.0, vcc
	v_lshrrev_b32_e32 v8, 16, v5
.LBB30_1490:
	s_mov_b64 s[0:1], 0
.LBB30_1491:
	s_and_b64 vcc, exec, s[0:1]
	s_cbranch_vccz .LBB30_1540
; %bb.1492:
	v_cmp_gt_i16_e32 vcc, 5, v3
	s_cbranch_vccnz .LBB30_1497
; %bb.1493:
	v_cmp_gt_i16_e32 vcc, 8, v3
	s_cbranch_vccnz .LBB30_1498
	;; [unrolled: 3-line block ×3, first 2 shown]
; %bb.1495:
	v_cmp_lt_i16_e32 vcc, 9, v3
	s_cbranch_vccz .LBB30_1500
; %bb.1496:
	global_load_dwordx2 v[8:9], v[0:1], off
	s_movk_i32 s0, 0x7fff
	v_mov_b32_e32 v5, 0x7fc0
	s_waitcnt vmcnt(0)
	v_cvt_f32_f64_e32 v8, v[8:9]
	v_bfe_u32 v9, v8, 16, 1
	v_add3_u32 v9, v8, v9, s0
	v_lshrrev_b32_e32 v9, 16, v9
	v_cmp_o_f32_e32 vcc, v8, v8
	v_cndmask_b32_e32 v8, v5, v9, vcc
	s_mov_b64 s[0:1], 0
	s_branch .LBB30_1501
.LBB30_1497:
	s_mov_b64 s[0:1], -1
                                        ; implicit-def: $vgpr8
	s_branch .LBB30_1519
.LBB30_1498:
	s_mov_b64 s[0:1], -1
                                        ; implicit-def: $vgpr8
	s_branch .LBB30_1507
.LBB30_1499:
	s_mov_b64 s[0:1], -1
                                        ; implicit-def: $vgpr8
	s_branch .LBB30_1504
.LBB30_1500:
	s_mov_b64 s[0:1], -1
                                        ; implicit-def: $vgpr8
.LBB30_1501:
	s_andn2_b64 vcc, exec, s[0:1]
	s_cbranch_vccnz .LBB30_1503
; %bb.1502:
	global_load_dword v5, v[0:1], off
	s_movk_i32 s0, 0x7fff
	s_waitcnt vmcnt(1)
	v_mov_b32_e32 v8, 0x7fc0
	s_waitcnt vmcnt(0)
	v_bfe_u32 v9, v5, 16, 1
	v_add3_u32 v9, v5, v9, s0
	v_lshrrev_b32_e32 v9, 16, v9
	v_cmp_o_f32_e32 vcc, v5, v5
	v_cndmask_b32_e32 v8, v8, v9, vcc
.LBB30_1503:
	s_mov_b64 s[0:1], 0
.LBB30_1504:
	s_andn2_b64 vcc, exec, s[0:1]
	s_cbranch_vccnz .LBB30_1506
; %bb.1505:
	global_load_dword v5, v[0:1], off
	s_movk_i32 s0, 0x7fff
	v_mov_b32_e32 v9, 0x7fc0
	s_waitcnt vmcnt(0)
	v_cvt_f32_f16_e32 v8, v5
	v_cmp_o_f16_e32 vcc, v5, v5
	v_bfe_u32 v10, v8, 16, 1
	v_add3_u32 v8, v8, v10, s0
	v_lshrrev_b32_e32 v8, 16, v8
	v_cndmask_b32_e32 v8, v9, v8, vcc
.LBB30_1506:
	s_mov_b64 s[0:1], 0
.LBB30_1507:
	s_andn2_b64 vcc, exec, s[0:1]
	s_cbranch_vccnz .LBB30_1518
; %bb.1508:
	v_cmp_gt_i16_e32 vcc, 6, v3
	s_cbranch_vccnz .LBB30_1511
; %bb.1509:
	v_cmp_lt_i16_e32 vcc, 6, v3
	s_cbranch_vccz .LBB30_1512
; %bb.1510:
	global_load_dwordx2 v[8:9], v[0:1], off
	s_movk_i32 s0, 0x7fff
	v_mov_b32_e32 v5, 0x7fc0
	s_waitcnt vmcnt(0)
	v_cvt_f32_f64_e32 v8, v[8:9]
	v_bfe_u32 v9, v8, 16, 1
	v_add3_u32 v9, v8, v9, s0
	v_lshrrev_b32_e32 v9, 16, v9
	v_cmp_o_f32_e32 vcc, v8, v8
	v_cndmask_b32_e32 v8, v5, v9, vcc
	s_mov_b64 s[0:1], 0
	s_branch .LBB30_1513
.LBB30_1511:
	s_mov_b64 s[0:1], -1
                                        ; implicit-def: $vgpr8
	s_branch .LBB30_1516
.LBB30_1512:
	s_mov_b64 s[0:1], -1
                                        ; implicit-def: $vgpr8
.LBB30_1513:
	s_andn2_b64 vcc, exec, s[0:1]
	s_cbranch_vccnz .LBB30_1515
; %bb.1514:
	global_load_dword v5, v[0:1], off
	s_movk_i32 s0, 0x7fff
	s_waitcnt vmcnt(1)
	v_mov_b32_e32 v8, 0x7fc0
	s_waitcnt vmcnt(0)
	v_bfe_u32 v9, v5, 16, 1
	v_add3_u32 v9, v5, v9, s0
	v_lshrrev_b32_e32 v9, 16, v9
	v_cmp_o_f32_e32 vcc, v5, v5
	v_cndmask_b32_e32 v8, v8, v9, vcc
.LBB30_1515:
	s_mov_b64 s[0:1], 0
.LBB30_1516:
	s_andn2_b64 vcc, exec, s[0:1]
	s_cbranch_vccnz .LBB30_1518
; %bb.1517:
	global_load_ushort v5, v[0:1], off
	s_movk_i32 s0, 0x7fff
	v_mov_b32_e32 v9, 0x7fc0
	s_waitcnt vmcnt(0)
	v_cvt_f32_f16_e32 v8, v5
	v_cmp_o_f16_e32 vcc, v5, v5
	v_bfe_u32 v10, v8, 16, 1
	v_add3_u32 v8, v8, v10, s0
	v_lshrrev_b32_e32 v8, 16, v8
	v_cndmask_b32_e32 v8, v9, v8, vcc
.LBB30_1518:
	s_mov_b64 s[0:1], 0
.LBB30_1519:
	s_andn2_b64 vcc, exec, s[0:1]
	s_cbranch_vccnz .LBB30_1539
; %bb.1520:
	v_cmp_gt_i16_e32 vcc, 2, v3
	s_cbranch_vccnz .LBB30_1524
; %bb.1521:
	v_cmp_gt_i16_e32 vcc, 3, v3
	s_cbranch_vccnz .LBB30_1525
; %bb.1522:
	v_cmp_lt_i16_e32 vcc, 3, v3
	s_cbranch_vccz .LBB30_1526
; %bb.1523:
	global_load_dwordx2 v[8:9], v[0:1], off
	s_movk_i32 s0, 0x7fff
	s_waitcnt vmcnt(0)
	v_xor_b32_e32 v10, v8, v9
	v_ffbh_i32_e32 v5, v9
	v_ashrrev_i32_e32 v10, 31, v10
	v_add_u32_e32 v5, -1, v5
	v_add_u32_e32 v10, 32, v10
	v_min_u32_e32 v5, v5, v10
	v_lshlrev_b64 v[8:9], v5, v[8:9]
	v_min_u32_e32 v8, 1, v8
	v_or_b32_e32 v8, v9, v8
	v_cvt_f32_i32_e32 v8, v8
	v_sub_u32_e32 v5, 32, v5
	v_ldexp_f32 v5, v8, v5
	v_bfe_u32 v8, v5, 16, 1
	v_add3_u32 v5, v5, v8, s0
	v_lshrrev_b32_e32 v8, 16, v5
	s_mov_b64 s[0:1], 0
	s_branch .LBB30_1527
.LBB30_1524:
	s_mov_b64 s[0:1], -1
                                        ; implicit-def: $vgpr8
	s_branch .LBB30_1533
.LBB30_1525:
	s_mov_b64 s[0:1], -1
                                        ; implicit-def: $vgpr8
	s_branch .LBB30_1530
.LBB30_1526:
	s_mov_b64 s[0:1], -1
                                        ; implicit-def: $vgpr8
.LBB30_1527:
	s_andn2_b64 vcc, exec, s[0:1]
	s_cbranch_vccnz .LBB30_1529
; %bb.1528:
	global_load_dword v5, v[0:1], off
	s_movk_i32 s0, 0x7fff
	s_waitcnt vmcnt(0)
	v_cvt_f32_i32_e32 v5, v5
	v_bfe_u32 v8, v5, 16, 1
	v_add3_u32 v5, v5, v8, s0
	v_lshrrev_b32_e32 v8, 16, v5
.LBB30_1529:
	s_mov_b64 s[0:1], 0
.LBB30_1530:
	s_andn2_b64 vcc, exec, s[0:1]
	s_cbranch_vccnz .LBB30_1532
; %bb.1531:
	global_load_sshort v5, v[0:1], off
	s_movk_i32 s0, 0x7fff
	s_waitcnt vmcnt(0)
	v_cvt_f32_i32_e32 v5, v5
	v_bfe_u32 v8, v5, 16, 1
	v_add3_u32 v5, v5, v8, s0
	v_lshrrev_b32_e32 v8, 16, v5
.LBB30_1532:
	s_mov_b64 s[0:1], 0
.LBB30_1533:
	s_andn2_b64 vcc, exec, s[0:1]
	s_cbranch_vccnz .LBB30_1539
; %bb.1534:
	v_cmp_lt_i16_e32 vcc, 0, v3
	s_cbranch_vccz .LBB30_1536
; %bb.1535:
	global_load_sbyte v3, v[0:1], off
	s_movk_i32 s0, 0x7fff
	s_waitcnt vmcnt(0)
	v_cvt_f32_i32_e32 v3, v3
	v_bfe_u32 v5, v3, 16, 1
	v_add3_u32 v3, v3, v5, s0
	v_lshrrev_b32_e32 v8, 16, v3
	s_mov_b64 s[0:1], 0
	s_branch .LBB30_1537
.LBB30_1536:
	s_mov_b64 s[0:1], -1
                                        ; implicit-def: $vgpr8
.LBB30_1537:
	s_andn2_b64 vcc, exec, s[0:1]
	s_cbranch_vccnz .LBB30_1539
; %bb.1538:
	global_load_ubyte v0, v[0:1], off
	s_movk_i32 s0, 0x7fff
	s_waitcnt vmcnt(0)
	v_cvt_f32_ubyte0_e32 v0, v0
	v_bfe_u32 v1, v0, 16, 1
	v_add3_u32 v0, v0, v1, s0
	v_lshrrev_b32_e32 v8, 16, v0
.LBB30_1539:
	s_mov_b64 s[10:11], -1
.LBB30_1540:
	s_andn2_b64 vcc, exec, s[10:11]
	s_cbranch_vccnz .LBB30_1548
; %bb.1541:
	v_mov_b32_e32 v0, 0x7fff
	v_and_b32_e32 v5, s14, v0
	v_and_b32_e32 v0, 0xffff8000, v4
	v_mul_lo_u32 v2, s12, v2
	v_or_b32_e32 v3, v0, v5
	v_ashrrev_i32_e32 v1, 31, v2
	v_mov_b32_e32 v4, s9
	v_add_co_u32_e32 v0, vcc, s8, v2
	v_addc_co_u32_e32 v1, vcc, v4, v1, vcc
	v_mov_b32_e32 v4, 11
	v_cmp_lt_i16_sdwa s[0:1], s15, v4 src0_sel:BYTE_0 src1_sel:DWORD
	s_and_b64 vcc, exec, s[0:1]
	s_cbranch_vccnz .LBB30_1594
; %bb.1542:
	v_mov_b32_e32 v4, 25
	v_cmp_gt_i16_sdwa s[0:1], s15, v4 src0_sel:BYTE_0 src1_sel:DWORD
	s_mov_b64 s[18:19], -1
	s_mov_b64 s[2:3], 0
	s_and_b64 vcc, exec, s[0:1]
	s_mov_b64 s[10:11], 0
	s_mov_b64 s[0:1], 0
	s_cbranch_vccz .LBB30_1626
; %bb.1543:
	v_mov_b32_e32 v4, 28
	v_cmp_gt_i16_sdwa s[0:1], s15, v4 src0_sel:BYTE_0 src1_sel:DWORD
	s_and_b64 vcc, exec, s[0:1]
	s_cbranch_vccz .LBB30_1595
; %bb.1544:
	v_mov_b32_e32 v4, 43
	v_cmp_gt_i16_sdwa s[0:1], s15, v4 src0_sel:BYTE_0 src1_sel:DWORD
	s_and_b64 vcc, exec, s[0:1]
	;; [unrolled: 5-line block ×3, first 2 shown]
	s_cbranch_vccz .LBB30_1598
; %bb.1546:
	v_mov_b32_e32 v4, 46
	v_cmp_eq_u16_sdwa s[10:11], s15, v4 src0_sel:BYTE_0 src1_sel:DWORD
	s_mov_b64 s[0:1], -1
	s_mov_b64 s[18:19], 0
	s_and_b64 vcc, exec, s[10:11]
	s_mov_b64 s[10:11], 0
	s_cbranch_vccz .LBB30_1599
; %bb.1547:
	v_and_b32_e32 v4, 0xffff, v3
	global_store_dword v[0:1], v4, off
	s_mov_b64 s[0:1], 0
	s_mov_b64 s[10:11], -1
	s_branch .LBB30_1599
.LBB30_1548:
	s_mov_b64 s[0:1], 0
                                        ; implicit-def: $vgpr4
                                        ; implicit-def: $vgpr0_vgpr1
                                        ; implicit-def: $vgpr6
                                        ; implicit-def: $vgpr5
.LBB30_1549:
	s_mov_b64 s[2:3], 0
.LBB30_1550:
	s_andn2_b64 s[6:7], s[6:7], exec
	s_and_b64 s[8:9], s[16:17], exec
	s_and_b64 s[0:1], s[0:1], exec
	;; [unrolled: 1-line block ×3, first 2 shown]
	s_or_b64 s[6:7], s[6:7], s[8:9]
.LBB30_1551:
	s_or_b64 exec, exec, s[4:5]
	s_and_saveexec_b64 s[4:5], s[6:7]
	s_cbranch_execz .LBB30_1554
; %bb.1552:
	; divergent unreachable
	s_or_b64 exec, exec, s[4:5]
	s_and_saveexec_b64 s[4:5], s[2:3]
	s_xor_b64 s[2:3], exec, s[4:5]
	s_cbranch_execnz .LBB30_1555
.LBB30_1553:
	s_or_b64 exec, exec, s[2:3]
	s_and_saveexec_b64 s[2:3], s[0:1]
	s_cbranch_execnz .LBB30_1556
	s_branch .LBB30_1593
.LBB30_1554:
	s_or_b64 exec, exec, s[4:5]
	s_and_saveexec_b64 s[4:5], s[2:3]
	s_xor_b64 s[2:3], exec, s[4:5]
	s_cbranch_execz .LBB30_1553
.LBB30_1555:
	v_cmp_ne_u16_e32 vcc, 0, v5
	v_cndmask_b32_e64 v2, 0, 1, vcc
	global_store_byte v[0:1], v2, off
	s_or_b64 exec, exec, s[2:3]
	s_and_saveexec_b64 s[2:3], s[0:1]
	s_cbranch_execz .LBB30_1593
.LBB30_1556:
	s_waitcnt vmcnt(0)
	v_cmp_gt_i16_e32 vcc, 5, v4
	s_mov_b64 s[0:1], -1
	s_cbranch_vccnz .LBB30_1577
; %bb.1557:
	v_cmp_gt_i16_e32 vcc, 8, v4
	s_cbranch_vccnz .LBB30_1567
; %bb.1558:
	v_cmp_gt_i16_e32 vcc, 9, v4
	s_cbranch_vccnz .LBB30_1564
; %bb.1559:
	v_cmp_lt_i16_e32 vcc, 9, v4
	s_cbranch_vccz .LBB30_1561
; %bb.1560:
	v_lshlrev_b32_e32 v2, 16, v6
	v_mov_b32_e32 v10, 0
	v_cvt_f64_f32_e32 v[8:9], v2
	v_mov_b32_e32 v11, v10
	global_store_dwordx4 v[0:1], v[8:11], off
	s_mov_b64 s[0:1], 0
.LBB30_1561:
	s_andn2_b64 vcc, exec, s[0:1]
	s_cbranch_vccnz .LBB30_1563
; %bb.1562:
	v_lshlrev_b32_e32 v2, 16, v6
	v_mov_b32_e32 v3, 0
	global_store_dwordx2 v[0:1], v[2:3], off
.LBB30_1563:
	s_mov_b64 s[0:1], 0
.LBB30_1564:
	s_andn2_b64 vcc, exec, s[0:1]
	s_cbranch_vccnz .LBB30_1566
; %bb.1565:
	v_lshlrev_b32_e32 v2, 16, v6
	v_cvt_f16_f32_e32 v2, v2
	global_store_dword v[0:1], v2, off
.LBB30_1566:
	s_mov_b64 s[0:1], 0
.LBB30_1567:
	s_andn2_b64 vcc, exec, s[0:1]
	s_cbranch_vccnz .LBB30_1576
; %bb.1568:
	v_cmp_gt_i16_e32 vcc, 6, v4
	s_mov_b64 s[0:1], -1
	s_cbranch_vccnz .LBB30_1574
; %bb.1569:
	v_cmp_lt_i16_e32 vcc, 6, v4
	s_cbranch_vccz .LBB30_1571
; %bb.1570:
	v_lshlrev_b32_e32 v2, 16, v6
	v_cvt_f64_f32_e32 v[2:3], v2
	global_store_dwordx2 v[0:1], v[2:3], off
	s_mov_b64 s[0:1], 0
.LBB30_1571:
	s_andn2_b64 vcc, exec, s[0:1]
	s_cbranch_vccnz .LBB30_1573
; %bb.1572:
	v_lshlrev_b32_e32 v2, 16, v6
	global_store_dword v[0:1], v2, off
.LBB30_1573:
	s_mov_b64 s[0:1], 0
.LBB30_1574:
	s_andn2_b64 vcc, exec, s[0:1]
	s_cbranch_vccnz .LBB30_1576
; %bb.1575:
	v_lshlrev_b32_e32 v2, 16, v6
	v_cvt_f16_f32_e32 v2, v2
	global_store_short v[0:1], v2, off
.LBB30_1576:
	s_mov_b64 s[0:1], 0
.LBB30_1577:
	s_andn2_b64 vcc, exec, s[0:1]
	s_cbranch_vccnz .LBB30_1593
; %bb.1578:
	v_cmp_gt_i16_e32 vcc, 2, v4
	s_mov_b64 s[0:1], -1
	s_cbranch_vccnz .LBB30_1588
; %bb.1579:
	v_cmp_gt_i16_e32 vcc, 3, v4
	s_cbranch_vccnz .LBB30_1585
; %bb.1580:
	v_cmp_lt_i16_e32 vcc, 3, v4
	s_cbranch_vccz .LBB30_1582
; %bb.1581:
	v_lshlrev_b32_e32 v2, 16, v6
	v_trunc_f32_e32 v2, v2
	s_mov_b32 s0, 0x2f800000
	v_mul_f32_e64 v3, |v2|, s0
	v_floor_f32_e32 v3, v3
	s_mov_b32 s0, 0xcf800000
	v_cvt_u32_f32_e32 v5, v3
	v_fma_f32 v3, v3, s0, |v2|
	v_cvt_u32_f32_e32 v3, v3
	v_ashrrev_i32_e32 v7, 31, v2
	v_xor_b32_e32 v5, v5, v7
	s_mov_b64 s[0:1], 0
	v_xor_b32_e32 v2, v3, v7
	v_sub_co_u32_e32 v2, vcc, v2, v7
	v_subb_co_u32_e32 v3, vcc, v5, v7, vcc
	global_store_dwordx2 v[0:1], v[2:3], off
.LBB30_1582:
	s_andn2_b64 vcc, exec, s[0:1]
	s_cbranch_vccnz .LBB30_1584
; %bb.1583:
	v_lshlrev_b32_e32 v2, 16, v6
	v_cvt_i32_f32_e32 v2, v2
	global_store_dword v[0:1], v2, off
.LBB30_1584:
	s_mov_b64 s[0:1], 0
.LBB30_1585:
	s_andn2_b64 vcc, exec, s[0:1]
	s_cbranch_vccnz .LBB30_1587
; %bb.1586:
	v_lshlrev_b32_e32 v2, 16, v6
	v_cvt_i32_f32_e32 v2, v2
	global_store_short v[0:1], v2, off
.LBB30_1587:
	s_mov_b64 s[0:1], 0
.LBB30_1588:
	s_andn2_b64 vcc, exec, s[0:1]
	s_cbranch_vccnz .LBB30_1593
; %bb.1589:
	v_cmp_lt_i16_e32 vcc, 0, v4
	s_mov_b64 s[0:1], -1
	v_lshlrev_b32_e32 v2, 16, v6
	s_cbranch_vccz .LBB30_1591
; %bb.1590:
	v_cvt_i32_f32_e32 v3, v2
	s_mov_b64 s[0:1], 0
	global_store_byte v[0:1], v3, off
.LBB30_1591:
	s_andn2_b64 vcc, exec, s[0:1]
	s_cbranch_vccnz .LBB30_1593
; %bb.1592:
	v_trunc_f32_e32 v2, v2
	s_mov_b32 s0, 0x2f800000
	v_mul_f32_e64 v3, |v2|, s0
	v_floor_f32_e32 v3, v3
	s_mov_b32 s0, 0xcf800000
	v_fma_f32 v3, v3, s0, |v2|
	v_cvt_u32_f32_e32 v3, v3
	v_ashrrev_i32_e32 v2, 31, v2
	v_xor_b32_e32 v3, v3, v2
	v_sub_u32_e32 v2, v3, v2
	global_store_byte v[0:1], v2, off
	s_endpgm
.LBB30_1593:
	s_endpgm
.LBB30_1594:
	s_mov_b64 s[0:1], -1
	s_mov_b64 s[10:11], 0
	s_branch .LBB30_1670
.LBB30_1595:
	s_mov_b64 s[0:1], 0
	s_branch .LBB30_1609
.LBB30_1596:
	s_mov_b64 s[0:1], 0
	s_branch .LBB30_1605
.LBB30_1597:
	s_trap 2
	s_or_b64 s[16:17], s[16:17], exec
                                        ; implicit-def: $vgpr8
	s_cbranch_execz .LBB30_1489
	s_branch .LBB30_1490
.LBB30_1598:
	s_mov_b64 s[0:1], 0
.LBB30_1599:
	s_and_b64 vcc, exec, s[18:19]
	s_cbranch_vccz .LBB30_1604
; %bb.1600:
	v_mov_b32_e32 v4, 44
	v_cmp_eq_u16_sdwa s[18:19], s15, v4 src0_sel:BYTE_0 src1_sel:DWORD
	s_mov_b64 s[0:1], -1
	s_and_b64 vcc, exec, s[18:19]
	s_cbranch_vccz .LBB30_1604
; %bb.1601:
	v_and_b32_e32 v9, 0xffff, v3
	v_bfe_u32 v4, v9, 7, 8
	s_movk_i32 s0, 0xff
	v_cmp_ne_u32_e32 vcc, s0, v4
	v_mov_b32_e32 v10, 0xff
	s_and_saveexec_b64 s[10:11], vcc
; %bb.1602:
	v_lshlrev_b32_e32 v11, 16, v9
	s_mov_b32 s0, 0x3f0000
	v_lshrrev_b32_e32 v10, 7, v9
	v_and_b32_e32 v9, 64, v9
	v_and_or_b32 v4, v11, s0, v4
	v_cmp_ne_u32_e32 vcc, 0, v9
	v_cmp_ne_u32_e64 s[0:1], 0, v4
	s_and_b64 s[0:1], vcc, s[0:1]
	v_cndmask_b32_e64 v4, 0, 1, s[0:1]
	v_add_u32_e32 v10, v10, v4
; %bb.1603:
	s_or_b64 exec, exec, s[10:11]
	s_mov_b64 s[0:1], 0
	s_mov_b64 s[10:11], -1
	global_store_byte v[0:1], v10, off
.LBB30_1604:
	s_mov_b64 s[18:19], 0
.LBB30_1605:
	s_and_b64 vcc, exec, s[18:19]
	s_cbranch_vccz .LBB30_1608
; %bb.1606:
	v_mov_b32_e32 v4, 29
	v_cmp_eq_u16_sdwa s[18:19], s15, v4 src0_sel:BYTE_0 src1_sel:DWORD
	s_mov_b64 s[0:1], -1
	s_and_b64 vcc, exec, s[18:19]
	s_cbranch_vccz .LBB30_1608
; %bb.1607:
	v_lshlrev_b32_e32 v4, 16, v3
	v_trunc_f32_e32 v4, v4
	v_mul_f32_e32 v9, 0x2f800000, v4
	v_floor_f32_e32 v9, v9
	v_fmac_f32_e32 v4, 0xcf800000, v9
	v_cvt_u32_f32_e32 v11, v9
	v_cvt_u32_f32_e32 v10, v4
	s_mov_b64 s[0:1], 0
	s_mov_b64 s[10:11], -1
	s_mov_b64 s[18:19], 0
	global_store_dwordx2 v[0:1], v[10:11], off
	s_branch .LBB30_1609
.LBB30_1608:
	s_mov_b64 s[18:19], 0
.LBB30_1609:
	s_and_b64 vcc, exec, s[18:19]
	s_cbranch_vccz .LBB30_1625
; %bb.1610:
	v_mov_b32_e32 v4, 27
	v_cmp_lt_i16_sdwa s[18:19], s15, v4 src0_sel:BYTE_0 src1_sel:DWORD
	s_mov_b64 s[10:11], -1
	s_and_b64 vcc, exec, s[18:19]
	s_cbranch_vccnz .LBB30_1616
; %bb.1611:
	v_cmp_gt_i16_sdwa s[18:19], s15, v4 src0_sel:BYTE_0 src1_sel:DWORD
	s_and_b64 vcc, exec, s[18:19]
	s_cbranch_vccz .LBB30_1613
; %bb.1612:
	v_lshlrev_b32_e32 v4, 16, v3
	v_cvt_u32_f32_e32 v4, v4
	s_mov_b64 s[10:11], 0
	global_store_dword v[0:1], v4, off
.LBB30_1613:
	s_andn2_b64 vcc, exec, s[10:11]
	s_cbranch_vccnz .LBB30_1615
; %bb.1614:
	v_lshlrev_b32_e32 v4, 16, v3
	v_cvt_u32_f32_e32 v4, v4
	global_store_short v[0:1], v4, off
.LBB30_1615:
	s_mov_b64 s[10:11], 0
.LBB30_1616:
	s_andn2_b64 vcc, exec, s[10:11]
	s_cbranch_vccnz .LBB30_1624
; %bb.1617:
	v_lshlrev_b32_e32 v10, 16, v3
	v_and_b32_e32 v9, 0x7fffffff, v10
	s_mov_b32 s10, 0x43800000
	v_cmp_gt_u32_e32 vcc, s10, v9
	v_mov_b32_e32 v11, 0x80
	s_and_saveexec_b64 s[10:11], vcc
	s_cbranch_execz .LBB30_1623
; %bb.1618:
	s_mov_b32 s13, 0x3bffffff
	v_and_b32_e32 v4, 0xffff, v3
	v_cmp_lt_u32_e32 vcc, s13, v9
	s_mov_b64 s[18:19], 0
                                        ; implicit-def: $vgpr9
	s_and_saveexec_b64 s[20:21], vcc
	s_xor_b64 s[20:21], exec, s[20:21]
	s_cbranch_execz .LBB30_1719
; %bb.1619:
	v_bfe_u32 v9, v4, 4, 1
	s_mov_b32 s13, 0x487ffff
	v_add3_u32 v9, v10, v9, s13
	s_mov_b64 s[18:19], exec
	v_lshrrev_b32_e32 v9, 20, v9
                                        ; implicit-def: $vgpr10
	s_or_saveexec_b64 s[20:21], s[20:21]
                                        ; implicit-def: $sgpr13
	s_xor_b64 exec, exec, s[20:21]
	s_cbranch_execnz .LBB30_1720
.LBB30_1620:
	s_or_b64 exec, exec, s[20:21]
	v_mov_b32_e32 v11, s13
	s_and_saveexec_b64 s[20:21], s[18:19]
.LBB30_1621:
	v_lshrrev_b32_e32 v4, 8, v4
	s_movk_i32 s13, 0x80
	v_and_or_b32 v11, v4, s13, v9
.LBB30_1622:
	s_or_b64 exec, exec, s[20:21]
.LBB30_1623:
	s_or_b64 exec, exec, s[10:11]
	global_store_byte v[0:1], v11, off
.LBB30_1624:
	s_mov_b64 s[10:11], -1
.LBB30_1625:
	s_mov_b64 s[18:19], 0
.LBB30_1626:
	s_and_b64 vcc, exec, s[18:19]
	s_cbranch_vccz .LBB30_1666
; %bb.1627:
	v_mov_b32_e32 v4, 22
	v_cmp_gt_i16_sdwa s[18:19], s15, v4 src0_sel:BYTE_0 src1_sel:DWORD
	s_mov_b64 s[2:3], -1
	s_and_b64 vcc, exec, s[18:19]
	s_cbranch_vccz .LBB30_1659
; %bb.1628:
	v_mov_b32_e32 v4, 24
	v_cmp_lt_i16_sdwa s[10:11], s15, v4 src0_sel:BYTE_0 src1_sel:DWORD
	s_and_b64 vcc, exec, s[10:11]
	s_cbranch_vccnz .LBB30_1648
; %bb.1629:
	v_cmp_gt_i16_sdwa s[10:11], s15, v4 src0_sel:BYTE_0 src1_sel:DWORD
	s_and_b64 vcc, exec, s[10:11]
	s_cbranch_vccz .LBB30_1637
; %bb.1630:
	v_lshlrev_b32_e32 v10, 16, v3
	v_and_b32_e32 v9, 0x7fffffff, v10
	s_mov_b32 s2, 0x47800000
	v_cmp_gt_u32_e32 vcc, s2, v9
	v_mov_b32_e32 v11, 0x80
	s_and_saveexec_b64 s[2:3], vcc
	s_cbranch_execz .LBB30_1636
; %bb.1631:
	s_mov_b32 s10, 0x37ffffff
	v_and_b32_e32 v4, 0xffff, v3
	v_cmp_lt_u32_e32 vcc, s10, v9
	s_mov_b64 s[10:11], 0
                                        ; implicit-def: $vgpr9
	s_and_saveexec_b64 s[18:19], vcc
	s_xor_b64 s[18:19], exec, s[18:19]
	s_cbranch_execz .LBB30_1723
; %bb.1632:
	v_bfe_u32 v9, v4, 5, 1
	s_mov_b32 s13, 0x88fffff
	v_add3_u32 v9, v10, v9, s13
	s_mov_b64 s[10:11], exec
	v_lshrrev_b32_e32 v9, 21, v9
                                        ; implicit-def: $vgpr10
	s_or_saveexec_b64 s[18:19], s[18:19]
                                        ; implicit-def: $sgpr13
	s_xor_b64 exec, exec, s[18:19]
	s_cbranch_execnz .LBB30_1724
.LBB30_1633:
	s_or_b64 exec, exec, s[18:19]
	v_mov_b32_e32 v11, s13
	s_and_saveexec_b64 s[18:19], s[10:11]
.LBB30_1634:
	v_lshrrev_b32_e32 v4, 8, v4
	s_movk_i32 s10, 0x80
	v_and_or_b32 v11, v4, s10, v9
.LBB30_1635:
	s_or_b64 exec, exec, s[18:19]
.LBB30_1636:
	s_or_b64 exec, exec, s[2:3]
	s_mov_b64 s[2:3], 0
	global_store_byte v[0:1], v11, off
.LBB30_1637:
	s_and_b64 vcc, exec, s[2:3]
	s_cbranch_vccz .LBB30_1647
; %bb.1638:
	v_lshlrev_b32_e32 v10, 16, v3
	v_and_b32_e32 v11, 0x7fffffff, v10
	s_mov_b32 s2, 0x43f00000
	v_and_b32_e32 v4, 0xffff, v3
	v_cmp_gt_u32_e32 vcc, s2, v11
                                        ; implicit-def: $vgpr9
	s_and_saveexec_b64 s[2:3], vcc
	s_xor_b64 s[2:3], exec, s[2:3]
	s_cbranch_execz .LBB30_1644
; %bb.1639:
	s_mov_b32 s10, 0x3c7fffff
	v_cmp_lt_u32_e32 vcc, s10, v11
                                        ; implicit-def: $vgpr9
	s_and_saveexec_b64 s[10:11], vcc
	s_xor_b64 s[10:11], exec, s[10:11]
; %bb.1640:
	v_bfe_u32 v9, v4, 4, 1
	s_mov_b32 s13, 0x407ffff
	v_add3_u32 v9, v10, v9, s13
	v_lshrrev_b32_e32 v10, 20, v9
	v_and_b32_e32 v9, 0xff00000, v9
	s_mov_b32 s13, 0x7f00000
	v_mov_b32_e32 v11, 0x7e
	v_cmp_ne_u32_e32 vcc, s13, v9
	v_cndmask_b32_e32 v9, v11, v10, vcc
                                        ; implicit-def: $vgpr10
; %bb.1641:
	s_andn2_saveexec_b64 s[10:11], s[10:11]
; %bb.1642:
	s_mov_b32 s13, 0x46800000
	v_add_f32_e64 v9, |v10|, s13
; %bb.1643:
	s_or_b64 exec, exec, s[10:11]
                                        ; implicit-def: $vgpr11
.LBB30_1644:
	s_andn2_saveexec_b64 s[2:3], s[2:3]
; %bb.1645:
	s_mov_b32 s10, 0x7f800000
	v_mov_b32_e32 v9, 0x7e
	v_mov_b32_e32 v10, 0x7f
	v_cmp_lt_u32_e32 vcc, s10, v11
	v_cndmask_b32_e32 v9, v9, v10, vcc
; %bb.1646:
	s_or_b64 exec, exec, s[2:3]
	v_lshrrev_b32_e32 v4, 8, v4
	s_movk_i32 s2, 0x80
	v_and_or_b32 v4, v4, s2, v9
	global_store_byte v[0:1], v4, off
.LBB30_1647:
	s_mov_b64 s[2:3], 0
.LBB30_1648:
	s_andn2_b64 vcc, exec, s[2:3]
	s_cbranch_vccnz .LBB30_1658
; %bb.1649:
	v_lshlrev_b32_e32 v10, 16, v3
	v_and_b32_e32 v11, 0x7fffffff, v10
	s_mov_b32 s2, 0x47800000
	v_and_b32_e32 v4, 0xffff, v3
	v_cmp_gt_u32_e32 vcc, s2, v11
                                        ; implicit-def: $vgpr9
	s_and_saveexec_b64 s[2:3], vcc
	s_xor_b64 s[2:3], exec, s[2:3]
	s_cbranch_execz .LBB30_1655
; %bb.1650:
	s_mov_b32 s10, 0x387fffff
	v_cmp_lt_u32_e32 vcc, s10, v11
                                        ; implicit-def: $vgpr9
	s_and_saveexec_b64 s[10:11], vcc
	s_xor_b64 s[10:11], exec, s[10:11]
; %bb.1651:
	v_bfe_u32 v9, v4, 5, 1
	s_mov_b32 s13, 0x80fffff
	v_add3_u32 v9, v10, v9, s13
	v_lshrrev_b32_e32 v9, 21, v9
                                        ; implicit-def: $vgpr10
; %bb.1652:
	s_andn2_saveexec_b64 s[10:11], s[10:11]
; %bb.1653:
	s_mov_b32 s13, 0x43000000
	v_add_f32_e64 v9, |v10|, s13
; %bb.1654:
	s_or_b64 exec, exec, s[10:11]
                                        ; implicit-def: $vgpr11
.LBB30_1655:
	s_andn2_saveexec_b64 s[2:3], s[2:3]
; %bb.1656:
	s_mov_b32 s10, 0x7f800000
	v_mov_b32_e32 v9, 0x7c
	v_mov_b32_e32 v10, 0x7f
	v_cmp_lt_u32_e32 vcc, s10, v11
	v_cndmask_b32_e32 v9, v9, v10, vcc
; %bb.1657:
	s_or_b64 exec, exec, s[2:3]
	v_lshrrev_b32_e32 v4, 8, v4
	s_movk_i32 s2, 0x80
	v_and_or_b32 v4, v4, s2, v9
	global_store_byte v[0:1], v4, off
.LBB30_1658:
	s_mov_b64 s[2:3], 0
	s_mov_b64 s[10:11], -1
.LBB30_1659:
	s_andn2_b64 vcc, exec, s[2:3]
	s_mov_b64 s[2:3], 0
	s_cbranch_vccnz .LBB30_1666
; %bb.1660:
	v_mov_b32_e32 v4, 14
	v_cmp_gt_i16_sdwa s[2:3], s15, v4 src0_sel:BYTE_0 src1_sel:DWORD
	s_mov_b64 s[18:19], -1
	s_and_b64 vcc, exec, s[2:3]
	s_cbranch_vccz .LBB30_1664
; %bb.1661:
	v_mov_b32_e32 v4, 15
	v_cmp_eq_u16_sdwa s[2:3], s15, v4 src0_sel:BYTE_0 src1_sel:DWORD
	s_mov_b64 s[0:1], -1
	s_and_b64 vcc, exec, s[2:3]
	s_cbranch_vccz .LBB30_1663
; %bb.1662:
	global_store_short v[0:1], v3, off
	s_mov_b64 s[0:1], 0
	s_mov_b64 s[10:11], -1
.LBB30_1663:
	s_mov_b64 s[18:19], 0
.LBB30_1664:
	s_mov_b64 s[2:3], 0
	s_and_b64 vcc, exec, s[18:19]
	s_cbranch_vccz .LBB30_1666
; %bb.1665:
	v_mov_b32_e32 v4, 11
	v_cmp_ne_u16_sdwa s[0:1], s15, v4 src0_sel:BYTE_0 src1_sel:DWORD
	s_mov_b64 s[2:3], -1
.LBB30_1666:
	s_and_b64 vcc, exec, s[0:1]
	s_cbranch_vccnz .LBB30_1722
; %bb.1667:
	s_andn2_b64 vcc, exec, s[2:3]
	s_cbranch_vccnz .LBB30_1669
.LBB30_1668:
	v_cmp_ne_u16_e32 vcc, 0, v5
	v_cndmask_b32_e64 v4, 0, 1, vcc
	s_mov_b64 s[10:11], -1
	global_store_byte v[0:1], v4, off
.LBB30_1669:
	s_mov_b64 s[0:1], 0
.LBB30_1670:
	s_and_b64 vcc, exec, s[0:1]
	s_cbranch_vccz .LBB30_1709
; %bb.1671:
	v_mov_b32_e32 v4, 5
	v_cmp_lt_i16_sdwa s[2:3], s15, v4 src0_sel:BYTE_0 src1_sel:DWORD
	s_mov_b64 s[0:1], -1
	s_and_b64 vcc, exec, s[2:3]
	s_cbranch_vccnz .LBB30_1692
; %bb.1672:
	v_mov_b32_e32 v4, 8
	v_cmp_lt_i16_sdwa s[2:3], s15, v4 src0_sel:BYTE_0 src1_sel:DWORD
	s_and_b64 vcc, exec, s[2:3]
	s_cbranch_vccnz .LBB30_1682
; %bb.1673:
	v_mov_b32_e32 v4, 9
	v_cmp_lt_i16_sdwa s[2:3], s15, v4 src0_sel:BYTE_0 src1_sel:DWORD
	s_and_b64 vcc, exec, s[2:3]
	s_cbranch_vccnz .LBB30_1679
; %bb.1674:
	v_cmp_gt_i16_sdwa s[2:3], s15, v4 src0_sel:BYTE_0 src1_sel:DWORD
	s_and_b64 vcc, exec, s[2:3]
	s_cbranch_vccz .LBB30_1676
; %bb.1675:
	v_lshlrev_b32_e32 v4, 16, v3
	v_mov_b32_e32 v12, 0
	v_cvt_f64_f32_e32 v[10:11], v4
	v_mov_b32_e32 v13, v12
	global_store_dwordx4 v[0:1], v[10:13], off
	s_mov_b64 s[0:1], 0
.LBB30_1676:
	s_andn2_b64 vcc, exec, s[0:1]
	s_cbranch_vccnz .LBB30_1678
; %bb.1677:
	v_lshlrev_b32_e32 v10, 16, v3
	v_mov_b32_e32 v11, 0
	global_store_dwordx2 v[0:1], v[10:11], off
.LBB30_1678:
	s_mov_b64 s[0:1], 0
.LBB30_1679:
	s_andn2_b64 vcc, exec, s[0:1]
	s_cbranch_vccnz .LBB30_1681
; %bb.1680:
	v_lshlrev_b32_e32 v4, 16, v3
	v_cvt_f16_f32_e32 v4, v4
	global_store_dword v[0:1], v4, off
.LBB30_1681:
	s_mov_b64 s[0:1], 0
.LBB30_1682:
	s_andn2_b64 vcc, exec, s[0:1]
	s_cbranch_vccnz .LBB30_1691
; %bb.1683:
	v_mov_b32_e32 v4, 6
	v_cmp_lt_i16_sdwa s[2:3], s15, v4 src0_sel:BYTE_0 src1_sel:DWORD
	s_mov_b64 s[0:1], -1
	s_and_b64 vcc, exec, s[2:3]
	s_cbranch_vccnz .LBB30_1689
; %bb.1684:
	v_cmp_gt_i16_sdwa s[2:3], s15, v4 src0_sel:BYTE_0 src1_sel:DWORD
	s_and_b64 vcc, exec, s[2:3]
	s_cbranch_vccz .LBB30_1686
; %bb.1685:
	v_lshlrev_b32_e32 v4, 16, v3
	v_cvt_f64_f32_e32 v[10:11], v4
	global_store_dwordx2 v[0:1], v[10:11], off
	s_mov_b64 s[0:1], 0
.LBB30_1686:
	s_andn2_b64 vcc, exec, s[0:1]
	s_cbranch_vccnz .LBB30_1688
; %bb.1687:
	v_lshlrev_b32_e32 v4, 16, v3
	global_store_dword v[0:1], v4, off
.LBB30_1688:
	s_mov_b64 s[0:1], 0
.LBB30_1689:
	s_andn2_b64 vcc, exec, s[0:1]
	s_cbranch_vccnz .LBB30_1691
; %bb.1690:
	v_lshlrev_b32_e32 v4, 16, v3
	v_cvt_f16_f32_e32 v4, v4
	global_store_short v[0:1], v4, off
.LBB30_1691:
	s_mov_b64 s[0:1], 0
.LBB30_1692:
	s_andn2_b64 vcc, exec, s[0:1]
	s_cbranch_vccnz .LBB30_1708
; %bb.1693:
	v_mov_b32_e32 v4, 2
	v_cmp_lt_i16_sdwa s[2:3], s15, v4 src0_sel:BYTE_0 src1_sel:DWORD
	s_mov_b64 s[0:1], -1
	s_and_b64 vcc, exec, s[2:3]
	s_cbranch_vccnz .LBB30_1703
; %bb.1694:
	v_mov_b32_e32 v4, 3
	v_cmp_lt_i16_sdwa s[2:3], s15, v4 src0_sel:BYTE_0 src1_sel:DWORD
	s_and_b64 vcc, exec, s[2:3]
	s_cbranch_vccnz .LBB30_1700
; %bb.1695:
	v_cmp_gt_i16_sdwa s[2:3], s15, v4 src0_sel:BYTE_0 src1_sel:DWORD
	s_and_b64 vcc, exec, s[2:3]
	s_cbranch_vccz .LBB30_1697
; %bb.1696:
	v_lshlrev_b32_e32 v4, 16, v3
	v_trunc_f32_e32 v4, v4
	s_mov_b32 s0, 0x2f800000
	v_mul_f32_e64 v9, |v4|, s0
	v_floor_f32_e32 v9, v9
	s_mov_b32 s0, 0xcf800000
	v_cvt_u32_f32_e32 v10, v9
	v_fma_f32 v9, v9, s0, |v4|
	v_cvt_u32_f32_e32 v9, v9
	v_ashrrev_i32_e32 v4, 31, v4
	v_xor_b32_e32 v11, v10, v4
	s_mov_b64 s[0:1], 0
	v_xor_b32_e32 v9, v9, v4
	v_sub_co_u32_e32 v10, vcc, v9, v4
	v_subb_co_u32_e32 v11, vcc, v11, v4, vcc
	global_store_dwordx2 v[0:1], v[10:11], off
.LBB30_1697:
	s_andn2_b64 vcc, exec, s[0:1]
	s_cbranch_vccnz .LBB30_1699
; %bb.1698:
	v_lshlrev_b32_e32 v4, 16, v3
	v_cvt_i32_f32_e32 v4, v4
	global_store_dword v[0:1], v4, off
.LBB30_1699:
	s_mov_b64 s[0:1], 0
.LBB30_1700:
	s_andn2_b64 vcc, exec, s[0:1]
	s_cbranch_vccnz .LBB30_1702
; %bb.1701:
	v_lshlrev_b32_e32 v4, 16, v3
	v_cvt_i32_f32_e32 v4, v4
	global_store_short v[0:1], v4, off
.LBB30_1702:
	s_mov_b64 s[0:1], 0
.LBB30_1703:
	s_andn2_b64 vcc, exec, s[0:1]
	s_cbranch_vccnz .LBB30_1708
; %bb.1704:
	v_mov_b32_e32 v4, 0
	v_cmp_gt_i16_sdwa s[2:3], s15, v4 src0_sel:BYTE_0 src1_sel:DWORD
	s_mov_b64 s[0:1], -1
	s_and_b64 vcc, exec, s[2:3]
	v_lshlrev_b32_e32 v3, 16, v3
	s_cbranch_vccz .LBB30_1706
; %bb.1705:
	v_cvt_i32_f32_e32 v4, v3
	s_mov_b64 s[0:1], 0
	global_store_byte v[0:1], v4, off
.LBB30_1706:
	s_andn2_b64 vcc, exec, s[0:1]
	s_cbranch_vccnz .LBB30_1708
; %bb.1707:
	v_trunc_f32_e32 v3, v3
	s_mov_b32 s0, 0x2f800000
	v_mul_f32_e64 v4, |v3|, s0
	v_floor_f32_e32 v4, v4
	s_mov_b32 s0, 0xcf800000
	v_fma_f32 v4, v4, s0, |v3|
	v_cvt_u32_f32_e32 v4, v4
	v_ashrrev_i32_e32 v3, 31, v3
	v_xor_b32_e32 v4, v4, v3
	v_sub_u32_e32 v3, v4, v3
	global_store_byte v[0:1], v3, off
.LBB30_1708:
	s_mov_b64 s[10:11], -1
.LBB30_1709:
	s_andn2_b64 vcc, exec, s[10:11]
	s_cbranch_vccnz .LBB30_2040
; %bb.1710:
	s_lshl_b32 s14, s12, 7
	s_waitcnt vmcnt(0)
	v_and_b32_e32 v0, 0xffff8000, v6
	v_add_u32_e32 v2, s14, v2
	v_or_b32_e32 v3, v0, v5
	v_ashrrev_i32_e32 v1, 31, v2
	v_mov_b32_e32 v4, s9
	v_add_co_u32_e32 v0, vcc, s8, v2
	v_addc_co_u32_e32 v1, vcc, v4, v1, vcc
	v_mov_b32_e32 v4, 11
	v_cmp_lt_i16_sdwa s[0:1], s15, v4 src0_sel:BYTE_0 src1_sel:DWORD
	s_and_b64 vcc, exec, s[0:1]
	s_cbranch_vccnz .LBB30_1717
; %bb.1711:
	v_mov_b32_e32 v4, 25
	v_cmp_gt_i16_sdwa s[0:1], s15, v4 src0_sel:BYTE_0 src1_sel:DWORD
	s_mov_b64 s[12:13], -1
	s_mov_b64 s[2:3], 0
	s_and_b64 vcc, exec, s[0:1]
	s_mov_b64 s[10:11], 0
	s_mov_b64 s[0:1], 0
	s_cbranch_vccz .LBB30_1753
; %bb.1712:
	v_mov_b32_e32 v4, 28
	v_cmp_gt_i16_sdwa s[0:1], s15, v4 src0_sel:BYTE_0 src1_sel:DWORD
	s_and_b64 vcc, exec, s[0:1]
	s_cbranch_vccz .LBB30_1718
; %bb.1713:
	v_mov_b32_e32 v4, 43
	v_cmp_gt_i16_sdwa s[0:1], s15, v4 src0_sel:BYTE_0 src1_sel:DWORD
	s_and_b64 vcc, exec, s[0:1]
	;; [unrolled: 5-line block ×3, first 2 shown]
	s_cbranch_vccz .LBB30_1725
; %bb.1715:
	v_mov_b32_e32 v4, 46
	v_cmp_eq_u16_sdwa s[10:11], s15, v4 src0_sel:BYTE_0 src1_sel:DWORD
	s_mov_b64 s[0:1], -1
	s_mov_b64 s[12:13], 0
	s_and_b64 vcc, exec, s[10:11]
	s_mov_b64 s[10:11], 0
	s_cbranch_vccz .LBB30_1726
; %bb.1716:
	v_and_b32_e32 v4, 0xffff, v3
	global_store_dword v[0:1], v4, off
	s_mov_b64 s[0:1], 0
	s_mov_b64 s[10:11], -1
	s_branch .LBB30_1726
.LBB30_1717:
	s_mov_b64 s[0:1], -1
	s_mov_b64 s[10:11], 0
	s_branch .LBB30_1797
.LBB30_1718:
	s_mov_b64 s[0:1], 0
	s_branch .LBB30_1736
.LBB30_1719:
	s_or_saveexec_b64 s[20:21], s[20:21]
                                        ; implicit-def: $sgpr13
	s_xor_b64 exec, exec, s[20:21]
	s_cbranch_execz .LBB30_1620
.LBB30_1720:
	s_mov_b32 s13, 0x46000000
	v_add_f32_e64 v9, |v10|, s13
	v_and_b32_e32 v9, 0xff, v9
	v_cmp_ne_u32_e32 vcc, 0, v9
	s_andn2_b64 s[18:19], s[18:19], exec
	s_and_b64 s[22:23], vcc, exec
	s_mov_b32 s13, 0
	s_or_b64 s[18:19], s[18:19], s[22:23]
	s_or_b64 exec, exec, s[20:21]
	v_mov_b32_e32 v11, s13
	s_and_saveexec_b64 s[20:21], s[18:19]
	s_cbranch_execnz .LBB30_1621
	s_branch .LBB30_1622
.LBB30_1721:
	s_mov_b64 s[0:1], 0
	s_branch .LBB30_1732
.LBB30_1722:
	s_trap 2
	s_or_b64 s[16:17], s[16:17], exec
	s_cbranch_execz .LBB30_1668
	s_branch .LBB30_1669
.LBB30_1723:
	s_or_saveexec_b64 s[18:19], s[18:19]
                                        ; implicit-def: $sgpr13
	s_xor_b64 exec, exec, s[18:19]
	s_cbranch_execz .LBB30_1633
.LBB30_1724:
	s_mov_b32 s13, 0x42800000
	v_add_f32_e64 v9, |v10|, s13
	v_and_b32_e32 v9, 0xff, v9
	v_cmp_ne_u32_e32 vcc, 0, v9
	s_andn2_b64 s[10:11], s[10:11], exec
	s_and_b64 s[20:21], vcc, exec
	s_mov_b32 s13, 0
	s_or_b64 s[10:11], s[10:11], s[20:21]
	s_or_b64 exec, exec, s[18:19]
	v_mov_b32_e32 v11, s13
	s_and_saveexec_b64 s[18:19], s[10:11]
	s_cbranch_execnz .LBB30_1634
	s_branch .LBB30_1635
.LBB30_1725:
	s_mov_b64 s[0:1], 0
.LBB30_1726:
	s_and_b64 vcc, exec, s[12:13]
	s_cbranch_vccz .LBB30_1731
; %bb.1727:
	v_mov_b32_e32 v4, 44
	v_cmp_eq_u16_sdwa s[12:13], s15, v4 src0_sel:BYTE_0 src1_sel:DWORD
	s_mov_b64 s[0:1], -1
	s_and_b64 vcc, exec, s[12:13]
	s_cbranch_vccz .LBB30_1731
; %bb.1728:
	v_and_b32_e32 v6, 0xffff, v3
	v_bfe_u32 v4, v6, 7, 8
	s_movk_i32 s0, 0xff
	v_cmp_ne_u32_e32 vcc, s0, v4
	v_mov_b32_e32 v9, 0xff
	s_and_saveexec_b64 s[10:11], vcc
; %bb.1729:
	v_lshlrev_b32_e32 v10, 16, v6
	s_mov_b32 s0, 0x3f0000
	v_lshrrev_b32_e32 v9, 7, v6
	v_and_b32_e32 v6, 64, v6
	v_and_or_b32 v4, v10, s0, v4
	v_cmp_ne_u32_e32 vcc, 0, v6
	v_cmp_ne_u32_e64 s[0:1], 0, v4
	s_and_b64 s[0:1], vcc, s[0:1]
	v_cndmask_b32_e64 v4, 0, 1, s[0:1]
	v_add_u32_e32 v9, v9, v4
; %bb.1730:
	s_or_b64 exec, exec, s[10:11]
	s_mov_b64 s[0:1], 0
	s_mov_b64 s[10:11], -1
	global_store_byte v[0:1], v9, off
.LBB30_1731:
	s_mov_b64 s[12:13], 0
.LBB30_1732:
	s_and_b64 vcc, exec, s[12:13]
	s_cbranch_vccz .LBB30_1735
; %bb.1733:
	v_mov_b32_e32 v4, 29
	v_cmp_eq_u16_sdwa s[12:13], s15, v4 src0_sel:BYTE_0 src1_sel:DWORD
	s_mov_b64 s[0:1], -1
	s_and_b64 vcc, exec, s[12:13]
	s_cbranch_vccz .LBB30_1735
; %bb.1734:
	v_lshlrev_b32_e32 v4, 16, v3
	v_trunc_f32_e32 v4, v4
	v_mul_f32_e32 v6, 0x2f800000, v4
	v_floor_f32_e32 v6, v6
	v_fmac_f32_e32 v4, 0xcf800000, v6
	v_cvt_u32_f32_e32 v11, v6
	v_cvt_u32_f32_e32 v10, v4
	s_mov_b64 s[0:1], 0
	s_mov_b64 s[10:11], -1
	s_mov_b64 s[12:13], 0
	global_store_dwordx2 v[0:1], v[10:11], off
	s_branch .LBB30_1736
.LBB30_1735:
	s_mov_b64 s[12:13], 0
.LBB30_1736:
	s_and_b64 vcc, exec, s[12:13]
	s_cbranch_vccz .LBB30_1752
; %bb.1737:
	v_mov_b32_e32 v4, 27
	v_cmp_lt_i16_sdwa s[12:13], s15, v4 src0_sel:BYTE_0 src1_sel:DWORD
	s_mov_b64 s[10:11], -1
	s_and_b64 vcc, exec, s[12:13]
	s_cbranch_vccnz .LBB30_1743
; %bb.1738:
	v_cmp_gt_i16_sdwa s[12:13], s15, v4 src0_sel:BYTE_0 src1_sel:DWORD
	s_and_b64 vcc, exec, s[12:13]
	s_cbranch_vccz .LBB30_1740
; %bb.1739:
	v_lshlrev_b32_e32 v4, 16, v3
	v_cvt_u32_f32_e32 v4, v4
	s_mov_b64 s[10:11], 0
	global_store_dword v[0:1], v4, off
.LBB30_1740:
	s_andn2_b64 vcc, exec, s[10:11]
	s_cbranch_vccnz .LBB30_1742
; %bb.1741:
	v_lshlrev_b32_e32 v4, 16, v3
	v_cvt_u32_f32_e32 v4, v4
	global_store_short v[0:1], v4, off
.LBB30_1742:
	s_mov_b64 s[10:11], 0
.LBB30_1743:
	s_andn2_b64 vcc, exec, s[10:11]
	s_cbranch_vccnz .LBB30_1751
; %bb.1744:
	v_lshlrev_b32_e32 v9, 16, v3
	v_and_b32_e32 v6, 0x7fffffff, v9
	s_mov_b32 s10, 0x43800000
	v_cmp_gt_u32_e32 vcc, s10, v6
	v_mov_b32_e32 v10, 0x80
	s_and_saveexec_b64 s[10:11], vcc
	s_cbranch_execz .LBB30_1750
; %bb.1745:
	s_mov_b32 s12, 0x3bffffff
	v_and_b32_e32 v4, 0xffff, v3
	v_cmp_lt_u32_e32 vcc, s12, v6
	s_mov_b64 s[12:13], 0
                                        ; implicit-def: $vgpr6
	s_and_saveexec_b64 s[18:19], vcc
	s_xor_b64 s[18:19], exec, s[18:19]
	s_cbranch_execz .LBB30_1846
; %bb.1746:
	v_bfe_u32 v6, v4, 4, 1
	s_mov_b32 s20, 0x487ffff
	v_add3_u32 v6, v9, v6, s20
	s_mov_b64 s[12:13], exec
	v_lshrrev_b32_e32 v6, 20, v6
                                        ; implicit-def: $vgpr9
	s_or_saveexec_b64 s[18:19], s[18:19]
                                        ; implicit-def: $sgpr20
	s_xor_b64 exec, exec, s[18:19]
	s_cbranch_execnz .LBB30_1847
.LBB30_1747:
	s_or_b64 exec, exec, s[18:19]
	v_mov_b32_e32 v10, s20
	s_and_saveexec_b64 s[18:19], s[12:13]
.LBB30_1748:
	v_lshrrev_b32_e32 v4, 8, v4
	s_movk_i32 s12, 0x80
	v_and_or_b32 v10, v4, s12, v6
.LBB30_1749:
	s_or_b64 exec, exec, s[18:19]
.LBB30_1750:
	s_or_b64 exec, exec, s[10:11]
	global_store_byte v[0:1], v10, off
.LBB30_1751:
	s_mov_b64 s[10:11], -1
.LBB30_1752:
	s_mov_b64 s[12:13], 0
.LBB30_1753:
	s_and_b64 vcc, exec, s[12:13]
	s_cbranch_vccz .LBB30_1793
; %bb.1754:
	v_mov_b32_e32 v4, 22
	v_cmp_gt_i16_sdwa s[12:13], s15, v4 src0_sel:BYTE_0 src1_sel:DWORD
	s_mov_b64 s[2:3], -1
	s_and_b64 vcc, exec, s[12:13]
	s_cbranch_vccz .LBB30_1786
; %bb.1755:
	v_mov_b32_e32 v4, 24
	v_cmp_lt_i16_sdwa s[10:11], s15, v4 src0_sel:BYTE_0 src1_sel:DWORD
	s_and_b64 vcc, exec, s[10:11]
	s_cbranch_vccnz .LBB30_1775
; %bb.1756:
	v_cmp_gt_i16_sdwa s[10:11], s15, v4 src0_sel:BYTE_0 src1_sel:DWORD
	s_and_b64 vcc, exec, s[10:11]
	s_cbranch_vccz .LBB30_1764
; %bb.1757:
	v_lshlrev_b32_e32 v9, 16, v3
	v_and_b32_e32 v6, 0x7fffffff, v9
	s_mov_b32 s2, 0x47800000
	v_cmp_gt_u32_e32 vcc, s2, v6
	v_mov_b32_e32 v10, 0x80
	s_and_saveexec_b64 s[2:3], vcc
	s_cbranch_execz .LBB30_1763
; %bb.1758:
	s_mov_b32 s10, 0x37ffffff
	v_and_b32_e32 v4, 0xffff, v3
	v_cmp_lt_u32_e32 vcc, s10, v6
	s_mov_b64 s[10:11], 0
                                        ; implicit-def: $vgpr6
	s_and_saveexec_b64 s[12:13], vcc
	s_xor_b64 s[12:13], exec, s[12:13]
	s_cbranch_execz .LBB30_1850
; %bb.1759:
	v_bfe_u32 v6, v4, 5, 1
	s_mov_b32 s18, 0x88fffff
	v_add3_u32 v6, v9, v6, s18
	s_mov_b64 s[10:11], exec
	v_lshrrev_b32_e32 v6, 21, v6
                                        ; implicit-def: $vgpr9
	s_or_saveexec_b64 s[12:13], s[12:13]
                                        ; implicit-def: $sgpr18
	s_xor_b64 exec, exec, s[12:13]
	s_cbranch_execnz .LBB30_1851
.LBB30_1760:
	s_or_b64 exec, exec, s[12:13]
	v_mov_b32_e32 v10, s18
	s_and_saveexec_b64 s[12:13], s[10:11]
.LBB30_1761:
	v_lshrrev_b32_e32 v4, 8, v4
	s_movk_i32 s10, 0x80
	v_and_or_b32 v10, v4, s10, v6
.LBB30_1762:
	s_or_b64 exec, exec, s[12:13]
.LBB30_1763:
	s_or_b64 exec, exec, s[2:3]
	s_mov_b64 s[2:3], 0
	global_store_byte v[0:1], v10, off
.LBB30_1764:
	s_and_b64 vcc, exec, s[2:3]
	s_cbranch_vccz .LBB30_1774
; %bb.1765:
	v_lshlrev_b32_e32 v9, 16, v3
	v_and_b32_e32 v10, 0x7fffffff, v9
	s_mov_b32 s2, 0x43f00000
	v_and_b32_e32 v4, 0xffff, v3
	v_cmp_gt_u32_e32 vcc, s2, v10
                                        ; implicit-def: $vgpr6
	s_and_saveexec_b64 s[2:3], vcc
	s_xor_b64 s[2:3], exec, s[2:3]
	s_cbranch_execz .LBB30_1771
; %bb.1766:
	s_mov_b32 s10, 0x3c7fffff
	v_cmp_lt_u32_e32 vcc, s10, v10
                                        ; implicit-def: $vgpr6
	s_and_saveexec_b64 s[10:11], vcc
	s_xor_b64 s[10:11], exec, s[10:11]
; %bb.1767:
	v_bfe_u32 v6, v4, 4, 1
	s_mov_b32 s12, 0x407ffff
	v_add3_u32 v6, v9, v6, s12
	v_lshrrev_b32_e32 v9, 20, v6
	v_and_b32_e32 v6, 0xff00000, v6
	s_mov_b32 s12, 0x7f00000
	v_mov_b32_e32 v10, 0x7e
	v_cmp_ne_u32_e32 vcc, s12, v6
	v_cndmask_b32_e32 v6, v10, v9, vcc
                                        ; implicit-def: $vgpr9
; %bb.1768:
	s_andn2_saveexec_b64 s[10:11], s[10:11]
; %bb.1769:
	s_mov_b32 s12, 0x46800000
	v_add_f32_e64 v6, |v9|, s12
; %bb.1770:
	s_or_b64 exec, exec, s[10:11]
                                        ; implicit-def: $vgpr10
.LBB30_1771:
	s_andn2_saveexec_b64 s[2:3], s[2:3]
; %bb.1772:
	s_mov_b32 s10, 0x7f800000
	v_mov_b32_e32 v6, 0x7e
	v_mov_b32_e32 v9, 0x7f
	v_cmp_lt_u32_e32 vcc, s10, v10
	v_cndmask_b32_e32 v6, v6, v9, vcc
; %bb.1773:
	s_or_b64 exec, exec, s[2:3]
	v_lshrrev_b32_e32 v4, 8, v4
	s_movk_i32 s2, 0x80
	v_and_or_b32 v4, v4, s2, v6
	global_store_byte v[0:1], v4, off
.LBB30_1774:
	s_mov_b64 s[2:3], 0
.LBB30_1775:
	s_andn2_b64 vcc, exec, s[2:3]
	s_cbranch_vccnz .LBB30_1785
; %bb.1776:
	v_lshlrev_b32_e32 v9, 16, v3
	v_and_b32_e32 v10, 0x7fffffff, v9
	s_mov_b32 s2, 0x47800000
	v_and_b32_e32 v4, 0xffff, v3
	v_cmp_gt_u32_e32 vcc, s2, v10
                                        ; implicit-def: $vgpr6
	s_and_saveexec_b64 s[2:3], vcc
	s_xor_b64 s[2:3], exec, s[2:3]
	s_cbranch_execz .LBB30_1782
; %bb.1777:
	s_mov_b32 s10, 0x387fffff
	v_cmp_lt_u32_e32 vcc, s10, v10
                                        ; implicit-def: $vgpr6
	s_and_saveexec_b64 s[10:11], vcc
	s_xor_b64 s[10:11], exec, s[10:11]
; %bb.1778:
	v_bfe_u32 v6, v4, 5, 1
	s_mov_b32 s12, 0x80fffff
	v_add3_u32 v6, v9, v6, s12
	v_lshrrev_b32_e32 v6, 21, v6
                                        ; implicit-def: $vgpr9
; %bb.1779:
	s_andn2_saveexec_b64 s[10:11], s[10:11]
; %bb.1780:
	s_mov_b32 s12, 0x43000000
	v_add_f32_e64 v6, |v9|, s12
; %bb.1781:
	s_or_b64 exec, exec, s[10:11]
                                        ; implicit-def: $vgpr10
.LBB30_1782:
	s_andn2_saveexec_b64 s[2:3], s[2:3]
; %bb.1783:
	s_mov_b32 s10, 0x7f800000
	v_mov_b32_e32 v6, 0x7c
	v_mov_b32_e32 v9, 0x7f
	v_cmp_lt_u32_e32 vcc, s10, v10
	v_cndmask_b32_e32 v6, v6, v9, vcc
; %bb.1784:
	s_or_b64 exec, exec, s[2:3]
	v_lshrrev_b32_e32 v4, 8, v4
	s_movk_i32 s2, 0x80
	v_and_or_b32 v4, v4, s2, v6
	global_store_byte v[0:1], v4, off
.LBB30_1785:
	s_mov_b64 s[2:3], 0
	s_mov_b64 s[10:11], -1
.LBB30_1786:
	s_andn2_b64 vcc, exec, s[2:3]
	s_mov_b64 s[2:3], 0
	s_cbranch_vccnz .LBB30_1793
; %bb.1787:
	v_mov_b32_e32 v4, 14
	v_cmp_gt_i16_sdwa s[2:3], s15, v4 src0_sel:BYTE_0 src1_sel:DWORD
	s_mov_b64 s[12:13], -1
	s_and_b64 vcc, exec, s[2:3]
	s_cbranch_vccz .LBB30_1791
; %bb.1788:
	v_mov_b32_e32 v4, 15
	v_cmp_eq_u16_sdwa s[2:3], s15, v4 src0_sel:BYTE_0 src1_sel:DWORD
	s_mov_b64 s[0:1], -1
	s_and_b64 vcc, exec, s[2:3]
	s_cbranch_vccz .LBB30_1790
; %bb.1789:
	global_store_short v[0:1], v3, off
	s_mov_b64 s[0:1], 0
	s_mov_b64 s[10:11], -1
.LBB30_1790:
	s_mov_b64 s[12:13], 0
.LBB30_1791:
	s_mov_b64 s[2:3], 0
	s_and_b64 vcc, exec, s[12:13]
	s_cbranch_vccz .LBB30_1793
; %bb.1792:
	v_mov_b32_e32 v4, 11
	v_cmp_ne_u16_sdwa s[0:1], s15, v4 src0_sel:BYTE_0 src1_sel:DWORD
	s_mov_b64 s[2:3], -1
.LBB30_1793:
	s_and_b64 vcc, exec, s[0:1]
	s_cbranch_vccnz .LBB30_1849
; %bb.1794:
	s_andn2_b64 vcc, exec, s[2:3]
	s_cbranch_vccnz .LBB30_1796
.LBB30_1795:
	v_cmp_ne_u16_e32 vcc, 0, v5
	v_cndmask_b32_e64 v4, 0, 1, vcc
	s_mov_b64 s[10:11], -1
	global_store_byte v[0:1], v4, off
.LBB30_1796:
	s_mov_b64 s[0:1], 0
.LBB30_1797:
	s_and_b64 vcc, exec, s[0:1]
	s_cbranch_vccz .LBB30_1836
; %bb.1798:
	v_mov_b32_e32 v4, 5
	v_cmp_lt_i16_sdwa s[2:3], s15, v4 src0_sel:BYTE_0 src1_sel:DWORD
	s_mov_b64 s[0:1], -1
	s_and_b64 vcc, exec, s[2:3]
	s_cbranch_vccnz .LBB30_1819
; %bb.1799:
	v_mov_b32_e32 v4, 8
	v_cmp_lt_i16_sdwa s[2:3], s15, v4 src0_sel:BYTE_0 src1_sel:DWORD
	s_and_b64 vcc, exec, s[2:3]
	s_cbranch_vccnz .LBB30_1809
; %bb.1800:
	v_mov_b32_e32 v4, 9
	v_cmp_lt_i16_sdwa s[2:3], s15, v4 src0_sel:BYTE_0 src1_sel:DWORD
	s_and_b64 vcc, exec, s[2:3]
	s_cbranch_vccnz .LBB30_1806
; %bb.1801:
	v_cmp_gt_i16_sdwa s[2:3], s15, v4 src0_sel:BYTE_0 src1_sel:DWORD
	s_and_b64 vcc, exec, s[2:3]
	s_cbranch_vccz .LBB30_1803
; %bb.1802:
	v_lshlrev_b32_e32 v4, 16, v3
	v_mov_b32_e32 v12, 0
	v_cvt_f64_f32_e32 v[10:11], v4
	v_mov_b32_e32 v13, v12
	global_store_dwordx4 v[0:1], v[10:13], off
	s_mov_b64 s[0:1], 0
.LBB30_1803:
	s_andn2_b64 vcc, exec, s[0:1]
	s_cbranch_vccnz .LBB30_1805
; %bb.1804:
	v_lshlrev_b32_e32 v10, 16, v3
	v_mov_b32_e32 v11, 0
	global_store_dwordx2 v[0:1], v[10:11], off
.LBB30_1805:
	s_mov_b64 s[0:1], 0
.LBB30_1806:
	s_andn2_b64 vcc, exec, s[0:1]
	s_cbranch_vccnz .LBB30_1808
; %bb.1807:
	v_lshlrev_b32_e32 v4, 16, v3
	v_cvt_f16_f32_e32 v4, v4
	global_store_dword v[0:1], v4, off
.LBB30_1808:
	s_mov_b64 s[0:1], 0
.LBB30_1809:
	s_andn2_b64 vcc, exec, s[0:1]
	s_cbranch_vccnz .LBB30_1818
; %bb.1810:
	v_mov_b32_e32 v4, 6
	v_cmp_lt_i16_sdwa s[2:3], s15, v4 src0_sel:BYTE_0 src1_sel:DWORD
	s_mov_b64 s[0:1], -1
	s_and_b64 vcc, exec, s[2:3]
	s_cbranch_vccnz .LBB30_1816
; %bb.1811:
	v_cmp_gt_i16_sdwa s[2:3], s15, v4 src0_sel:BYTE_0 src1_sel:DWORD
	s_and_b64 vcc, exec, s[2:3]
	s_cbranch_vccz .LBB30_1813
; %bb.1812:
	v_lshlrev_b32_e32 v4, 16, v3
	v_cvt_f64_f32_e32 v[10:11], v4
	global_store_dwordx2 v[0:1], v[10:11], off
	s_mov_b64 s[0:1], 0
.LBB30_1813:
	s_andn2_b64 vcc, exec, s[0:1]
	s_cbranch_vccnz .LBB30_1815
; %bb.1814:
	v_lshlrev_b32_e32 v4, 16, v3
	global_store_dword v[0:1], v4, off
.LBB30_1815:
	s_mov_b64 s[0:1], 0
.LBB30_1816:
	s_andn2_b64 vcc, exec, s[0:1]
	s_cbranch_vccnz .LBB30_1818
; %bb.1817:
	v_lshlrev_b32_e32 v4, 16, v3
	v_cvt_f16_f32_e32 v4, v4
	global_store_short v[0:1], v4, off
.LBB30_1818:
	s_mov_b64 s[0:1], 0
.LBB30_1819:
	s_andn2_b64 vcc, exec, s[0:1]
	s_cbranch_vccnz .LBB30_1835
; %bb.1820:
	v_mov_b32_e32 v4, 2
	v_cmp_lt_i16_sdwa s[2:3], s15, v4 src0_sel:BYTE_0 src1_sel:DWORD
	s_mov_b64 s[0:1], -1
	s_and_b64 vcc, exec, s[2:3]
	s_cbranch_vccnz .LBB30_1830
; %bb.1821:
	v_mov_b32_e32 v4, 3
	v_cmp_lt_i16_sdwa s[2:3], s15, v4 src0_sel:BYTE_0 src1_sel:DWORD
	s_and_b64 vcc, exec, s[2:3]
	s_cbranch_vccnz .LBB30_1827
; %bb.1822:
	v_cmp_gt_i16_sdwa s[2:3], s15, v4 src0_sel:BYTE_0 src1_sel:DWORD
	s_and_b64 vcc, exec, s[2:3]
	s_cbranch_vccz .LBB30_1824
; %bb.1823:
	v_lshlrev_b32_e32 v4, 16, v3
	v_trunc_f32_e32 v4, v4
	s_mov_b32 s0, 0x2f800000
	v_mul_f32_e64 v6, |v4|, s0
	v_floor_f32_e32 v6, v6
	s_mov_b32 s0, 0xcf800000
	v_cvt_u32_f32_e32 v9, v6
	v_fma_f32 v6, v6, s0, |v4|
	v_cvt_u32_f32_e32 v6, v6
	v_ashrrev_i32_e32 v4, 31, v4
	v_xor_b32_e32 v9, v9, v4
	s_mov_b64 s[0:1], 0
	v_xor_b32_e32 v6, v6, v4
	v_sub_co_u32_e32 v10, vcc, v6, v4
	v_subb_co_u32_e32 v11, vcc, v9, v4, vcc
	global_store_dwordx2 v[0:1], v[10:11], off
.LBB30_1824:
	s_andn2_b64 vcc, exec, s[0:1]
	s_cbranch_vccnz .LBB30_1826
; %bb.1825:
	v_lshlrev_b32_e32 v4, 16, v3
	v_cvt_i32_f32_e32 v4, v4
	global_store_dword v[0:1], v4, off
.LBB30_1826:
	s_mov_b64 s[0:1], 0
.LBB30_1827:
	s_andn2_b64 vcc, exec, s[0:1]
	s_cbranch_vccnz .LBB30_1829
; %bb.1828:
	v_lshlrev_b32_e32 v4, 16, v3
	v_cvt_i32_f32_e32 v4, v4
	global_store_short v[0:1], v4, off
.LBB30_1829:
	s_mov_b64 s[0:1], 0
.LBB30_1830:
	s_andn2_b64 vcc, exec, s[0:1]
	s_cbranch_vccnz .LBB30_1835
; %bb.1831:
	v_mov_b32_e32 v4, 0
	v_cmp_gt_i16_sdwa s[2:3], s15, v4 src0_sel:BYTE_0 src1_sel:DWORD
	s_mov_b64 s[0:1], -1
	s_and_b64 vcc, exec, s[2:3]
	v_lshlrev_b32_e32 v3, 16, v3
	s_cbranch_vccz .LBB30_1833
; %bb.1832:
	v_cvt_i32_f32_e32 v4, v3
	s_mov_b64 s[0:1], 0
	global_store_byte v[0:1], v4, off
.LBB30_1833:
	s_andn2_b64 vcc, exec, s[0:1]
	s_cbranch_vccnz .LBB30_1835
; %bb.1834:
	v_trunc_f32_e32 v3, v3
	s_mov_b32 s0, 0x2f800000
	v_mul_f32_e64 v4, |v3|, s0
	v_floor_f32_e32 v4, v4
	s_mov_b32 s0, 0xcf800000
	v_fma_f32 v4, v4, s0, |v3|
	v_cvt_u32_f32_e32 v4, v4
	v_ashrrev_i32_e32 v3, 31, v3
	v_xor_b32_e32 v4, v4, v3
	v_sub_u32_e32 v3, v4, v3
	global_store_byte v[0:1], v3, off
.LBB30_1835:
	s_mov_b64 s[10:11], -1
.LBB30_1836:
	s_andn2_b64 vcc, exec, s[10:11]
	s_cbranch_vccnz .LBB30_2040
; %bb.1837:
	v_and_b32_e32 v0, 0xffff8000, v7
	v_add_u32_e32 v2, s14, v2
	v_or_b32_e32 v3, v0, v5
	v_ashrrev_i32_e32 v1, 31, v2
	v_mov_b32_e32 v4, s9
	v_add_co_u32_e32 v0, vcc, s8, v2
	v_addc_co_u32_e32 v1, vcc, v4, v1, vcc
	v_mov_b32_e32 v4, 11
	v_cmp_lt_i16_sdwa s[0:1], s15, v4 src0_sel:BYTE_0 src1_sel:DWORD
	s_and_b64 vcc, exec, s[0:1]
	s_cbranch_vccnz .LBB30_1844
; %bb.1838:
	v_mov_b32_e32 v4, 25
	v_cmp_gt_i16_sdwa s[0:1], s15, v4 src0_sel:BYTE_0 src1_sel:DWORD
	s_mov_b64 s[12:13], -1
	s_mov_b64 s[2:3], 0
	s_and_b64 vcc, exec, s[0:1]
	s_mov_b64 s[10:11], 0
	s_mov_b64 s[0:1], 0
	s_cbranch_vccz .LBB30_1880
; %bb.1839:
	v_mov_b32_e32 v4, 28
	v_cmp_gt_i16_sdwa s[0:1], s15, v4 src0_sel:BYTE_0 src1_sel:DWORD
	s_and_b64 vcc, exec, s[0:1]
	s_cbranch_vccz .LBB30_1845
; %bb.1840:
	v_mov_b32_e32 v4, 43
	v_cmp_gt_i16_sdwa s[0:1], s15, v4 src0_sel:BYTE_0 src1_sel:DWORD
	s_and_b64 vcc, exec, s[0:1]
	;; [unrolled: 5-line block ×3, first 2 shown]
	s_cbranch_vccz .LBB30_1852
; %bb.1842:
	v_mov_b32_e32 v4, 46
	v_cmp_eq_u16_sdwa s[10:11], s15, v4 src0_sel:BYTE_0 src1_sel:DWORD
	s_mov_b64 s[0:1], -1
	s_mov_b64 s[12:13], 0
	s_and_b64 vcc, exec, s[10:11]
	s_mov_b64 s[10:11], 0
	s_cbranch_vccz .LBB30_1853
; %bb.1843:
	v_and_b32_e32 v4, 0xffff, v3
	global_store_dword v[0:1], v4, off
	s_mov_b64 s[0:1], 0
	s_mov_b64 s[10:11], -1
	s_branch .LBB30_1853
.LBB30_1844:
	s_mov_b64 s[0:1], -1
	s_mov_b64 s[10:11], 0
	s_branch .LBB30_1924
.LBB30_1845:
	s_mov_b64 s[0:1], 0
	s_branch .LBB30_1863
.LBB30_1846:
	s_or_saveexec_b64 s[18:19], s[18:19]
                                        ; implicit-def: $sgpr20
	s_xor_b64 exec, exec, s[18:19]
	s_cbranch_execz .LBB30_1747
.LBB30_1847:
	s_mov_b32 s20, 0x46000000
	v_add_f32_e64 v6, |v9|, s20
	v_and_b32_e32 v6, 0xff, v6
	v_cmp_ne_u32_e32 vcc, 0, v6
	s_andn2_b64 s[12:13], s[12:13], exec
	s_and_b64 s[22:23], vcc, exec
	s_mov_b32 s20, 0
	s_or_b64 s[12:13], s[12:13], s[22:23]
	s_or_b64 exec, exec, s[18:19]
	v_mov_b32_e32 v10, s20
	s_and_saveexec_b64 s[18:19], s[12:13]
	s_cbranch_execnz .LBB30_1748
	s_branch .LBB30_1749
.LBB30_1848:
	s_mov_b64 s[0:1], 0
	s_branch .LBB30_1859
.LBB30_1849:
	s_trap 2
	s_or_b64 s[16:17], s[16:17], exec
	s_cbranch_execz .LBB30_1795
	s_branch .LBB30_1796
.LBB30_1850:
	s_or_saveexec_b64 s[12:13], s[12:13]
                                        ; implicit-def: $sgpr18
	s_xor_b64 exec, exec, s[12:13]
	s_cbranch_execz .LBB30_1760
.LBB30_1851:
	s_mov_b32 s18, 0x42800000
	v_add_f32_e64 v6, |v9|, s18
	v_and_b32_e32 v6, 0xff, v6
	v_cmp_ne_u32_e32 vcc, 0, v6
	s_andn2_b64 s[10:11], s[10:11], exec
	s_and_b64 s[20:21], vcc, exec
	s_mov_b32 s18, 0
	s_or_b64 s[10:11], s[10:11], s[20:21]
	s_or_b64 exec, exec, s[12:13]
	v_mov_b32_e32 v10, s18
	s_and_saveexec_b64 s[12:13], s[10:11]
	s_cbranch_execnz .LBB30_1761
	s_branch .LBB30_1762
.LBB30_1852:
	s_mov_b64 s[0:1], 0
.LBB30_1853:
	s_and_b64 vcc, exec, s[12:13]
	s_cbranch_vccz .LBB30_1858
; %bb.1854:
	v_mov_b32_e32 v4, 44
	v_cmp_eq_u16_sdwa s[12:13], s15, v4 src0_sel:BYTE_0 src1_sel:DWORD
	s_mov_b64 s[0:1], -1
	s_and_b64 vcc, exec, s[12:13]
	s_cbranch_vccz .LBB30_1858
; %bb.1855:
	v_and_b32_e32 v6, 0xffff, v3
	v_bfe_u32 v4, v6, 7, 8
	s_movk_i32 s0, 0xff
	v_cmp_ne_u32_e32 vcc, s0, v4
	v_mov_b32_e32 v7, 0xff
	s_and_saveexec_b64 s[10:11], vcc
; %bb.1856:
	v_lshlrev_b32_e32 v9, 16, v6
	s_mov_b32 s0, 0x3f0000
	v_lshrrev_b32_e32 v7, 7, v6
	v_and_b32_e32 v6, 64, v6
	v_and_or_b32 v4, v9, s0, v4
	v_cmp_ne_u32_e32 vcc, 0, v6
	v_cmp_ne_u32_e64 s[0:1], 0, v4
	s_and_b64 s[0:1], vcc, s[0:1]
	v_cndmask_b32_e64 v4, 0, 1, s[0:1]
	v_add_u32_e32 v7, v7, v4
; %bb.1857:
	s_or_b64 exec, exec, s[10:11]
	s_mov_b64 s[0:1], 0
	s_mov_b64 s[10:11], -1
	global_store_byte v[0:1], v7, off
.LBB30_1858:
	s_mov_b64 s[12:13], 0
.LBB30_1859:
	s_and_b64 vcc, exec, s[12:13]
	s_cbranch_vccz .LBB30_1862
; %bb.1860:
	v_mov_b32_e32 v4, 29
	v_cmp_eq_u16_sdwa s[12:13], s15, v4 src0_sel:BYTE_0 src1_sel:DWORD
	s_mov_b64 s[0:1], -1
	s_and_b64 vcc, exec, s[12:13]
	s_cbranch_vccz .LBB30_1862
; %bb.1861:
	v_lshlrev_b32_e32 v4, 16, v3
	v_trunc_f32_e32 v4, v4
	v_mul_f32_e32 v6, 0x2f800000, v4
	v_floor_f32_e32 v6, v6
	v_fmac_f32_e32 v4, 0xcf800000, v6
	v_cvt_u32_f32_e32 v7, v6
	v_cvt_u32_f32_e32 v6, v4
	s_mov_b64 s[0:1], 0
	s_mov_b64 s[10:11], -1
	s_mov_b64 s[12:13], 0
	global_store_dwordx2 v[0:1], v[6:7], off
	s_branch .LBB30_1863
.LBB30_1862:
	s_mov_b64 s[12:13], 0
.LBB30_1863:
	s_and_b64 vcc, exec, s[12:13]
	s_cbranch_vccz .LBB30_1879
; %bb.1864:
	v_mov_b32_e32 v4, 27
	v_cmp_lt_i16_sdwa s[12:13], s15, v4 src0_sel:BYTE_0 src1_sel:DWORD
	s_mov_b64 s[10:11], -1
	s_and_b64 vcc, exec, s[12:13]
	s_cbranch_vccnz .LBB30_1870
; %bb.1865:
	v_cmp_gt_i16_sdwa s[12:13], s15, v4 src0_sel:BYTE_0 src1_sel:DWORD
	s_and_b64 vcc, exec, s[12:13]
	s_cbranch_vccz .LBB30_1867
; %bb.1866:
	v_lshlrev_b32_e32 v4, 16, v3
	v_cvt_u32_f32_e32 v4, v4
	s_mov_b64 s[10:11], 0
	global_store_dword v[0:1], v4, off
.LBB30_1867:
	s_andn2_b64 vcc, exec, s[10:11]
	s_cbranch_vccnz .LBB30_1869
; %bb.1868:
	v_lshlrev_b32_e32 v4, 16, v3
	v_cvt_u32_f32_e32 v4, v4
	global_store_short v[0:1], v4, off
.LBB30_1869:
	s_mov_b64 s[10:11], 0
.LBB30_1870:
	s_andn2_b64 vcc, exec, s[10:11]
	s_cbranch_vccnz .LBB30_1878
; %bb.1871:
	v_lshlrev_b32_e32 v7, 16, v3
	v_and_b32_e32 v6, 0x7fffffff, v7
	s_mov_b32 s10, 0x43800000
	v_cmp_gt_u32_e32 vcc, s10, v6
	v_mov_b32_e32 v9, 0x80
	s_and_saveexec_b64 s[10:11], vcc
	s_cbranch_execz .LBB30_1877
; %bb.1872:
	s_mov_b32 s12, 0x3bffffff
	v_and_b32_e32 v4, 0xffff, v3
	v_cmp_lt_u32_e32 vcc, s12, v6
	s_mov_b64 s[12:13], 0
                                        ; implicit-def: $vgpr6
	s_and_saveexec_b64 s[18:19], vcc
	s_xor_b64 s[18:19], exec, s[18:19]
	s_cbranch_execz .LBB30_2042
; %bb.1873:
	v_bfe_u32 v6, v4, 4, 1
	s_mov_b32 s20, 0x487ffff
	v_add3_u32 v6, v7, v6, s20
	s_mov_b64 s[12:13], exec
	v_lshrrev_b32_e32 v6, 20, v6
                                        ; implicit-def: $vgpr7
	s_or_saveexec_b64 s[18:19], s[18:19]
                                        ; implicit-def: $sgpr20
	s_xor_b64 exec, exec, s[18:19]
	s_cbranch_execnz .LBB30_2043
.LBB30_1874:
	s_or_b64 exec, exec, s[18:19]
	v_mov_b32_e32 v9, s20
	s_and_saveexec_b64 s[18:19], s[12:13]
.LBB30_1875:
	v_lshrrev_b32_e32 v4, 8, v4
	s_movk_i32 s12, 0x80
	v_and_or_b32 v9, v4, s12, v6
.LBB30_1876:
	s_or_b64 exec, exec, s[18:19]
.LBB30_1877:
	s_or_b64 exec, exec, s[10:11]
	global_store_byte v[0:1], v9, off
.LBB30_1878:
	s_mov_b64 s[10:11], -1
.LBB30_1879:
	s_mov_b64 s[12:13], 0
.LBB30_1880:
	s_and_b64 vcc, exec, s[12:13]
	s_cbranch_vccz .LBB30_1920
; %bb.1881:
	v_mov_b32_e32 v4, 22
	v_cmp_gt_i16_sdwa s[12:13], s15, v4 src0_sel:BYTE_0 src1_sel:DWORD
	s_mov_b64 s[2:3], -1
	s_and_b64 vcc, exec, s[12:13]
	s_cbranch_vccz .LBB30_1913
; %bb.1882:
	v_mov_b32_e32 v4, 24
	v_cmp_lt_i16_sdwa s[10:11], s15, v4 src0_sel:BYTE_0 src1_sel:DWORD
	s_and_b64 vcc, exec, s[10:11]
	s_cbranch_vccnz .LBB30_1902
; %bb.1883:
	v_cmp_gt_i16_sdwa s[10:11], s15, v4 src0_sel:BYTE_0 src1_sel:DWORD
	s_and_b64 vcc, exec, s[10:11]
	s_cbranch_vccz .LBB30_1891
; %bb.1884:
	v_lshlrev_b32_e32 v7, 16, v3
	v_and_b32_e32 v6, 0x7fffffff, v7
	s_mov_b32 s2, 0x47800000
	v_cmp_gt_u32_e32 vcc, s2, v6
	v_mov_b32_e32 v9, 0x80
	s_and_saveexec_b64 s[2:3], vcc
	s_cbranch_execz .LBB30_1890
; %bb.1885:
	s_mov_b32 s10, 0x37ffffff
	v_and_b32_e32 v4, 0xffff, v3
	v_cmp_lt_u32_e32 vcc, s10, v6
	s_mov_b64 s[10:11], 0
                                        ; implicit-def: $vgpr6
	s_and_saveexec_b64 s[12:13], vcc
	s_xor_b64 s[12:13], exec, s[12:13]
	s_cbranch_execz .LBB30_2045
; %bb.1886:
	v_bfe_u32 v6, v4, 5, 1
	s_mov_b32 s18, 0x88fffff
	v_add3_u32 v6, v7, v6, s18
	s_mov_b64 s[10:11], exec
	v_lshrrev_b32_e32 v6, 21, v6
                                        ; implicit-def: $vgpr7
	s_or_saveexec_b64 s[12:13], s[12:13]
                                        ; implicit-def: $sgpr18
	s_xor_b64 exec, exec, s[12:13]
	s_cbranch_execnz .LBB30_2046
.LBB30_1887:
	s_or_b64 exec, exec, s[12:13]
	v_mov_b32_e32 v9, s18
	s_and_saveexec_b64 s[12:13], s[10:11]
.LBB30_1888:
	v_lshrrev_b32_e32 v4, 8, v4
	s_movk_i32 s10, 0x80
	v_and_or_b32 v9, v4, s10, v6
.LBB30_1889:
	s_or_b64 exec, exec, s[12:13]
.LBB30_1890:
	s_or_b64 exec, exec, s[2:3]
	s_mov_b64 s[2:3], 0
	global_store_byte v[0:1], v9, off
.LBB30_1891:
	s_and_b64 vcc, exec, s[2:3]
	s_cbranch_vccz .LBB30_1901
; %bb.1892:
	v_lshlrev_b32_e32 v7, 16, v3
	v_and_b32_e32 v9, 0x7fffffff, v7
	s_mov_b32 s2, 0x43f00000
	v_and_b32_e32 v4, 0xffff, v3
	v_cmp_gt_u32_e32 vcc, s2, v9
                                        ; implicit-def: $vgpr6
	s_and_saveexec_b64 s[2:3], vcc
	s_xor_b64 s[2:3], exec, s[2:3]
	s_cbranch_execz .LBB30_1898
; %bb.1893:
	s_mov_b32 s10, 0x3c7fffff
	v_cmp_lt_u32_e32 vcc, s10, v9
                                        ; implicit-def: $vgpr6
	s_and_saveexec_b64 s[10:11], vcc
	s_xor_b64 s[10:11], exec, s[10:11]
; %bb.1894:
	v_bfe_u32 v6, v4, 4, 1
	s_mov_b32 s12, 0x407ffff
	v_add3_u32 v6, v7, v6, s12
	v_lshrrev_b32_e32 v7, 20, v6
	v_and_b32_e32 v6, 0xff00000, v6
	s_mov_b32 s12, 0x7f00000
	v_mov_b32_e32 v9, 0x7e
	v_cmp_ne_u32_e32 vcc, s12, v6
	v_cndmask_b32_e32 v6, v9, v7, vcc
                                        ; implicit-def: $vgpr7
; %bb.1895:
	s_andn2_saveexec_b64 s[10:11], s[10:11]
; %bb.1896:
	s_mov_b32 s12, 0x46800000
	v_add_f32_e64 v6, |v7|, s12
; %bb.1897:
	s_or_b64 exec, exec, s[10:11]
                                        ; implicit-def: $vgpr9
.LBB30_1898:
	s_andn2_saveexec_b64 s[2:3], s[2:3]
; %bb.1899:
	s_mov_b32 s10, 0x7f800000
	v_mov_b32_e32 v6, 0x7e
	v_mov_b32_e32 v7, 0x7f
	v_cmp_lt_u32_e32 vcc, s10, v9
	v_cndmask_b32_e32 v6, v6, v7, vcc
; %bb.1900:
	s_or_b64 exec, exec, s[2:3]
	v_lshrrev_b32_e32 v4, 8, v4
	s_movk_i32 s2, 0x80
	v_and_or_b32 v4, v4, s2, v6
	global_store_byte v[0:1], v4, off
.LBB30_1901:
	s_mov_b64 s[2:3], 0
.LBB30_1902:
	s_andn2_b64 vcc, exec, s[2:3]
	s_cbranch_vccnz .LBB30_1912
; %bb.1903:
	v_lshlrev_b32_e32 v7, 16, v3
	v_and_b32_e32 v9, 0x7fffffff, v7
	s_mov_b32 s2, 0x47800000
	v_and_b32_e32 v4, 0xffff, v3
	v_cmp_gt_u32_e32 vcc, s2, v9
                                        ; implicit-def: $vgpr6
	s_and_saveexec_b64 s[2:3], vcc
	s_xor_b64 s[2:3], exec, s[2:3]
	s_cbranch_execz .LBB30_1909
; %bb.1904:
	s_mov_b32 s10, 0x387fffff
	v_cmp_lt_u32_e32 vcc, s10, v9
                                        ; implicit-def: $vgpr6
	s_and_saveexec_b64 s[10:11], vcc
	s_xor_b64 s[10:11], exec, s[10:11]
; %bb.1905:
	v_bfe_u32 v6, v4, 5, 1
	s_mov_b32 s12, 0x80fffff
	v_add3_u32 v6, v7, v6, s12
	v_lshrrev_b32_e32 v6, 21, v6
                                        ; implicit-def: $vgpr7
; %bb.1906:
	s_andn2_saveexec_b64 s[10:11], s[10:11]
; %bb.1907:
	s_mov_b32 s12, 0x43000000
	v_add_f32_e64 v6, |v7|, s12
; %bb.1908:
	s_or_b64 exec, exec, s[10:11]
                                        ; implicit-def: $vgpr9
.LBB30_1909:
	s_andn2_saveexec_b64 s[2:3], s[2:3]
; %bb.1910:
	s_mov_b32 s10, 0x7f800000
	v_mov_b32_e32 v6, 0x7c
	v_mov_b32_e32 v7, 0x7f
	v_cmp_lt_u32_e32 vcc, s10, v9
	v_cndmask_b32_e32 v6, v6, v7, vcc
; %bb.1911:
	s_or_b64 exec, exec, s[2:3]
	v_lshrrev_b32_e32 v4, 8, v4
	s_movk_i32 s2, 0x80
	v_and_or_b32 v4, v4, s2, v6
	global_store_byte v[0:1], v4, off
.LBB30_1912:
	s_mov_b64 s[2:3], 0
	s_mov_b64 s[10:11], -1
.LBB30_1913:
	s_andn2_b64 vcc, exec, s[2:3]
	s_mov_b64 s[2:3], 0
	s_cbranch_vccnz .LBB30_1920
; %bb.1914:
	v_mov_b32_e32 v4, 14
	v_cmp_gt_i16_sdwa s[2:3], s15, v4 src0_sel:BYTE_0 src1_sel:DWORD
	s_mov_b64 s[12:13], -1
	s_and_b64 vcc, exec, s[2:3]
	s_cbranch_vccz .LBB30_1918
; %bb.1915:
	v_mov_b32_e32 v4, 15
	v_cmp_eq_u16_sdwa s[2:3], s15, v4 src0_sel:BYTE_0 src1_sel:DWORD
	s_mov_b64 s[0:1], -1
	s_and_b64 vcc, exec, s[2:3]
	s_cbranch_vccz .LBB30_1917
; %bb.1916:
	global_store_short v[0:1], v3, off
	s_mov_b64 s[0:1], 0
	s_mov_b64 s[10:11], -1
.LBB30_1917:
	s_mov_b64 s[12:13], 0
.LBB30_1918:
	s_mov_b64 s[2:3], 0
	s_and_b64 vcc, exec, s[12:13]
	s_cbranch_vccz .LBB30_1920
; %bb.1919:
	v_mov_b32_e32 v4, 11
	v_cmp_ne_u16_sdwa s[0:1], s15, v4 src0_sel:BYTE_0 src1_sel:DWORD
	s_mov_b64 s[2:3], -1
.LBB30_1920:
	s_and_b64 vcc, exec, s[0:1]
	s_cbranch_vccnz .LBB30_2044
; %bb.1921:
	s_andn2_b64 vcc, exec, s[2:3]
	s_cbranch_vccnz .LBB30_1923
.LBB30_1922:
	v_cmp_ne_u16_e32 vcc, 0, v5
	v_cndmask_b32_e64 v4, 0, 1, vcc
	s_mov_b64 s[10:11], -1
	global_store_byte v[0:1], v4, off
.LBB30_1923:
	s_mov_b64 s[0:1], 0
.LBB30_1924:
	s_and_b64 vcc, exec, s[0:1]
	s_cbranch_vccz .LBB30_1963
; %bb.1925:
	v_mov_b32_e32 v4, 5
	v_cmp_lt_i16_sdwa s[2:3], s15, v4 src0_sel:BYTE_0 src1_sel:DWORD
	s_mov_b64 s[0:1], -1
	s_and_b64 vcc, exec, s[2:3]
	s_cbranch_vccnz .LBB30_1946
; %bb.1926:
	v_mov_b32_e32 v4, 8
	v_cmp_lt_i16_sdwa s[2:3], s15, v4 src0_sel:BYTE_0 src1_sel:DWORD
	s_and_b64 vcc, exec, s[2:3]
	s_cbranch_vccnz .LBB30_1936
; %bb.1927:
	v_mov_b32_e32 v4, 9
	v_cmp_lt_i16_sdwa s[2:3], s15, v4 src0_sel:BYTE_0 src1_sel:DWORD
	s_and_b64 vcc, exec, s[2:3]
	s_cbranch_vccnz .LBB30_1933
; %bb.1928:
	v_cmp_gt_i16_sdwa s[2:3], s15, v4 src0_sel:BYTE_0 src1_sel:DWORD
	s_and_b64 vcc, exec, s[2:3]
	s_cbranch_vccz .LBB30_1930
; %bb.1929:
	v_lshlrev_b32_e32 v4, 16, v3
	v_mov_b32_e32 v12, 0
	v_cvt_f64_f32_e32 v[10:11], v4
	v_mov_b32_e32 v13, v12
	global_store_dwordx4 v[0:1], v[10:13], off
	s_mov_b64 s[0:1], 0
.LBB30_1930:
	s_andn2_b64 vcc, exec, s[0:1]
	s_cbranch_vccnz .LBB30_1932
; %bb.1931:
	v_lshlrev_b32_e32 v6, 16, v3
	v_mov_b32_e32 v7, 0
	global_store_dwordx2 v[0:1], v[6:7], off
.LBB30_1932:
	s_mov_b64 s[0:1], 0
.LBB30_1933:
	s_andn2_b64 vcc, exec, s[0:1]
	s_cbranch_vccnz .LBB30_1935
; %bb.1934:
	v_lshlrev_b32_e32 v4, 16, v3
	v_cvt_f16_f32_e32 v4, v4
	global_store_dword v[0:1], v4, off
.LBB30_1935:
	s_mov_b64 s[0:1], 0
.LBB30_1936:
	s_andn2_b64 vcc, exec, s[0:1]
	s_cbranch_vccnz .LBB30_1945
; %bb.1937:
	v_mov_b32_e32 v4, 6
	v_cmp_lt_i16_sdwa s[2:3], s15, v4 src0_sel:BYTE_0 src1_sel:DWORD
	s_mov_b64 s[0:1], -1
	s_and_b64 vcc, exec, s[2:3]
	s_cbranch_vccnz .LBB30_1943
; %bb.1938:
	v_cmp_gt_i16_sdwa s[2:3], s15, v4 src0_sel:BYTE_0 src1_sel:DWORD
	s_and_b64 vcc, exec, s[2:3]
	s_cbranch_vccz .LBB30_1940
; %bb.1939:
	v_lshlrev_b32_e32 v4, 16, v3
	v_cvt_f64_f32_e32 v[6:7], v4
	global_store_dwordx2 v[0:1], v[6:7], off
	s_mov_b64 s[0:1], 0
.LBB30_1940:
	s_andn2_b64 vcc, exec, s[0:1]
	s_cbranch_vccnz .LBB30_1942
; %bb.1941:
	v_lshlrev_b32_e32 v4, 16, v3
	global_store_dword v[0:1], v4, off
.LBB30_1942:
	s_mov_b64 s[0:1], 0
.LBB30_1943:
	s_andn2_b64 vcc, exec, s[0:1]
	s_cbranch_vccnz .LBB30_1945
; %bb.1944:
	v_lshlrev_b32_e32 v4, 16, v3
	v_cvt_f16_f32_e32 v4, v4
	global_store_short v[0:1], v4, off
.LBB30_1945:
	s_mov_b64 s[0:1], 0
.LBB30_1946:
	s_andn2_b64 vcc, exec, s[0:1]
	s_cbranch_vccnz .LBB30_1962
; %bb.1947:
	v_mov_b32_e32 v4, 2
	v_cmp_lt_i16_sdwa s[2:3], s15, v4 src0_sel:BYTE_0 src1_sel:DWORD
	s_mov_b64 s[0:1], -1
	s_and_b64 vcc, exec, s[2:3]
	s_cbranch_vccnz .LBB30_1957
; %bb.1948:
	v_mov_b32_e32 v4, 3
	v_cmp_lt_i16_sdwa s[2:3], s15, v4 src0_sel:BYTE_0 src1_sel:DWORD
	s_and_b64 vcc, exec, s[2:3]
	s_cbranch_vccnz .LBB30_1954
; %bb.1949:
	v_cmp_gt_i16_sdwa s[2:3], s15, v4 src0_sel:BYTE_0 src1_sel:DWORD
	s_and_b64 vcc, exec, s[2:3]
	s_cbranch_vccz .LBB30_1951
; %bb.1950:
	v_lshlrev_b32_e32 v4, 16, v3
	v_trunc_f32_e32 v4, v4
	s_mov_b32 s0, 0x2f800000
	v_mul_f32_e64 v6, |v4|, s0
	v_floor_f32_e32 v6, v6
	s_mov_b32 s0, 0xcf800000
	v_cvt_u32_f32_e32 v7, v6
	v_fma_f32 v6, v6, s0, |v4|
	v_cvt_u32_f32_e32 v6, v6
	v_ashrrev_i32_e32 v4, 31, v4
	v_xor_b32_e32 v7, v7, v4
	s_mov_b64 s[0:1], 0
	v_xor_b32_e32 v6, v6, v4
	v_sub_co_u32_e32 v6, vcc, v6, v4
	v_subb_co_u32_e32 v7, vcc, v7, v4, vcc
	global_store_dwordx2 v[0:1], v[6:7], off
.LBB30_1951:
	s_andn2_b64 vcc, exec, s[0:1]
	s_cbranch_vccnz .LBB30_1953
; %bb.1952:
	v_lshlrev_b32_e32 v4, 16, v3
	v_cvt_i32_f32_e32 v4, v4
	global_store_dword v[0:1], v4, off
.LBB30_1953:
	s_mov_b64 s[0:1], 0
.LBB30_1954:
	s_andn2_b64 vcc, exec, s[0:1]
	s_cbranch_vccnz .LBB30_1956
; %bb.1955:
	v_lshlrev_b32_e32 v4, 16, v3
	v_cvt_i32_f32_e32 v4, v4
	global_store_short v[0:1], v4, off
.LBB30_1956:
	s_mov_b64 s[0:1], 0
.LBB30_1957:
	s_andn2_b64 vcc, exec, s[0:1]
	s_cbranch_vccnz .LBB30_1962
; %bb.1958:
	v_mov_b32_e32 v4, 0
	v_cmp_gt_i16_sdwa s[2:3], s15, v4 src0_sel:BYTE_0 src1_sel:DWORD
	s_mov_b64 s[0:1], -1
	s_and_b64 vcc, exec, s[2:3]
	v_lshlrev_b32_e32 v3, 16, v3
	s_cbranch_vccz .LBB30_1960
; %bb.1959:
	v_cvt_i32_f32_e32 v4, v3
	s_mov_b64 s[0:1], 0
	global_store_byte v[0:1], v4, off
.LBB30_1960:
	s_andn2_b64 vcc, exec, s[0:1]
	s_cbranch_vccnz .LBB30_1962
; %bb.1961:
	v_trunc_f32_e32 v3, v3
	s_mov_b32 s0, 0x2f800000
	v_mul_f32_e64 v4, |v3|, s0
	v_floor_f32_e32 v4, v4
	s_mov_b32 s0, 0xcf800000
	v_fma_f32 v4, v4, s0, |v3|
	v_cvt_u32_f32_e32 v4, v4
	v_ashrrev_i32_e32 v3, 31, v3
	v_xor_b32_e32 v4, v4, v3
	v_sub_u32_e32 v3, v4, v3
	global_store_byte v[0:1], v3, off
.LBB30_1962:
	s_mov_b64 s[10:11], -1
.LBB30_1963:
	s_andn2_b64 vcc, exec, s[10:11]
	s_cbranch_vccnz .LBB30_2040
; %bb.1964:
	v_and_b32_e32 v0, 0xffff8000, v8
	v_or_b32_e32 v6, v0, v5
	v_add_u32_e32 v0, s14, v2
	v_ashrrev_i32_e32 v1, 31, v0
	v_mov_b32_e32 v2, s9
	v_add_co_u32_e32 v0, vcc, s8, v0
	v_addc_co_u32_e32 v1, vcc, v2, v1, vcc
	v_mov_b32_e32 v2, 0xff
	v_and_b32_e32 v4, s15, v2
	v_cmp_gt_i16_e32 vcc, 11, v4
	s_cbranch_vccnz .LBB30_2041
; %bb.1965:
	v_cmp_lt_i16_e32 vcc, 25, v4
	s_mov_b64 s[8:9], -1
	s_mov_b64 s[2:3], 0
	s_mov_b64 s[0:1], 0
	s_cbranch_vccz .LBB30_1998
; %bb.1966:
	v_cmp_lt_i16_e32 vcc, 28, v4
	s_cbranch_vccz .LBB30_1982
; %bb.1967:
	v_cmp_lt_i16_e32 vcc, 43, v4
	;; [unrolled: 3-line block ×3, first 2 shown]
	s_cbranch_vccz .LBB30_1972
; %bb.1969:
	v_cmp_eq_u16_e32 vcc, 46, v4
	s_mov_b64 s[0:1], -1
	s_cbranch_vccz .LBB30_1971
; %bb.1970:
	v_and_b32_e32 v2, 0xffff, v6
	global_store_dword v[0:1], v2, off
	s_mov_b64 s[0:1], 0
.LBB30_1971:
	s_mov_b64 s[8:9], 0
.LBB30_1972:
	s_and_b64 vcc, exec, s[8:9]
	s_cbranch_vccz .LBB30_1977
; %bb.1973:
	v_cmp_eq_u16_e32 vcc, 44, v4
	s_mov_b64 s[0:1], -1
	s_cbranch_vccz .LBB30_1977
; %bb.1974:
	v_and_b32_e32 v3, 0xffff, v6
	v_bfe_u32 v2, v3, 7, 8
	s_movk_i32 s0, 0xff
	v_cmp_ne_u32_e32 vcc, s0, v2
	v_mov_b32_e32 v7, 0xff
	s_and_saveexec_b64 s[8:9], vcc
; %bb.1975:
	v_lshlrev_b32_e32 v8, 16, v3
	s_mov_b32 s0, 0x3f0000
	v_lshrrev_b32_e32 v7, 7, v3
	v_and_b32_e32 v3, 64, v3
	v_and_or_b32 v2, v8, s0, v2
	v_cmp_ne_u32_e32 vcc, 0, v3
	v_cmp_ne_u32_e64 s[0:1], 0, v2
	s_and_b64 s[0:1], vcc, s[0:1]
	v_cndmask_b32_e64 v2, 0, 1, s[0:1]
	v_add_u32_e32 v7, v7, v2
; %bb.1976:
	s_or_b64 exec, exec, s[8:9]
	s_mov_b64 s[0:1], 0
	global_store_byte v[0:1], v7, off
.LBB30_1977:
	s_mov_b64 s[8:9], 0
.LBB30_1978:
	s_and_b64 vcc, exec, s[8:9]
	s_cbranch_vccz .LBB30_1981
; %bb.1979:
	v_cmp_eq_u16_e32 vcc, 29, v4
	s_mov_b64 s[0:1], -1
	s_cbranch_vccz .LBB30_1981
; %bb.1980:
	v_lshlrev_b32_e32 v2, 16, v6
	v_trunc_f32_e32 v2, v2
	v_mul_f32_e32 v3, 0x2f800000, v2
	v_floor_f32_e32 v7, v3
	v_fmac_f32_e32 v2, 0xcf800000, v7
	v_cvt_u32_f32_e32 v3, v7
	v_cvt_u32_f32_e32 v2, v2
	s_mov_b64 s[0:1], 0
	global_store_dwordx2 v[0:1], v[2:3], off
.LBB30_1981:
	s_mov_b64 s[8:9], 0
.LBB30_1982:
	s_and_b64 vcc, exec, s[8:9]
	s_cbranch_vccz .LBB30_1997
; %bb.1983:
	v_cmp_gt_i16_e32 vcc, 27, v4
	s_mov_b64 s[8:9], -1
	s_cbranch_vccnz .LBB30_1989
; %bb.1984:
	v_cmp_lt_i16_e32 vcc, 27, v4
	s_cbranch_vccz .LBB30_1986
; %bb.1985:
	v_lshlrev_b32_e32 v2, 16, v6
	v_cvt_u32_f32_e32 v2, v2
	s_mov_b64 s[8:9], 0
	global_store_dword v[0:1], v2, off
.LBB30_1986:
	s_andn2_b64 vcc, exec, s[8:9]
	s_cbranch_vccnz .LBB30_1988
; %bb.1987:
	v_lshlrev_b32_e32 v2, 16, v6
	v_cvt_u32_f32_e32 v2, v2
	global_store_short v[0:1], v2, off
.LBB30_1988:
	s_mov_b64 s[8:9], 0
.LBB30_1989:
	s_andn2_b64 vcc, exec, s[8:9]
	s_cbranch_vccnz .LBB30_1997
; %bb.1990:
	v_lshlrev_b32_e32 v7, 16, v6
	v_and_b32_e32 v3, 0x7fffffff, v7
	s_mov_b32 s8, 0x43800000
	v_cmp_gt_u32_e32 vcc, s8, v3
	v_mov_b32_e32 v8, 0x80
	s_and_saveexec_b64 s[8:9], vcc
	s_cbranch_execz .LBB30_1996
; %bb.1991:
	s_mov_b32 s10, 0x3bffffff
	v_and_b32_e32 v2, 0xffff, v6
	v_cmp_lt_u32_e32 vcc, s10, v3
	s_mov_b64 s[10:11], 0
                                        ; implicit-def: $vgpr3
	s_and_saveexec_b64 s[12:13], vcc
	s_xor_b64 s[12:13], exec, s[12:13]
	s_cbranch_execz .LBB30_2047
; %bb.1992:
	v_bfe_u32 v3, v2, 4, 1
	s_mov_b32 s14, 0x487ffff
	v_add3_u32 v3, v7, v3, s14
	s_mov_b64 s[10:11], exec
	v_lshrrev_b32_e32 v3, 20, v3
                                        ; implicit-def: $vgpr7
	s_or_saveexec_b64 s[12:13], s[12:13]
                                        ; implicit-def: $sgpr14
	s_xor_b64 exec, exec, s[12:13]
	s_cbranch_execnz .LBB30_2048
.LBB30_1993:
	s_or_b64 exec, exec, s[12:13]
	v_mov_b32_e32 v8, s14
	s_and_saveexec_b64 s[12:13], s[10:11]
.LBB30_1994:
	v_lshrrev_b32_e32 v2, 8, v2
	s_movk_i32 s10, 0x80
	v_and_or_b32 v8, v2, s10, v3
.LBB30_1995:
	s_or_b64 exec, exec, s[12:13]
.LBB30_1996:
	s_or_b64 exec, exec, s[8:9]
	global_store_byte v[0:1], v8, off
.LBB30_1997:
	s_mov_b64 s[8:9], 0
.LBB30_1998:
	s_and_b64 vcc, exec, s[8:9]
	s_cbranch_vccz .LBB30_2038
; %bb.1999:
	v_cmp_lt_i16_e32 vcc, 22, v4
	s_mov_b64 s[2:3], -1
	s_cbranch_vccz .LBB30_2031
; %bb.2000:
	v_cmp_gt_i16_e32 vcc, 24, v4
	s_cbranch_vccnz .LBB30_2020
; %bb.2001:
	v_cmp_lt_i16_e32 vcc, 24, v4
	s_cbranch_vccz .LBB30_2009
; %bb.2002:
	v_lshlrev_b32_e32 v7, 16, v6
	v_and_b32_e32 v3, 0x7fffffff, v7
	s_mov_b32 s2, 0x47800000
	v_cmp_gt_u32_e32 vcc, s2, v3
	v_mov_b32_e32 v8, 0x80
	s_and_saveexec_b64 s[2:3], vcc
	s_cbranch_execz .LBB30_2008
; %bb.2003:
	s_mov_b32 s8, 0x37ffffff
	v_and_b32_e32 v2, 0xffff, v6
	v_cmp_lt_u32_e32 vcc, s8, v3
	s_mov_b64 s[8:9], 0
                                        ; implicit-def: $vgpr3
	s_and_saveexec_b64 s[10:11], vcc
	s_xor_b64 s[10:11], exec, s[10:11]
	s_cbranch_execz .LBB30_2050
; %bb.2004:
	v_bfe_u32 v3, v2, 5, 1
	s_mov_b32 s12, 0x88fffff
	v_add3_u32 v3, v7, v3, s12
	s_mov_b64 s[8:9], exec
	v_lshrrev_b32_e32 v3, 21, v3
                                        ; implicit-def: $vgpr7
	s_or_saveexec_b64 s[10:11], s[10:11]
                                        ; implicit-def: $sgpr12
	s_xor_b64 exec, exec, s[10:11]
	s_cbranch_execnz .LBB30_2051
.LBB30_2005:
	s_or_b64 exec, exec, s[10:11]
	v_mov_b32_e32 v8, s12
	s_and_saveexec_b64 s[10:11], s[8:9]
.LBB30_2006:
	v_lshrrev_b32_e32 v2, 8, v2
	s_movk_i32 s8, 0x80
	v_and_or_b32 v8, v2, s8, v3
.LBB30_2007:
	s_or_b64 exec, exec, s[10:11]
.LBB30_2008:
	s_or_b64 exec, exec, s[2:3]
	s_mov_b64 s[2:3], 0
	global_store_byte v[0:1], v8, off
.LBB30_2009:
	s_and_b64 vcc, exec, s[2:3]
	s_cbranch_vccz .LBB30_2019
; %bb.2010:
	v_lshlrev_b32_e32 v7, 16, v6
	v_and_b32_e32 v8, 0x7fffffff, v7
	s_mov_b32 s2, 0x43f00000
	v_and_b32_e32 v2, 0xffff, v6
	v_cmp_gt_u32_e32 vcc, s2, v8
                                        ; implicit-def: $vgpr3
	s_and_saveexec_b64 s[2:3], vcc
	s_xor_b64 s[2:3], exec, s[2:3]
	s_cbranch_execz .LBB30_2016
; %bb.2011:
	s_mov_b32 s8, 0x3c7fffff
	v_cmp_lt_u32_e32 vcc, s8, v8
                                        ; implicit-def: $vgpr3
	s_and_saveexec_b64 s[8:9], vcc
	s_xor_b64 s[8:9], exec, s[8:9]
; %bb.2012:
	v_bfe_u32 v3, v2, 4, 1
	s_mov_b32 s10, 0x407ffff
	v_add3_u32 v3, v7, v3, s10
	v_lshrrev_b32_e32 v7, 20, v3
	v_and_b32_e32 v3, 0xff00000, v3
	s_mov_b32 s10, 0x7f00000
	v_mov_b32_e32 v8, 0x7e
	v_cmp_ne_u32_e32 vcc, s10, v3
	v_cndmask_b32_e32 v3, v8, v7, vcc
                                        ; implicit-def: $vgpr7
; %bb.2013:
	s_andn2_saveexec_b64 s[8:9], s[8:9]
; %bb.2014:
	s_mov_b32 s10, 0x46800000
	v_add_f32_e64 v3, |v7|, s10
; %bb.2015:
	s_or_b64 exec, exec, s[8:9]
                                        ; implicit-def: $vgpr8
.LBB30_2016:
	s_andn2_saveexec_b64 s[2:3], s[2:3]
; %bb.2017:
	s_mov_b32 s8, 0x7f800000
	v_mov_b32_e32 v3, 0x7e
	v_mov_b32_e32 v7, 0x7f
	v_cmp_lt_u32_e32 vcc, s8, v8
	v_cndmask_b32_e32 v3, v3, v7, vcc
; %bb.2018:
	s_or_b64 exec, exec, s[2:3]
	v_lshrrev_b32_e32 v2, 8, v2
	s_movk_i32 s2, 0x80
	v_and_or_b32 v2, v2, s2, v3
	global_store_byte v[0:1], v2, off
.LBB30_2019:
	s_mov_b64 s[2:3], 0
.LBB30_2020:
	s_andn2_b64 vcc, exec, s[2:3]
	s_cbranch_vccnz .LBB30_2030
; %bb.2021:
	v_lshlrev_b32_e32 v7, 16, v6
	v_and_b32_e32 v8, 0x7fffffff, v7
	s_mov_b32 s2, 0x47800000
	v_and_b32_e32 v2, 0xffff, v6
	v_cmp_gt_u32_e32 vcc, s2, v8
                                        ; implicit-def: $vgpr3
	s_and_saveexec_b64 s[2:3], vcc
	s_xor_b64 s[2:3], exec, s[2:3]
	s_cbranch_execz .LBB30_2027
; %bb.2022:
	s_mov_b32 s8, 0x387fffff
	v_cmp_lt_u32_e32 vcc, s8, v8
                                        ; implicit-def: $vgpr3
	s_and_saveexec_b64 s[8:9], vcc
	s_xor_b64 s[8:9], exec, s[8:9]
; %bb.2023:
	v_bfe_u32 v3, v2, 5, 1
	s_mov_b32 s10, 0x80fffff
	v_add3_u32 v3, v7, v3, s10
	v_lshrrev_b32_e32 v3, 21, v3
                                        ; implicit-def: $vgpr7
; %bb.2024:
	s_andn2_saveexec_b64 s[8:9], s[8:9]
; %bb.2025:
	s_mov_b32 s10, 0x43000000
	v_add_f32_e64 v3, |v7|, s10
; %bb.2026:
	s_or_b64 exec, exec, s[8:9]
                                        ; implicit-def: $vgpr8
.LBB30_2027:
	s_andn2_saveexec_b64 s[2:3], s[2:3]
; %bb.2028:
	s_mov_b32 s8, 0x7f800000
	v_mov_b32_e32 v3, 0x7c
	v_mov_b32_e32 v7, 0x7f
	v_cmp_lt_u32_e32 vcc, s8, v8
	v_cndmask_b32_e32 v3, v3, v7, vcc
; %bb.2029:
	s_or_b64 exec, exec, s[2:3]
	v_lshrrev_b32_e32 v2, 8, v2
	s_movk_i32 s2, 0x80
	v_and_or_b32 v2, v2, s2, v3
	global_store_byte v[0:1], v2, off
.LBB30_2030:
	s_mov_b64 s[2:3], 0
.LBB30_2031:
	s_andn2_b64 vcc, exec, s[2:3]
	s_mov_b64 s[2:3], 0
	s_cbranch_vccnz .LBB30_2038
; %bb.2032:
	v_cmp_lt_i16_e32 vcc, 14, v4
	s_mov_b64 s[8:9], -1
	s_cbranch_vccz .LBB30_2036
; %bb.2033:
	v_cmp_eq_u16_e32 vcc, 15, v4
	s_mov_b64 s[0:1], -1
	s_cbranch_vccz .LBB30_2035
; %bb.2034:
	global_store_short v[0:1], v6, off
	s_mov_b64 s[0:1], 0
.LBB30_2035:
	s_mov_b64 s[8:9], 0
.LBB30_2036:
	s_and_b64 vcc, exec, s[8:9]
	s_cbranch_vccz .LBB30_2038
; %bb.2037:
	v_cmp_ne_u16_e64 s[0:1], 11, v4
	s_mov_b64 s[2:3], -1
.LBB30_2038:
	s_and_b64 vcc, exec, s[0:1]
	s_cbranch_vccnz .LBB30_2049
.LBB30_2039:
	s_mov_b64 s[0:1], 0
	s_branch .LBB30_1550
.LBB30_2040:
	s_mov_b64 s[0:1], 0
                                        ; implicit-def: $vgpr4
                                        ; implicit-def: $vgpr0_vgpr1
                                        ; implicit-def: $vgpr6
	s_branch .LBB30_1549
.LBB30_2041:
	s_mov_b64 s[2:3], 0
	s_mov_b64 s[0:1], -1
	s_branch .LBB30_1550
.LBB30_2042:
	s_or_saveexec_b64 s[18:19], s[18:19]
                                        ; implicit-def: $sgpr20
	s_xor_b64 exec, exec, s[18:19]
	s_cbranch_execz .LBB30_1874
.LBB30_2043:
	s_mov_b32 s20, 0x46000000
	v_add_f32_e64 v6, |v7|, s20
	v_and_b32_e32 v6, 0xff, v6
	v_cmp_ne_u32_e32 vcc, 0, v6
	s_andn2_b64 s[12:13], s[12:13], exec
	s_and_b64 s[22:23], vcc, exec
	s_mov_b32 s20, 0
	s_or_b64 s[12:13], s[12:13], s[22:23]
	s_or_b64 exec, exec, s[18:19]
	v_mov_b32_e32 v9, s20
	s_and_saveexec_b64 s[18:19], s[12:13]
	s_cbranch_execnz .LBB30_1875
	s_branch .LBB30_1876
.LBB30_2044:
	s_trap 2
	s_or_b64 s[16:17], s[16:17], exec
	s_cbranch_execz .LBB30_1922
	s_branch .LBB30_1923
.LBB30_2045:
	s_or_saveexec_b64 s[12:13], s[12:13]
                                        ; implicit-def: $sgpr18
	s_xor_b64 exec, exec, s[12:13]
	s_cbranch_execz .LBB30_1887
.LBB30_2046:
	s_mov_b32 s18, 0x42800000
	v_add_f32_e64 v6, |v7|, s18
	v_and_b32_e32 v6, 0xff, v6
	v_cmp_ne_u32_e32 vcc, 0, v6
	s_andn2_b64 s[10:11], s[10:11], exec
	s_and_b64 s[20:21], vcc, exec
	s_mov_b32 s18, 0
	s_or_b64 s[10:11], s[10:11], s[20:21]
	s_or_b64 exec, exec, s[12:13]
	v_mov_b32_e32 v9, s18
	s_and_saveexec_b64 s[12:13], s[10:11]
	s_cbranch_execnz .LBB30_1888
	s_branch .LBB30_1889
.LBB30_2047:
	s_or_saveexec_b64 s[12:13], s[12:13]
                                        ; implicit-def: $sgpr14
	s_xor_b64 exec, exec, s[12:13]
	s_cbranch_execz .LBB30_1993
.LBB30_2048:
	s_mov_b32 s14, 0x46000000
	v_add_f32_e64 v3, |v7|, s14
	v_and_b32_e32 v3, 0xff, v3
	v_cmp_ne_u32_e32 vcc, 0, v3
	s_andn2_b64 s[10:11], s[10:11], exec
	s_and_b64 s[18:19], vcc, exec
	s_mov_b32 s14, 0
	s_or_b64 s[10:11], s[10:11], s[18:19]
	s_or_b64 exec, exec, s[12:13]
	v_mov_b32_e32 v8, s14
	s_and_saveexec_b64 s[12:13], s[10:11]
	s_cbranch_execnz .LBB30_1994
	s_branch .LBB30_1995
.LBB30_2049:
	s_mov_b64 s[2:3], 0
	s_or_b64 s[16:17], s[16:17], exec
	s_trap 2
	s_branch .LBB30_2039
.LBB30_2050:
	s_or_saveexec_b64 s[10:11], s[10:11]
                                        ; implicit-def: $sgpr12
	s_xor_b64 exec, exec, s[10:11]
	s_cbranch_execz .LBB30_2005
.LBB30_2051:
	s_mov_b32 s12, 0x42800000
	v_add_f32_e64 v3, |v7|, s12
	v_and_b32_e32 v3, 0xff, v3
	v_cmp_ne_u32_e32 vcc, 0, v3
	s_andn2_b64 s[8:9], s[8:9], exec
	s_and_b64 s[14:15], vcc, exec
	s_mov_b32 s12, 0
	s_or_b64 s[8:9], s[8:9], s[14:15]
	s_or_b64 exec, exec, s[10:11]
	v_mov_b32_e32 v8, s12
	s_and_saveexec_b64 s[10:11], s[8:9]
	s_cbranch_execnz .LBB30_2006
	s_branch .LBB30_2007
	.section	.rodata,"a",@progbits
	.p2align	6, 0x0
	.amdhsa_kernel _ZN2at6native32elementwise_kernel_manual_unrollILi128ELi4EZNS0_15gpu_kernel_implINS0_13AUnaryFunctorIN3c108BFloat16ES5_S5_ZNS0_20copysign_kernel_cudaERNS_18TensorIteratorBaseEEUlS5_S5_E_EEEEvS7_RKT_EUlibE_EEviT1_
		.amdhsa_group_segment_fixed_size 0
		.amdhsa_private_segment_fixed_size 0
		.amdhsa_kernarg_size 40
		.amdhsa_user_sgpr_count 6
		.amdhsa_user_sgpr_private_segment_buffer 1
		.amdhsa_user_sgpr_dispatch_ptr 0
		.amdhsa_user_sgpr_queue_ptr 0
		.amdhsa_user_sgpr_kernarg_segment_ptr 1
		.amdhsa_user_sgpr_dispatch_id 0
		.amdhsa_user_sgpr_flat_scratch_init 0
		.amdhsa_user_sgpr_kernarg_preload_length 0
		.amdhsa_user_sgpr_kernarg_preload_offset 0
		.amdhsa_user_sgpr_private_segment_size 0
		.amdhsa_uses_dynamic_stack 0
		.amdhsa_system_sgpr_private_segment_wavefront_offset 0
		.amdhsa_system_sgpr_workgroup_id_x 1
		.amdhsa_system_sgpr_workgroup_id_y 0
		.amdhsa_system_sgpr_workgroup_id_z 0
		.amdhsa_system_sgpr_workgroup_info 0
		.amdhsa_system_vgpr_workitem_id 0
		.amdhsa_next_free_vgpr 14
		.amdhsa_next_free_sgpr 44
		.amdhsa_accum_offset 16
		.amdhsa_reserve_vcc 1
		.amdhsa_reserve_flat_scratch 0
		.amdhsa_float_round_mode_32 0
		.amdhsa_float_round_mode_16_64 0
		.amdhsa_float_denorm_mode_32 3
		.amdhsa_float_denorm_mode_16_64 3
		.amdhsa_dx10_clamp 1
		.amdhsa_ieee_mode 1
		.amdhsa_fp16_overflow 0
		.amdhsa_tg_split 0
		.amdhsa_exception_fp_ieee_invalid_op 0
		.amdhsa_exception_fp_denorm_src 0
		.amdhsa_exception_fp_ieee_div_zero 0
		.amdhsa_exception_fp_ieee_overflow 0
		.amdhsa_exception_fp_ieee_underflow 0
		.amdhsa_exception_fp_ieee_inexact 0
		.amdhsa_exception_int_div_zero 0
	.end_amdhsa_kernel
	.section	.text._ZN2at6native32elementwise_kernel_manual_unrollILi128ELi4EZNS0_15gpu_kernel_implINS0_13AUnaryFunctorIN3c108BFloat16ES5_S5_ZNS0_20copysign_kernel_cudaERNS_18TensorIteratorBaseEEUlS5_S5_E_EEEEvS7_RKT_EUlibE_EEviT1_,"axG",@progbits,_ZN2at6native32elementwise_kernel_manual_unrollILi128ELi4EZNS0_15gpu_kernel_implINS0_13AUnaryFunctorIN3c108BFloat16ES5_S5_ZNS0_20copysign_kernel_cudaERNS_18TensorIteratorBaseEEUlS5_S5_E_EEEEvS7_RKT_EUlibE_EEviT1_,comdat
.Lfunc_end30:
	.size	_ZN2at6native32elementwise_kernel_manual_unrollILi128ELi4EZNS0_15gpu_kernel_implINS0_13AUnaryFunctorIN3c108BFloat16ES5_S5_ZNS0_20copysign_kernel_cudaERNS_18TensorIteratorBaseEEUlS5_S5_E_EEEEvS7_RKT_EUlibE_EEviT1_, .Lfunc_end30-_ZN2at6native32elementwise_kernel_manual_unrollILi128ELi4EZNS0_15gpu_kernel_implINS0_13AUnaryFunctorIN3c108BFloat16ES5_S5_ZNS0_20copysign_kernel_cudaERNS_18TensorIteratorBaseEEUlS5_S5_E_EEEEvS7_RKT_EUlibE_EEviT1_
                                        ; -- End function
	.section	.AMDGPU.csdata,"",@progbits
; Kernel info:
; codeLenInByte = 39304
; NumSgprs: 48
; NumVgprs: 14
; NumAgprs: 0
; TotalNumVgprs: 14
; ScratchSize: 0
; MemoryBound: 0
; FloatMode: 240
; IeeeMode: 1
; LDSByteSize: 0 bytes/workgroup (compile time only)
; SGPRBlocks: 5
; VGPRBlocks: 1
; NumSGPRsForWavesPerEU: 48
; NumVGPRsForWavesPerEU: 14
; AccumOffset: 16
; Occupancy: 8
; WaveLimiterHint : 0
; COMPUTE_PGM_RSRC2:SCRATCH_EN: 0
; COMPUTE_PGM_RSRC2:USER_SGPR: 6
; COMPUTE_PGM_RSRC2:TRAP_HANDLER: 0
; COMPUTE_PGM_RSRC2:TGID_X_EN: 1
; COMPUTE_PGM_RSRC2:TGID_Y_EN: 0
; COMPUTE_PGM_RSRC2:TGID_Z_EN: 0
; COMPUTE_PGM_RSRC2:TIDIG_COMP_CNT: 0
; COMPUTE_PGM_RSRC3_GFX90A:ACCUM_OFFSET: 3
; COMPUTE_PGM_RSRC3_GFX90A:TG_SPLIT: 0
	.section	.text._ZN2at6native32elementwise_kernel_manual_unrollILi128ELi4EZNS0_15gpu_kernel_implINS0_13AUnaryFunctorIN3c108BFloat16ES5_S5_ZNS0_20copysign_kernel_cudaERNS_18TensorIteratorBaseEEUlS5_S5_E_EEEEvS7_RKT_EUlibE0_EEviT1_,"axG",@progbits,_ZN2at6native32elementwise_kernel_manual_unrollILi128ELi4EZNS0_15gpu_kernel_implINS0_13AUnaryFunctorIN3c108BFloat16ES5_S5_ZNS0_20copysign_kernel_cudaERNS_18TensorIteratorBaseEEUlS5_S5_E_EEEEvS7_RKT_EUlibE0_EEviT1_,comdat
	.globl	_ZN2at6native32elementwise_kernel_manual_unrollILi128ELi4EZNS0_15gpu_kernel_implINS0_13AUnaryFunctorIN3c108BFloat16ES5_S5_ZNS0_20copysign_kernel_cudaERNS_18TensorIteratorBaseEEUlS5_S5_E_EEEEvS7_RKT_EUlibE0_EEviT1_ ; -- Begin function _ZN2at6native32elementwise_kernel_manual_unrollILi128ELi4EZNS0_15gpu_kernel_implINS0_13AUnaryFunctorIN3c108BFloat16ES5_S5_ZNS0_20copysign_kernel_cudaERNS_18TensorIteratorBaseEEUlS5_S5_E_EEEEvS7_RKT_EUlibE0_EEviT1_
	.p2align	8
	.type	_ZN2at6native32elementwise_kernel_manual_unrollILi128ELi4EZNS0_15gpu_kernel_implINS0_13AUnaryFunctorIN3c108BFloat16ES5_S5_ZNS0_20copysign_kernel_cudaERNS_18TensorIteratorBaseEEUlS5_S5_E_EEEEvS7_RKT_EUlibE0_EEviT1_,@function
_ZN2at6native32elementwise_kernel_manual_unrollILi128ELi4EZNS0_15gpu_kernel_implINS0_13AUnaryFunctorIN3c108BFloat16ES5_S5_ZNS0_20copysign_kernel_cudaERNS_18TensorIteratorBaseEEUlS5_S5_E_EEEEvS7_RKT_EUlibE0_EEviT1_: ; @_ZN2at6native32elementwise_kernel_manual_unrollILi128ELi4EZNS0_15gpu_kernel_implINS0_13AUnaryFunctorIN3c108BFloat16ES5_S5_ZNS0_20copysign_kernel_cudaERNS_18TensorIteratorBaseEEUlS5_S5_E_EEEEvS7_RKT_EUlibE0_EEviT1_
; %bb.0:
	s_load_dword s72, s[4:5], 0x0
	s_load_dword s33, s[4:5], 0x8
	s_or_b32 s34, s4, 8
	v_lshl_or_b32 v8, s6, 9, v0
	v_or_b32_e32 v16, 0x180, v8
	s_mov_b32 s35, s5
	s_waitcnt lgkmcnt(0)
	s_add_i32 s74, s33, -1
	s_cmp_gt_u32 s74, 1
	v_cmp_le_i32_e32 vcc, s72, v16
	s_cselect_b64 s[40:41], -1, 0
	s_mov_b64 s[6:7], 0
	s_mov_b64 s[28:29], 0
	s_and_saveexec_b64 s[0:1], vcc
	s_xor_b64 s[42:43], exec, s[0:1]
	s_cbranch_execz .LBB31_1090
; %bb.1:
	s_cmp_lg_u32 s33, 0
	s_cselect_b64 s[50:51], -1, 0
	s_add_u32 s48, s34, 0xc4
	s_load_dwordx4 s[28:31], s[34:35], 0x4
	s_load_dword s0, s[4:5], 0x160
	s_load_dwordx4 s[24:27], s[34:35], 0x148
	s_load_dword s75, s[34:35], 0x15c
	s_addc_u32 s49, s35, 0
	s_min_u32 s73, s74, 15
	s_cmp_gt_u32 s33, 1
	s_load_dwordx2 s[44:45], s[34:35], 0x14
	s_load_dwordx4 s[36:39], s[34:35], 0xc4
	s_cselect_b64 s[46:47], -1, 0
	s_waitcnt lgkmcnt(0)
	s_lshr_b32 s0, s0, 16
	v_mov_b32_e32 v0, 0x7fff
	v_and_b32_e32 v5, s0, v0
	v_cmp_ne_u16_e32 vcc, 0, v5
	v_lshrrev_b16_e64 v6, 8, s75
	v_cndmask_b32_e64 v4, 0, 1, vcc
	v_cmp_gt_i32_e32 vcc, s72, v8
	s_mov_b64 s[2:3], -1
	s_mov_b64 s[60:61], 0
	s_mov_b64 s[54:55], 0
	;; [unrolled: 1-line block ×3, first 2 shown]
	s_and_saveexec_b64 s[56:57], vcc
	s_cbranch_execz .LBB31_267
; %bb.2:
	s_andn2_b64 vcc, exec, s[40:41]
	s_cbranch_vccnz .LBB31_8
; %bb.3:
	s_mov_b32 s52, 0
	s_andn2_b64 vcc, exec, s[50:51]
	v_mov_b32_e32 v2, 0
	v_mov_b32_e32 v0, 0
	s_cbranch_vccnz .LBB31_14
; %bb.4:
	s_add_i32 s62, s73, 1
	s_cmp_eq_u32 s74, 2
	s_cbranch_scc1 .LBB31_9
; %bb.5:
	s_and_b32 s52, s62, 28
	s_mov_b32 s53, 0
	v_mov_b32_e32 v0, 0
	s_mov_b64 s[54:55], s[34:35]
	s_mov_b64 s[58:59], s[48:49]
	v_mov_b32_e32 v3, v8
	v_mov_b32_e32 v2, 0
.LBB31_6:                               ; =>This Inner Loop Header: Depth=1
	s_load_dwordx8 s[16:23], s[54:55], 0x4
	s_load_dwordx4 s[0:3], s[54:55], 0x24
	s_load_dwordx8 s[8:15], s[58:59], 0x0
	s_add_u32 s54, s54, 48
	s_addc_u32 s55, s55, 0
	s_waitcnt lgkmcnt(0)
	v_mul_hi_u32 v1, s17, v3
	v_add_u32_e32 v1, v3, v1
	v_lshrrev_b32_e32 v1, s18, v1
	v_mul_lo_u32 v7, v1, s16
	v_mul_hi_u32 v9, s20, v1
	v_sub_u32_e32 v3, v3, v7
	v_add_u32_e32 v7, v1, v9
	v_lshrrev_b32_e32 v7, s21, v7
	v_mul_lo_u32 v10, v7, s19
	v_mul_hi_u32 v11, s23, v7
	v_sub_u32_e32 v1, v1, v10
	v_add_u32_e32 v10, v7, v11
	v_mul_lo_u32 v9, v3, s9
	v_mul_lo_u32 v3, v3, s8
	;; [unrolled: 1-line block ×4, first 2 shown]
	v_lshrrev_b32_e32 v10, s0, v10
	v_add3_u32 v0, v3, v0, v1
	v_mul_hi_u32 v3, s2, v10
	v_add_u32_e32 v3, v10, v3
	v_lshrrev_b32_e32 v3, s3, v3
	s_add_i32 s53, s53, 4
	v_add3_u32 v1, v9, v2, v11
	v_mul_lo_u32 v2, v10, s22
	v_mul_lo_u32 v9, v3, s1
	s_add_u32 s58, s58, 32
	v_sub_u32_e32 v2, v7, v2
	v_sub_u32_e32 v9, v10, v9
	s_addc_u32 s59, s59, 0
	v_mul_lo_u32 v7, v2, s12
	v_mul_lo_u32 v2, v2, s13
	;; [unrolled: 1-line block ×4, first 2 shown]
	s_cmp_lg_u32 s52, s53
	v_add3_u32 v2, v2, v1, v9
	v_add3_u32 v0, v7, v0, v10
	s_cbranch_scc1 .LBB31_6
; %bb.7:
	v_mov_b32_e32 v1, v2
	s_branch .LBB31_10
.LBB31_8:
                                        ; implicit-def: $vgpr2
                                        ; implicit-def: $vgpr0
	s_branch .LBB31_15
.LBB31_9:
	s_mov_b32 s53, s52
	v_pk_mov_b32 v[0:1], s[52:53], s[52:53] op_sel:[0,1]
                                        ; implicit-def: $vgpr2
	v_mov_b32_e32 v3, v8
.LBB31_10:
	s_and_b32 s8, s62, 3
	s_cmp_eq_u32 s8, 0
	s_cbranch_scc1 .LBB31_14
; %bb.11:
	s_lshl_b32 s0, s52, 3
	s_add_u32 s0, s0, s34
	s_addc_u32 s1, s35, 0
	s_add_u32 s0, s0, 0xc4
	s_addc_u32 s1, s1, 0
	s_mul_i32 s2, s52, 12
	s_add_u32 s2, s34, s2
	s_addc_u32 s3, s35, 0
.LBB31_12:                              ; =>This Inner Loop Header: Depth=1
	s_load_dwordx2 s[10:11], s[2:3], 0x4
	s_load_dword s9, s[2:3], 0xc
	s_load_dwordx2 s[12:13], s[0:1], 0x0
	v_mov_b32_e32 v2, v1
	s_add_u32 s2, s2, 12
	s_waitcnt lgkmcnt(0)
	v_mul_hi_u32 v1, s11, v3
	v_add_u32_e32 v1, v3, v1
	v_lshrrev_b32_e32 v1, s9, v1
	s_addc_u32 s3, s3, 0
	v_mul_lo_u32 v7, v1, s10
	s_add_u32 s0, s0, 8
	v_sub_u32_e32 v7, v3, v7
	v_mov_b32_e32 v3, v1
	s_addc_u32 s1, s1, 0
	s_add_i32 s8, s8, -1
	v_mad_u64_u32 v[10:11], s[10:11], v7, s13, v[2:3]
	v_mad_u64_u32 v[0:1], s[10:11], v7, s12, v[0:1]
	s_cmp_lg_u32 s8, 0
	v_mov_b32_e32 v1, v10
	s_cbranch_scc1 .LBB31_12
; %bb.13:
	v_mov_b32_e32 v2, v1
.LBB31_14:
	s_cbranch_execnz .LBB31_17
.LBB31_15:
	v_mul_hi_u32 v0, s29, v8
	v_add_u32_e32 v0, v8, v0
	v_lshrrev_b32_e32 v1, s30, v0
	v_mul_lo_u32 v0, v1, s28
	v_sub_u32_e32 v0, v8, v0
	v_mul_lo_u32 v2, v0, s37
	s_andn2_b64 vcc, exec, s[46:47]
	v_mul_lo_u32 v0, v0, s36
	s_cbranch_vccnz .LBB31_17
; %bb.16:
	v_mul_hi_u32 v3, s44, v1
	v_add_u32_e32 v3, v1, v3
	v_lshrrev_b32_e32 v3, s45, v3
	v_mul_lo_u32 v3, v3, s31
	v_sub_u32_e32 v3, v1, v3
	v_mad_u64_u32 v[0:1], s[0:1], v3, s38, v[0:1]
	v_mad_u64_u32 v[2:3], s[0:1], v3, s39, v[2:3]
.LBB31_17:
	v_mov_b32_e32 v1, s27
	v_add_co_u32_e32 v2, vcc, s26, v2
	v_addc_co_u32_e32 v3, vcc, 0, v1, vcc
	v_cmp_gt_i16_e32 vcc, 11, v6
	s_cbranch_vccnz .LBB31_24
; %bb.18:
	v_cmp_lt_i16_e32 vcc, 25, v6
	s_cbranch_vccz .LBB31_33
; %bb.19:
	v_cmp_lt_i16_e32 vcc, 28, v6
	s_cbranch_vccz .LBB31_36
	;; [unrolled: 3-line block ×4, first 2 shown]
; %bb.22:
	v_cmp_eq_u16_e32 vcc, 46, v6
	s_mov_b64 s[8:9], 0
	s_cbranch_vccz .LBB31_42
; %bb.23:
	global_load_dword v1, v[2:3], off
	s_mov_b64 s[0:1], -1
	s_mov_b64 s[2:3], 0
	s_branch .LBB31_44
.LBB31_24:
	s_mov_b64 s[2:3], 0
                                        ; implicit-def: $vgpr1
	s_mov_b64 s[0:1], 0
	s_cbranch_execnz .LBB31_217
.LBB31_25:
	s_andn2_b64 vcc, exec, s[0:1]
	s_cbranch_vccnz .LBB31_264
.LBB31_26:
	s_waitcnt vmcnt(0)
	v_and_b32_e32 v1, 0xffff8000, v1
	v_or_b32_e32 v2, v1, v5
	v_mov_b32_e32 v1, s25
	v_add_co_u32_e32 v0, vcc, s24, v0
	v_mov_b32_e32 v3, 11
	v_addc_co_u32_e32 v1, vcc, 0, v1, vcc
	v_cmp_lt_i16_sdwa s[0:1], s75, v3 src0_sel:BYTE_0 src1_sel:DWORD
	s_and_b64 vcc, exec, s[0:1]
	s_cbranch_vccnz .LBB31_34
; %bb.27:
	v_mov_b32_e32 v3, 25
	v_cmp_gt_i16_sdwa s[0:1], s75, v3 src0_sel:BYTE_0 src1_sel:DWORD
	s_and_b64 vcc, exec, s[0:1]
	s_cbranch_vccz .LBB31_37
; %bb.28:
	v_mov_b32_e32 v3, 28
	v_cmp_gt_i16_sdwa s[0:1], s75, v3 src0_sel:BYTE_0 src1_sel:DWORD
	s_and_b64 vcc, exec, s[0:1]
	s_cbranch_vccz .LBB31_39
	;; [unrolled: 5-line block ×4, first 2 shown]
; %bb.31:
	v_mov_b32_e32 v3, 46
	v_cmp_eq_u16_sdwa s[8:9], s75, v3 src0_sel:BYTE_0 src1_sel:DWORD
	s_mov_b64 s[10:11], 0
	s_mov_b64 s[0:1], -1
	s_and_b64 vcc, exec, s[8:9]
	s_mov_b64 s[8:9], 0
	s_cbranch_vccz .LBB31_48
; %bb.32:
	v_and_b32_e32 v3, 0xffff, v2
	global_store_dword v[0:1], v3, off
	s_mov_b64 s[8:9], -1
	s_mov_b64 s[0:1], 0
	s_branch .LBB31_48
.LBB31_33:
	s_mov_b64 s[2:3], 0
	s_mov_b64 s[0:1], 0
                                        ; implicit-def: $vgpr1
	s_cbranch_execnz .LBB31_182
	s_branch .LBB31_216
.LBB31_34:
	s_mov_b64 s[0:1], 0
	s_mov_b64 s[8:9], 0
	s_cbranch_execnz .LBB31_117
.LBB31_35:
	s_andn2_b64 vcc, exec, s[8:9]
	s_cbranch_vccnz .LBB31_265
	s_branch .LBB31_155
.LBB31_36:
	s_mov_b64 s[8:9], -1
	s_mov_b64 s[2:3], 0
	s_mov_b64 s[0:1], 0
                                        ; implicit-def: $vgpr1
	s_branch .LBB31_163
.LBB31_37:
	s_mov_b64 s[10:11], -1
	s_mov_b64 s[0:1], 0
	s_mov_b64 s[8:9], 0
	s_branch .LBB31_75
.LBB31_38:
	s_mov_b64 s[8:9], -1
	s_mov_b64 s[2:3], 0
	s_mov_b64 s[0:1], 0
                                        ; implicit-def: $vgpr1
	s_branch .LBB31_158
.LBB31_39:
	s_mov_b64 s[10:11], -1
	s_mov_b64 s[0:1], 0
	s_mov_b64 s[8:9], 0
	s_branch .LBB31_58
.LBB31_40:
	s_mov_b64 s[8:9], -1
	s_mov_b64 s[2:3], 0
	s_branch .LBB31_43
.LBB31_41:
	s_mov_b64 s[10:11], -1
	s_mov_b64 s[0:1], 0
	s_mov_b64 s[8:9], 0
	s_branch .LBB31_54
.LBB31_42:
	s_mov_b64 s[2:3], -1
.LBB31_43:
	s_mov_b64 s[0:1], 0
                                        ; implicit-def: $vgpr1
.LBB31_44:
	s_and_b64 vcc, exec, s[8:9]
	s_cbranch_vccz .LBB31_157
; %bb.45:
	v_cmp_eq_u16_e32 vcc, 44, v6
	s_cbranch_vccz .LBB31_156
; %bb.46:
	global_load_ubyte v1, v[2:3], off
	s_movk_i32 s2, 0xff
	v_mov_b32_e32 v7, 0x7f800001
	v_mov_b32_e32 v9, 0x400000
	;; [unrolled: 1-line block ×3, first 2 shown]
	s_mov_b64 s[0:1], -1
	s_waitcnt vmcnt(0)
	v_lshlrev_b32_e32 v11, 23, v1
	v_cmp_ne_u32_e32 vcc, s2, v1
	v_cndmask_b32_e32 v7, v7, v11, vcc
	v_cmp_ne_u32_e32 vcc, 0, v1
	v_cndmask_b32_e32 v1, v9, v7, vcc
	v_add_u32_e32 v7, 0x7fff, v1
	v_lshrrev_b32_e32 v7, 16, v7
	v_cmp_o_f32_e32 vcc, v1, v1
	v_cndmask_b32_e32 v1, v10, v7, vcc
	s_mov_b64 s[2:3], 0
	s_branch .LBB31_157
.LBB31_47:
	s_mov_b64 s[10:11], -1
	s_mov_b64 s[0:1], 0
	s_mov_b64 s[8:9], 0
.LBB31_48:
	s_and_b64 vcc, exec, s[10:11]
	s_cbranch_vccz .LBB31_53
; %bb.49:
	v_mov_b32_e32 v3, 44
	v_cmp_eq_u16_sdwa s[10:11], s75, v3 src0_sel:BYTE_0 src1_sel:DWORD
	s_mov_b64 s[0:1], -1
	s_and_b64 vcc, exec, s[10:11]
	s_cbranch_vccz .LBB31_53
; %bb.50:
	v_and_b32_e32 v7, 0xffff, v2
	v_bfe_u32 v3, v7, 7, 8
	s_movk_i32 s0, 0xff
	v_cmp_ne_u32_e32 vcc, s0, v3
	v_mov_b32_e32 v9, 0xff
	s_and_saveexec_b64 s[8:9], vcc
; %bb.51:
	v_lshlrev_b32_e32 v10, 16, v7
	s_mov_b32 s0, 0x3f0000
	v_lshrrev_b32_e32 v9, 7, v7
	v_and_b32_e32 v7, 64, v7
	v_and_or_b32 v3, v10, s0, v3
	v_cmp_ne_u32_e32 vcc, 0, v7
	v_cmp_ne_u32_e64 s[0:1], 0, v3
	s_and_b64 s[0:1], vcc, s[0:1]
	v_cndmask_b32_e64 v3, 0, 1, s[0:1]
	v_add_u32_e32 v9, v9, v3
; %bb.52:
	s_or_b64 exec, exec, s[8:9]
	s_mov_b64 s[8:9], -1
	s_mov_b64 s[0:1], 0
	global_store_byte v[0:1], v9, off
.LBB31_53:
	s_mov_b64 s[10:11], 0
.LBB31_54:
	s_and_b64 vcc, exec, s[10:11]
	s_cbranch_vccz .LBB31_57
; %bb.55:
	v_mov_b32_e32 v3, 29
	v_cmp_eq_u16_sdwa s[10:11], s75, v3 src0_sel:BYTE_0 src1_sel:DWORD
	s_mov_b64 s[0:1], -1
	s_and_b64 vcc, exec, s[10:11]
	s_cbranch_vccz .LBB31_57
; %bb.56:
	v_lshlrev_b32_e32 v3, 16, v2
	v_trunc_f32_e32 v3, v3
	v_mul_f32_e32 v7, 0x2f800000, v3
	v_floor_f32_e32 v7, v7
	v_fmac_f32_e32 v3, 0xcf800000, v7
	v_cvt_u32_f32_e32 v11, v7
	v_cvt_u32_f32_e32 v10, v3
	s_mov_b64 s[8:9], -1
	s_mov_b64 s[0:1], 0
	s_mov_b64 s[10:11], 0
	global_store_dwordx2 v[0:1], v[10:11], off
	s_branch .LBB31_58
.LBB31_57:
	s_mov_b64 s[10:11], 0
.LBB31_58:
	s_and_b64 vcc, exec, s[10:11]
	s_cbranch_vccz .LBB31_74
; %bb.59:
	v_mov_b32_e32 v3, 27
	v_cmp_lt_i16_sdwa s[10:11], s75, v3 src0_sel:BYTE_0 src1_sel:DWORD
	s_mov_b64 s[8:9], -1
	s_and_b64 vcc, exec, s[10:11]
	s_cbranch_vccnz .LBB31_65
; %bb.60:
	v_cmp_gt_i16_sdwa s[10:11], s75, v3 src0_sel:BYTE_0 src1_sel:DWORD
	s_and_b64 vcc, exec, s[10:11]
	s_cbranch_vccz .LBB31_62
; %bb.61:
	v_lshlrev_b32_e32 v3, 16, v2
	v_cvt_u32_f32_e32 v3, v3
	s_mov_b64 s[8:9], 0
	global_store_dword v[0:1], v3, off
.LBB31_62:
	s_andn2_b64 vcc, exec, s[8:9]
	s_cbranch_vccnz .LBB31_64
; %bb.63:
	v_lshlrev_b32_e32 v3, 16, v2
	v_cvt_u32_f32_e32 v3, v3
	global_store_short v[0:1], v3, off
.LBB31_64:
	s_mov_b64 s[8:9], 0
.LBB31_65:
	s_andn2_b64 vcc, exec, s[8:9]
	s_cbranch_vccnz .LBB31_73
; %bb.66:
	v_lshlrev_b32_e32 v9, 16, v2
	v_and_b32_e32 v7, 0x7fffffff, v9
	s_mov_b32 s8, 0x43800000
	v_cmp_gt_u32_e32 vcc, s8, v7
	v_mov_b32_e32 v10, 0x80
	s_and_saveexec_b64 s[8:9], vcc
	s_cbranch_execz .LBB31_72
; %bb.67:
	s_mov_b32 s10, 0x3bffffff
	v_and_b32_e32 v3, 0xffff, v2
	v_cmp_lt_u32_e32 vcc, s10, v7
	s_mov_b64 s[10:11], 0
                                        ; implicit-def: $vgpr7
	s_and_saveexec_b64 s[12:13], vcc
	s_xor_b64 s[12:13], exec, s[12:13]
	s_cbranch_execz .LBB31_309
; %bb.68:
	v_bfe_u32 v7, v3, 4, 1
	s_mov_b32 s14, 0x487ffff
	v_add3_u32 v7, v9, v7, s14
	s_mov_b64 s[10:11], exec
	v_lshrrev_b32_e32 v7, 20, v7
                                        ; implicit-def: $vgpr9
	s_or_saveexec_b64 s[12:13], s[12:13]
                                        ; implicit-def: $sgpr14
	s_xor_b64 exec, exec, s[12:13]
	s_cbranch_execnz .LBB31_310
.LBB31_69:
	s_or_b64 exec, exec, s[12:13]
	v_mov_b32_e32 v10, s14
	s_and_saveexec_b64 s[12:13], s[10:11]
.LBB31_70:
	v_lshrrev_b32_e32 v3, 8, v3
	s_movk_i32 s10, 0x80
	v_and_or_b32 v10, v3, s10, v7
.LBB31_71:
	s_or_b64 exec, exec, s[12:13]
.LBB31_72:
	s_or_b64 exec, exec, s[8:9]
	global_store_byte v[0:1], v10, off
.LBB31_73:
	s_mov_b64 s[8:9], -1
.LBB31_74:
	s_mov_b64 s[10:11], 0
.LBB31_75:
	s_and_b64 vcc, exec, s[10:11]
	s_cbranch_vccz .LBB31_116
; %bb.76:
	v_mov_b32_e32 v3, 22
	v_cmp_gt_i16_sdwa s[12:13], s75, v3 src0_sel:BYTE_0 src1_sel:DWORD
	s_mov_b64 s[10:11], -1
	s_and_b64 vcc, exec, s[12:13]
	s_cbranch_vccz .LBB31_108
; %bb.77:
	v_mov_b32_e32 v3, 24
	v_cmp_lt_i16_sdwa s[10:11], s75, v3 src0_sel:BYTE_0 src1_sel:DWORD
	s_mov_b64 s[8:9], -1
	s_and_b64 vcc, exec, s[10:11]
	s_cbranch_vccnz .LBB31_97
; %bb.78:
	v_cmp_gt_i16_sdwa s[10:11], s75, v3 src0_sel:BYTE_0 src1_sel:DWORD
	s_and_b64 vcc, exec, s[10:11]
	s_cbranch_vccz .LBB31_86
; %bb.79:
	v_lshlrev_b32_e32 v9, 16, v2
	v_and_b32_e32 v7, 0x7fffffff, v9
	s_mov_b32 s8, 0x47800000
	v_cmp_gt_u32_e32 vcc, s8, v7
	v_mov_b32_e32 v10, 0x80
	s_and_saveexec_b64 s[8:9], vcc
	s_cbranch_execz .LBB31_85
; %bb.80:
	s_mov_b32 s10, 0x37ffffff
	v_and_b32_e32 v3, 0xffff, v2
	v_cmp_lt_u32_e32 vcc, s10, v7
	s_mov_b64 s[10:11], 0
                                        ; implicit-def: $vgpr7
	s_and_saveexec_b64 s[12:13], vcc
	s_xor_b64 s[12:13], exec, s[12:13]
	s_cbranch_execz .LBB31_313
; %bb.81:
	v_bfe_u32 v7, v3, 5, 1
	s_mov_b32 s14, 0x88fffff
	v_add3_u32 v7, v9, v7, s14
	s_mov_b64 s[10:11], exec
	v_lshrrev_b32_e32 v7, 21, v7
                                        ; implicit-def: $vgpr9
	s_or_saveexec_b64 s[12:13], s[12:13]
                                        ; implicit-def: $sgpr14
	s_xor_b64 exec, exec, s[12:13]
	s_cbranch_execnz .LBB31_314
.LBB31_82:
	s_or_b64 exec, exec, s[12:13]
	v_mov_b32_e32 v10, s14
	s_and_saveexec_b64 s[12:13], s[10:11]
.LBB31_83:
	v_lshrrev_b32_e32 v3, 8, v3
	s_movk_i32 s10, 0x80
	v_and_or_b32 v10, v3, s10, v7
.LBB31_84:
	s_or_b64 exec, exec, s[12:13]
.LBB31_85:
	s_or_b64 exec, exec, s[8:9]
	s_mov_b64 s[8:9], 0
	global_store_byte v[0:1], v10, off
.LBB31_86:
	s_and_b64 vcc, exec, s[8:9]
	s_cbranch_vccz .LBB31_96
; %bb.87:
	v_lshlrev_b32_e32 v9, 16, v2
	v_and_b32_e32 v10, 0x7fffffff, v9
	s_mov_b32 s8, 0x43f00000
	v_and_b32_e32 v3, 0xffff, v2
	v_cmp_gt_u32_e32 vcc, s8, v10
                                        ; implicit-def: $vgpr7
	s_and_saveexec_b64 s[8:9], vcc
	s_xor_b64 s[8:9], exec, s[8:9]
	s_cbranch_execz .LBB31_93
; %bb.88:
	s_mov_b32 s10, 0x3c7fffff
	v_cmp_lt_u32_e32 vcc, s10, v10
                                        ; implicit-def: $vgpr7
	s_and_saveexec_b64 s[10:11], vcc
	s_xor_b64 s[10:11], exec, s[10:11]
; %bb.89:
	v_bfe_u32 v7, v3, 4, 1
	s_mov_b32 s12, 0x407ffff
	v_add3_u32 v7, v9, v7, s12
	v_lshrrev_b32_e32 v9, 20, v7
	v_and_b32_e32 v7, 0xff00000, v7
	s_mov_b32 s12, 0x7f00000
	v_mov_b32_e32 v10, 0x7e
	v_cmp_ne_u32_e32 vcc, s12, v7
	v_cndmask_b32_e32 v7, v10, v9, vcc
                                        ; implicit-def: $vgpr9
; %bb.90:
	s_andn2_saveexec_b64 s[10:11], s[10:11]
; %bb.91:
	s_mov_b32 s12, 0x46800000
	v_add_f32_e64 v7, |v9|, s12
; %bb.92:
	s_or_b64 exec, exec, s[10:11]
                                        ; implicit-def: $vgpr10
.LBB31_93:
	s_andn2_saveexec_b64 s[8:9], s[8:9]
; %bb.94:
	s_mov_b32 s10, 0x7f800000
	v_mov_b32_e32 v7, 0x7e
	v_mov_b32_e32 v9, 0x7f
	v_cmp_lt_u32_e32 vcc, s10, v10
	v_cndmask_b32_e32 v7, v7, v9, vcc
; %bb.95:
	s_or_b64 exec, exec, s[8:9]
	v_lshrrev_b32_e32 v3, 8, v3
	s_movk_i32 s8, 0x80
	v_and_or_b32 v3, v3, s8, v7
	global_store_byte v[0:1], v3, off
.LBB31_96:
	s_mov_b64 s[8:9], 0
.LBB31_97:
	s_andn2_b64 vcc, exec, s[8:9]
	s_cbranch_vccnz .LBB31_107
; %bb.98:
	v_lshlrev_b32_e32 v9, 16, v2
	v_and_b32_e32 v10, 0x7fffffff, v9
	s_mov_b32 s8, 0x47800000
	v_and_b32_e32 v3, 0xffff, v2
	v_cmp_gt_u32_e32 vcc, s8, v10
                                        ; implicit-def: $vgpr7
	s_and_saveexec_b64 s[8:9], vcc
	s_xor_b64 s[8:9], exec, s[8:9]
	s_cbranch_execz .LBB31_104
; %bb.99:
	s_mov_b32 s10, 0x387fffff
	v_cmp_lt_u32_e32 vcc, s10, v10
                                        ; implicit-def: $vgpr7
	s_and_saveexec_b64 s[10:11], vcc
	s_xor_b64 s[10:11], exec, s[10:11]
; %bb.100:
	v_bfe_u32 v7, v3, 5, 1
	s_mov_b32 s12, 0x80fffff
	v_add3_u32 v7, v9, v7, s12
	v_lshrrev_b32_e32 v7, 21, v7
                                        ; implicit-def: $vgpr9
; %bb.101:
	s_andn2_saveexec_b64 s[10:11], s[10:11]
; %bb.102:
	s_mov_b32 s12, 0x43000000
	v_add_f32_e64 v7, |v9|, s12
; %bb.103:
	s_or_b64 exec, exec, s[10:11]
                                        ; implicit-def: $vgpr10
.LBB31_104:
	s_andn2_saveexec_b64 s[8:9], s[8:9]
; %bb.105:
	s_mov_b32 s10, 0x7f800000
	v_mov_b32_e32 v7, 0x7c
	v_mov_b32_e32 v9, 0x7f
	v_cmp_lt_u32_e32 vcc, s10, v10
	v_cndmask_b32_e32 v7, v7, v9, vcc
; %bb.106:
	s_or_b64 exec, exec, s[8:9]
	v_lshrrev_b32_e32 v3, 8, v3
	s_movk_i32 s8, 0x80
	v_and_or_b32 v3, v3, s8, v7
	global_store_byte v[0:1], v3, off
.LBB31_107:
	s_mov_b64 s[10:11], 0
	s_mov_b64 s[8:9], -1
.LBB31_108:
	s_andn2_b64 vcc, exec, s[10:11]
	s_cbranch_vccnz .LBB31_116
; %bb.109:
	v_mov_b32_e32 v3, 14
	v_cmp_gt_i16_sdwa s[12:13], s75, v3 src0_sel:BYTE_0 src1_sel:DWORD
	s_mov_b64 s[10:11], -1
	s_and_b64 vcc, exec, s[12:13]
	s_cbranch_vccz .LBB31_113
; %bb.110:
	v_mov_b32_e32 v3, 15
	v_cmp_eq_u16_sdwa s[10:11], s75, v3 src0_sel:BYTE_0 src1_sel:DWORD
	s_mov_b64 s[0:1], -1
	s_and_b64 vcc, exec, s[10:11]
	s_cbranch_vccz .LBB31_112
; %bb.111:
	global_store_short v[0:1], v2, off
	s_mov_b64 s[8:9], -1
	s_mov_b64 s[0:1], 0
.LBB31_112:
	s_mov_b64 s[10:11], 0
.LBB31_113:
	s_and_b64 vcc, exec, s[10:11]
	s_cbranch_vccz .LBB31_116
; %bb.114:
	v_mov_b32_e32 v3, 11
	v_cmp_eq_u16_sdwa s[10:11], s75, v3 src0_sel:BYTE_0 src1_sel:DWORD
	s_mov_b64 s[0:1], -1
	s_and_b64 vcc, exec, s[10:11]
	s_cbranch_vccz .LBB31_116
; %bb.115:
	s_mov_b64 s[8:9], -1
	s_mov_b64 s[0:1], 0
	global_store_byte v[0:1], v4, off
.LBB31_116:
	s_branch .LBB31_35
.LBB31_117:
	v_mov_b32_e32 v3, 5
	v_cmp_lt_i16_sdwa s[10:11], s75, v3 src0_sel:BYTE_0 src1_sel:DWORD
	s_mov_b64 s[8:9], -1
	s_and_b64 vcc, exec, s[10:11]
	s_cbranch_vccnz .LBB31_138
; %bb.118:
	v_mov_b32_e32 v3, 8
	v_cmp_lt_i16_sdwa s[10:11], s75, v3 src0_sel:BYTE_0 src1_sel:DWORD
	s_and_b64 vcc, exec, s[10:11]
	s_cbranch_vccnz .LBB31_128
; %bb.119:
	v_mov_b32_e32 v3, 9
	v_cmp_lt_i16_sdwa s[10:11], s75, v3 src0_sel:BYTE_0 src1_sel:DWORD
	s_and_b64 vcc, exec, s[10:11]
	s_cbranch_vccnz .LBB31_125
; %bb.120:
	v_cmp_gt_i16_sdwa s[10:11], s75, v3 src0_sel:BYTE_0 src1_sel:DWORD
	s_and_b64 vcc, exec, s[10:11]
	s_cbranch_vccz .LBB31_122
; %bb.121:
	v_lshlrev_b32_e32 v3, 16, v2
	v_mov_b32_e32 v12, 0
	v_cvt_f64_f32_e32 v[10:11], v3
	v_mov_b32_e32 v13, v12
	global_store_dwordx4 v[0:1], v[10:13], off
	s_mov_b64 s[8:9], 0
.LBB31_122:
	s_andn2_b64 vcc, exec, s[8:9]
	s_cbranch_vccnz .LBB31_124
; %bb.123:
	v_lshlrev_b32_e32 v10, 16, v2
	v_mov_b32_e32 v11, 0
	global_store_dwordx2 v[0:1], v[10:11], off
.LBB31_124:
	s_mov_b64 s[8:9], 0
.LBB31_125:
	s_andn2_b64 vcc, exec, s[8:9]
	s_cbranch_vccnz .LBB31_127
; %bb.126:
	v_lshlrev_b32_e32 v3, 16, v2
	v_cvt_f16_f32_e32 v3, v3
	global_store_dword v[0:1], v3, off
.LBB31_127:
	s_mov_b64 s[8:9], 0
.LBB31_128:
	s_andn2_b64 vcc, exec, s[8:9]
	s_cbranch_vccnz .LBB31_137
; %bb.129:
	v_mov_b32_e32 v3, 6
	v_cmp_lt_i16_sdwa s[10:11], s75, v3 src0_sel:BYTE_0 src1_sel:DWORD
	s_mov_b64 s[8:9], -1
	s_and_b64 vcc, exec, s[10:11]
	s_cbranch_vccnz .LBB31_135
; %bb.130:
	v_cmp_gt_i16_sdwa s[10:11], s75, v3 src0_sel:BYTE_0 src1_sel:DWORD
	s_and_b64 vcc, exec, s[10:11]
	s_cbranch_vccz .LBB31_132
; %bb.131:
	v_lshlrev_b32_e32 v3, 16, v2
	v_cvt_f64_f32_e32 v[10:11], v3
	global_store_dwordx2 v[0:1], v[10:11], off
	s_mov_b64 s[8:9], 0
.LBB31_132:
	s_andn2_b64 vcc, exec, s[8:9]
	s_cbranch_vccnz .LBB31_134
; %bb.133:
	v_lshlrev_b32_e32 v3, 16, v2
	global_store_dword v[0:1], v3, off
.LBB31_134:
	s_mov_b64 s[8:9], 0
.LBB31_135:
	s_andn2_b64 vcc, exec, s[8:9]
	s_cbranch_vccnz .LBB31_137
; %bb.136:
	v_lshlrev_b32_e32 v3, 16, v2
	v_cvt_f16_f32_e32 v3, v3
	global_store_short v[0:1], v3, off
.LBB31_137:
	s_mov_b64 s[8:9], 0
.LBB31_138:
	s_andn2_b64 vcc, exec, s[8:9]
	s_cbranch_vccnz .LBB31_154
; %bb.139:
	v_mov_b32_e32 v3, 2
	v_cmp_lt_i16_sdwa s[10:11], s75, v3 src0_sel:BYTE_0 src1_sel:DWORD
	s_mov_b64 s[8:9], -1
	s_and_b64 vcc, exec, s[10:11]
	s_cbranch_vccnz .LBB31_149
; %bb.140:
	v_mov_b32_e32 v3, 3
	v_cmp_lt_i16_sdwa s[10:11], s75, v3 src0_sel:BYTE_0 src1_sel:DWORD
	s_and_b64 vcc, exec, s[10:11]
	s_cbranch_vccnz .LBB31_146
; %bb.141:
	v_cmp_gt_i16_sdwa s[10:11], s75, v3 src0_sel:BYTE_0 src1_sel:DWORD
	s_and_b64 vcc, exec, s[10:11]
	s_cbranch_vccz .LBB31_143
; %bb.142:
	v_lshlrev_b32_e32 v3, 16, v2
	v_trunc_f32_e32 v3, v3
	s_mov_b32 s8, 0x2f800000
	v_mul_f32_e64 v7, |v3|, s8
	v_floor_f32_e32 v7, v7
	s_mov_b32 s8, 0xcf800000
	v_cvt_u32_f32_e32 v9, v7
	v_fma_f32 v7, v7, s8, |v3|
	v_cvt_u32_f32_e32 v7, v7
	v_ashrrev_i32_e32 v3, 31, v3
	v_xor_b32_e32 v9, v9, v3
	s_mov_b64 s[8:9], 0
	v_xor_b32_e32 v7, v7, v3
	v_sub_co_u32_e32 v10, vcc, v7, v3
	v_subb_co_u32_e32 v11, vcc, v9, v3, vcc
	global_store_dwordx2 v[0:1], v[10:11], off
.LBB31_143:
	s_andn2_b64 vcc, exec, s[8:9]
	s_cbranch_vccnz .LBB31_145
; %bb.144:
	v_lshlrev_b32_e32 v3, 16, v2
	v_cvt_i32_f32_e32 v3, v3
	global_store_dword v[0:1], v3, off
.LBB31_145:
	s_mov_b64 s[8:9], 0
.LBB31_146:
	s_andn2_b64 vcc, exec, s[8:9]
	s_cbranch_vccnz .LBB31_148
; %bb.147:
	v_lshlrev_b32_e32 v3, 16, v2
	v_cvt_i32_f32_e32 v3, v3
	global_store_short v[0:1], v3, off
.LBB31_148:
	s_mov_b64 s[8:9], 0
.LBB31_149:
	s_andn2_b64 vcc, exec, s[8:9]
	s_cbranch_vccnz .LBB31_154
; %bb.150:
	v_mov_b32_e32 v3, 0
	v_cmp_gt_i16_sdwa s[10:11], s75, v3 src0_sel:BYTE_0 src1_sel:DWORD
	s_mov_b64 s[8:9], -1
	s_and_b64 vcc, exec, s[10:11]
	s_cbranch_vccz .LBB31_152
; %bb.151:
	v_lshlrev_b32_e32 v3, 16, v2
	v_cvt_i32_f32_e32 v3, v3
	s_mov_b64 s[8:9], 0
	global_store_byte v[0:1], v3, off
.LBB31_152:
	s_andn2_b64 vcc, exec, s[8:9]
	s_cbranch_vccnz .LBB31_154
; %bb.153:
	v_lshlrev_b32_e32 v2, 16, v2
	v_trunc_f32_e32 v2, v2
	s_mov_b32 s8, 0x2f800000
	v_mul_f32_e64 v3, |v2|, s8
	v_floor_f32_e32 v3, v3
	s_mov_b32 s8, 0xcf800000
	v_fma_f32 v3, v3, s8, |v2|
	v_cvt_u32_f32_e32 v3, v3
	v_ashrrev_i32_e32 v2, 31, v2
	v_xor_b32_e32 v3, v3, v2
	v_sub_u32_e32 v2, v3, v2
	global_store_byte v[0:1], v2, off
.LBB31_154:
.LBB31_155:
	v_add_u32_e32 v8, 0x80, v8
	s_mov_b64 s[8:9], -1
	s_branch .LBB31_266
.LBB31_156:
	s_mov_b64 s[2:3], -1
                                        ; implicit-def: $vgpr1
.LBB31_157:
	s_mov_b64 s[8:9], 0
.LBB31_158:
	s_and_b64 vcc, exec, s[8:9]
	s_cbranch_vccz .LBB31_162
; %bb.159:
	v_cmp_eq_u16_e32 vcc, 29, v6
	s_cbranch_vccz .LBB31_161
; %bb.160:
	global_load_dwordx2 v[10:11], v[2:3], off
	s_movk_i32 s2, 0x7fff
	s_mov_b64 s[0:1], -1
	s_mov_b64 s[8:9], 0
	s_waitcnt vmcnt(0)
	v_ffbh_u32_e32 v1, v11
	v_min_u32_e32 v1, 32, v1
	v_lshlrev_b64 v[10:11], v1, v[10:11]
	v_min_u32_e32 v7, 1, v10
	v_or_b32_e32 v7, v11, v7
	v_cvt_f32_u32_e32 v7, v7
	v_sub_u32_e32 v1, 32, v1
	v_ldexp_f32 v1, v7, v1
	v_bfe_u32 v7, v1, 16, 1
	v_add3_u32 v1, v1, v7, s2
	v_lshrrev_b32_e32 v1, 16, v1
	s_mov_b64 s[2:3], 0
	s_branch .LBB31_163
.LBB31_161:
	s_mov_b64 s[2:3], -1
                                        ; implicit-def: $vgpr1
.LBB31_162:
	s_mov_b64 s[8:9], 0
.LBB31_163:
	s_and_b64 vcc, exec, s[8:9]
	s_cbranch_vccz .LBB31_181
; %bb.164:
	v_cmp_gt_i16_e32 vcc, 27, v6
	s_cbranch_vccnz .LBB31_167
; %bb.165:
	v_cmp_lt_i16_e32 vcc, 27, v6
	s_cbranch_vccz .LBB31_168
; %bb.166:
	global_load_dword v1, v[2:3], off
	s_movk_i32 s0, 0x7fff
	s_waitcnt vmcnt(0)
	v_cvt_f32_u32_e32 v1, v1
	v_bfe_u32 v7, v1, 16, 1
	v_add3_u32 v1, v1, v7, s0
	v_lshrrev_b32_e32 v1, 16, v1
	s_mov_b64 s[0:1], 0
	s_branch .LBB31_169
.LBB31_167:
	s_mov_b64 s[0:1], -1
                                        ; implicit-def: $vgpr1
	s_branch .LBB31_172
.LBB31_168:
	s_mov_b64 s[0:1], -1
                                        ; implicit-def: $vgpr1
.LBB31_169:
	s_andn2_b64 vcc, exec, s[0:1]
	s_cbranch_vccnz .LBB31_171
; %bb.170:
	global_load_ushort v1, v[2:3], off
	s_movk_i32 s0, 0x7fff
	s_waitcnt vmcnt(0)
	v_cvt_f32_u32_e32 v1, v1
	v_bfe_u32 v7, v1, 16, 1
	v_add3_u32 v1, v1, v7, s0
	v_lshrrev_b32_e32 v1, 16, v1
.LBB31_171:
	s_mov_b64 s[0:1], 0
.LBB31_172:
	s_andn2_b64 vcc, exec, s[0:1]
	s_cbranch_vccnz .LBB31_180
; %bb.173:
	global_load_ubyte v1, v[2:3], off
	s_movk_i32 s0, 0x7f
                                        ; implicit-def: $sgpr12
	s_waitcnt vmcnt(0)
	v_cmp_lt_i16_e32 vcc, s0, v1
	s_mov_b64 s[0:1], 0
	s_and_saveexec_b64 s[8:9], vcc
	s_xor_b64 s[8:9], exec, s[8:9]
	s_cbranch_execz .LBB31_193
; %bb.174:
	s_movk_i32 s0, 0x80
	v_cmp_eq_u16_e32 vcc, s0, v1
	s_mov_b64 s[0:1], -1
                                        ; implicit-def: $sgpr12
	s_and_saveexec_b64 s[10:11], vcc
; %bb.175:
	s_mov_b32 s12, 0x7f800001
	s_xor_b64 s[0:1], exec, -1
; %bb.176:
	s_or_b64 exec, exec, s[10:11]
	s_and_b64 s[0:1], s[0:1], exec
	s_or_saveexec_b64 s[8:9], s[8:9]
	v_mov_b32_e32 v7, s12
	s_xor_b64 exec, exec, s[8:9]
	s_cbranch_execnz .LBB31_194
.LBB31_177:
	s_or_b64 exec, exec, s[8:9]
	s_and_saveexec_b64 s[8:9], s[0:1]
	s_cbranch_execz .LBB31_179
.LBB31_178:
	v_lshlrev_b32_e32 v7, 24, v1
	v_and_b32_e32 v1, 0xffff, v1
	v_and_b32_e32 v9, 7, v1
	v_ffbh_u32_e32 v11, v9
	v_min_u32_e32 v11, 32, v11
	v_subrev_u32_e32 v12, 28, v11
	v_bfe_u32 v10, v1, 3, 4
	v_lshlrev_b32_e32 v1, v12, v1
	v_sub_u32_e32 v11, 29, v11
	v_and_b32_e32 v1, 7, v1
	v_cmp_eq_u32_e32 vcc, 0, v10
	v_cndmask_b32_e32 v10, v10, v11, vcc
	v_cndmask_b32_e32 v1, v9, v1, vcc
	v_mov_b32_e32 v9, 0x3b800000
	v_lshlrev_b32_e32 v1, 20, v1
	v_and_b32_e32 v7, 0x80000000, v7
	v_lshl_add_u32 v9, v10, 23, v9
	v_or3_b32 v7, v7, v9, v1
.LBB31_179:
	s_or_b64 exec, exec, s[8:9]
	v_bfe_u32 v1, v7, 16, 1
	s_movk_i32 s0, 0x7fff
	v_add3_u32 v1, v7, v1, s0
	v_lshrrev_b32_e32 v1, 16, v1
	v_mov_b32_e32 v9, 0x7fc0
	v_cmp_o_f32_e32 vcc, v7, v7
	v_cndmask_b32_e32 v1, v9, v1, vcc
.LBB31_180:
	s_mov_b64 s[0:1], -1
.LBB31_181:
	s_branch .LBB31_216
.LBB31_182:
	v_cmp_lt_i16_e32 vcc, 22, v6
	s_cbranch_vccz .LBB31_192
; %bb.183:
	v_cmp_gt_i16_e32 vcc, 24, v6
	s_cbranch_vccnz .LBB31_195
; %bb.184:
	v_cmp_lt_i16_e32 vcc, 24, v6
	s_cbranch_vccz .LBB31_196
; %bb.185:
	global_load_ubyte v1, v[2:3], off
	s_movk_i32 s0, 0x7f
                                        ; implicit-def: $sgpr12
	s_waitcnt vmcnt(0)
	v_cmp_lt_i16_e32 vcc, s0, v1
	s_mov_b64 s[0:1], 0
	s_and_saveexec_b64 s[8:9], vcc
	s_xor_b64 s[8:9], exec, s[8:9]
	s_cbranch_execz .LBB31_208
; %bb.186:
	s_movk_i32 s0, 0x80
	v_cmp_eq_u16_e32 vcc, s0, v1
	s_mov_b64 s[0:1], -1
                                        ; implicit-def: $sgpr12
	s_and_saveexec_b64 s[10:11], vcc
; %bb.187:
	s_mov_b32 s12, 0x7f800001
	s_xor_b64 s[0:1], exec, -1
; %bb.188:
	s_or_b64 exec, exec, s[10:11]
	s_and_b64 s[0:1], s[0:1], exec
	s_or_saveexec_b64 s[8:9], s[8:9]
	v_mov_b32_e32 v7, s12
	s_xor_b64 exec, exec, s[8:9]
	s_cbranch_execnz .LBB31_209
.LBB31_189:
	s_or_b64 exec, exec, s[8:9]
	s_and_saveexec_b64 s[8:9], s[0:1]
	s_cbranch_execz .LBB31_191
.LBB31_190:
	v_lshlrev_b32_e32 v7, 24, v1
	v_and_b32_e32 v1, 0xffff, v1
	v_and_b32_e32 v9, 3, v1
	v_ffbh_u32_e32 v11, v9
	v_min_u32_e32 v11, 32, v11
	v_subrev_u32_e32 v12, 29, v11
	v_bfe_u32 v10, v1, 2, 5
	v_lshlrev_b32_e32 v1, v12, v1
	v_sub_u32_e32 v11, 30, v11
	v_and_b32_e32 v1, 3, v1
	v_cmp_eq_u32_e32 vcc, 0, v10
	v_cndmask_b32_e32 v10, v10, v11, vcc
	v_cndmask_b32_e32 v1, v9, v1, vcc
	v_mov_b32_e32 v9, 0x37800000
	v_lshlrev_b32_e32 v1, 21, v1
	v_and_b32_e32 v7, 0x80000000, v7
	v_lshl_add_u32 v9, v10, 23, v9
	v_or3_b32 v7, v7, v9, v1
.LBB31_191:
	s_or_b64 exec, exec, s[8:9]
	v_bfe_u32 v1, v7, 16, 1
	s_movk_i32 s0, 0x7fff
	v_add3_u32 v1, v7, v1, s0
	v_lshrrev_b32_e32 v1, 16, v1
	v_mov_b32_e32 v9, 0x7fc0
	v_cmp_o_f32_e32 vcc, v7, v7
	v_cndmask_b32_e32 v1, v9, v1, vcc
	s_mov_b64 s[0:1], 0
	s_branch .LBB31_197
.LBB31_192:
	s_mov_b64 s[8:9], -1
                                        ; implicit-def: $vgpr1
	s_branch .LBB31_203
.LBB31_193:
	s_or_saveexec_b64 s[8:9], s[8:9]
	v_mov_b32_e32 v7, s12
	s_xor_b64 exec, exec, s[8:9]
	s_cbranch_execz .LBB31_177
.LBB31_194:
	v_cmp_ne_u16_e32 vcc, 0, v1
	s_andn2_b64 s[0:1], s[0:1], exec
	s_and_b64 s[10:11], vcc, exec
	v_mov_b32_e32 v7, 0
	s_or_b64 s[0:1], s[0:1], s[10:11]
	s_or_b64 exec, exec, s[8:9]
	s_and_saveexec_b64 s[8:9], s[0:1]
	s_cbranch_execnz .LBB31_178
	s_branch .LBB31_179
.LBB31_195:
	s_mov_b64 s[0:1], -1
                                        ; implicit-def: $vgpr1
	s_branch .LBB31_200
.LBB31_196:
	s_mov_b64 s[0:1], -1
                                        ; implicit-def: $vgpr1
.LBB31_197:
	s_and_b64 vcc, exec, s[0:1]
	s_cbranch_vccz .LBB31_199
; %bb.198:
	global_load_ubyte v1, v[2:3], off
	s_mov_b32 s0, 0x7f800000
	s_brev_b32 s1, 1
	s_movk_i32 s8, 0x7fff
	v_mov_b32_e32 v7, 0x7fc0
	s_waitcnt vmcnt(0)
	v_lshlrev_b32_e32 v1, 24, v1
	v_and_b32_e32 v9, 0x7f000000, v1
	v_ffbh_u32_e32 v10, v9
	v_min_u32_e32 v10, 32, v10
	v_sub_u32_e64 v10, v10, 4 clamp
	v_lshlrev_b32_e32 v12, v10, v9
	v_lshlrev_b32_e32 v10, 23, v10
	v_lshrrev_b32_e32 v12, 4, v12
	v_add_u32_e32 v11, 0x1000000, v9
	v_sub_u32_e32 v10, v12, v10
	v_ashrrev_i32_e32 v11, 8, v11
	v_add_u32_e32 v10, 0x3c000000, v10
	v_and_or_b32 v10, v11, s0, v10
	v_cmp_ne_u32_e32 vcc, 0, v9
	v_cndmask_b32_e32 v9, 0, v10, vcc
	v_and_or_b32 v1, v1, s1, v9
	v_bfe_u32 v9, v9, 16, 1
	v_add3_u32 v9, v1, v9, s8
	v_lshrrev_b32_e32 v9, 16, v9
	v_cmp_o_f32_e32 vcc, v1, v1
	v_cndmask_b32_e32 v1, v7, v9, vcc
.LBB31_199:
	s_mov_b64 s[0:1], 0
.LBB31_200:
	s_andn2_b64 vcc, exec, s[0:1]
	s_cbranch_vccnz .LBB31_202
; %bb.201:
	global_load_ubyte v1, v[2:3], off
	s_movk_i32 s0, 0x7f00
	s_brev_b32 s1, 16
	s_brev_b32 s8, 1
	s_movk_i32 s9, 0x7fff
	v_mov_b32_e32 v7, 0x7fc0
	s_waitcnt vmcnt(0)
	v_lshlrev_b16_e32 v9, 8, v1
	v_lshlrev_b32_e32 v1, 25, v1
	v_lshrrev_b32_e32 v10, 4, v1
	v_and_or_b32 v11, v9, s0, 0.5
	v_or_b32_e32 v10, 0x70000000, v10
	v_add_f32_e32 v11, -0.5, v11
	v_mul_f32_e32 v10, 0x7800000, v10
	v_cmp_gt_u32_e32 vcc, s1, v1
	v_bfe_i32 v9, v9, 0, 16
	v_cndmask_b32_e32 v1, v10, v11, vcc
	v_and_or_b32 v9, v9, s8, v1
	v_bfe_u32 v1, v1, 16, 1
	v_add3_u32 v1, v9, v1, s9
	v_lshrrev_b32_e32 v1, 16, v1
	v_cmp_o_f32_e32 vcc, v9, v9
	v_cndmask_b32_e32 v1, v7, v1, vcc
.LBB31_202:
	s_mov_b64 s[8:9], 0
	s_mov_b64 s[0:1], -1
.LBB31_203:
	s_andn2_b64 vcc, exec, s[8:9]
	s_cbranch_vccnz .LBB31_216
; %bb.204:
	v_cmp_lt_i16_e32 vcc, 14, v6
	s_cbranch_vccz .LBB31_207
; %bb.205:
	v_cmp_eq_u16_e32 vcc, 15, v6
	s_cbranch_vccz .LBB31_210
; %bb.206:
	global_load_ushort v1, v[2:3], off
	s_mov_b64 s[0:1], -1
	s_mov_b64 s[2:3], 0
	s_branch .LBB31_211
.LBB31_207:
	s_mov_b64 s[8:9], -1
                                        ; implicit-def: $vgpr1
	s_branch .LBB31_212
.LBB31_208:
	s_or_saveexec_b64 s[8:9], s[8:9]
	v_mov_b32_e32 v7, s12
	s_xor_b64 exec, exec, s[8:9]
	s_cbranch_execz .LBB31_189
.LBB31_209:
	v_cmp_ne_u16_e32 vcc, 0, v1
	s_andn2_b64 s[0:1], s[0:1], exec
	s_and_b64 s[10:11], vcc, exec
	v_mov_b32_e32 v7, 0
	s_or_b64 s[0:1], s[0:1], s[10:11]
	s_or_b64 exec, exec, s[8:9]
	s_and_saveexec_b64 s[8:9], s[0:1]
	s_cbranch_execnz .LBB31_190
	s_branch .LBB31_191
.LBB31_210:
	s_mov_b64 s[2:3], -1
                                        ; implicit-def: $vgpr1
.LBB31_211:
	s_mov_b64 s[8:9], 0
.LBB31_212:
	s_and_b64 vcc, exec, s[8:9]
	s_cbranch_vccz .LBB31_216
; %bb.213:
	v_cmp_eq_u16_e32 vcc, 11, v6
	s_cbranch_vccz .LBB31_215
; %bb.214:
	global_load_ubyte v1, v[2:3], off
	s_mov_b64 s[0:1], -1
	s_mov_b64 s[2:3], 0
	s_waitcnt vmcnt(0)
	v_cmp_ne_u16_e32 vcc, 0, v1
	v_cndmask_b32_e64 v1, 0, 1.0, vcc
	v_lshrrev_b32_e32 v1, 16, v1
	s_branch .LBB31_216
.LBB31_215:
	s_mov_b64 s[2:3], -1
                                        ; implicit-def: $vgpr1
.LBB31_216:
	s_branch .LBB31_25
.LBB31_217:
	v_cmp_gt_i16_e32 vcc, 5, v6
	s_cbranch_vccnz .LBB31_222
; %bb.218:
	v_cmp_gt_i16_e32 vcc, 8, v6
	s_cbranch_vccnz .LBB31_223
; %bb.219:
	;; [unrolled: 3-line block ×3, first 2 shown]
	v_cmp_lt_i16_e32 vcc, 9, v6
	s_cbranch_vccz .LBB31_225
; %bb.221:
	global_load_dwordx2 v[10:11], v[2:3], off
	s_movk_i32 s0, 0x7fff
	s_waitcnt vmcnt(1)
	v_mov_b32_e32 v1, 0x7fc0
	s_waitcnt vmcnt(0)
	v_cvt_f32_f64_e32 v7, v[10:11]
	v_bfe_u32 v9, v7, 16, 1
	v_add3_u32 v9, v7, v9, s0
	v_lshrrev_b32_e32 v9, 16, v9
	v_cmp_o_f32_e32 vcc, v7, v7
	v_cndmask_b32_e32 v1, v1, v9, vcc
	s_mov_b64 s[0:1], 0
	s_branch .LBB31_226
.LBB31_222:
                                        ; implicit-def: $vgpr1
	s_branch .LBB31_244
.LBB31_223:
	s_mov_b64 s[0:1], -1
                                        ; implicit-def: $vgpr1
	s_branch .LBB31_232
.LBB31_224:
	s_mov_b64 s[0:1], -1
                                        ; implicit-def: $vgpr1
	s_branch .LBB31_229
.LBB31_225:
	s_mov_b64 s[0:1], -1
                                        ; implicit-def: $vgpr1
.LBB31_226:
	s_andn2_b64 vcc, exec, s[0:1]
	s_cbranch_vccnz .LBB31_228
; %bb.227:
	global_load_dword v1, v[2:3], off
	s_movk_i32 s0, 0x7fff
	v_mov_b32_e32 v7, 0x7fc0
	s_waitcnt vmcnt(0)
	v_bfe_u32 v9, v1, 16, 1
	v_add3_u32 v9, v1, v9, s0
	v_lshrrev_b32_e32 v9, 16, v9
	v_cmp_o_f32_e32 vcc, v1, v1
	v_cndmask_b32_e32 v1, v7, v9, vcc
.LBB31_228:
	s_mov_b64 s[0:1], 0
.LBB31_229:
	s_andn2_b64 vcc, exec, s[0:1]
	s_cbranch_vccnz .LBB31_231
; %bb.230:
	global_load_dword v1, v[2:3], off
	s_movk_i32 s0, 0x7fff
	v_mov_b32_e32 v9, 0x7fc0
	s_waitcnt vmcnt(0)
	v_cvt_f32_f16_e32 v7, v1
	v_cmp_o_f16_e32 vcc, v1, v1
	v_bfe_u32 v10, v7, 16, 1
	v_add3_u32 v7, v7, v10, s0
	v_lshrrev_b32_e32 v7, 16, v7
	v_cndmask_b32_e32 v1, v9, v7, vcc
.LBB31_231:
	s_mov_b64 s[0:1], 0
.LBB31_232:
	s_andn2_b64 vcc, exec, s[0:1]
	s_cbranch_vccnz .LBB31_243
; %bb.233:
	v_cmp_gt_i16_e32 vcc, 6, v6
	s_cbranch_vccnz .LBB31_236
; %bb.234:
	v_cmp_lt_i16_e32 vcc, 6, v6
	s_cbranch_vccz .LBB31_237
; %bb.235:
	global_load_dwordx2 v[10:11], v[2:3], off
	s_movk_i32 s0, 0x7fff
	s_waitcnt vmcnt(1)
	v_mov_b32_e32 v1, 0x7fc0
	s_waitcnt vmcnt(0)
	v_cvt_f32_f64_e32 v7, v[10:11]
	v_bfe_u32 v9, v7, 16, 1
	v_add3_u32 v9, v7, v9, s0
	v_lshrrev_b32_e32 v9, 16, v9
	v_cmp_o_f32_e32 vcc, v7, v7
	v_cndmask_b32_e32 v1, v1, v9, vcc
	s_mov_b64 s[0:1], 0
	s_branch .LBB31_238
.LBB31_236:
	s_mov_b64 s[0:1], -1
                                        ; implicit-def: $vgpr1
	s_branch .LBB31_241
.LBB31_237:
	s_mov_b64 s[0:1], -1
                                        ; implicit-def: $vgpr1
.LBB31_238:
	s_andn2_b64 vcc, exec, s[0:1]
	s_cbranch_vccnz .LBB31_240
; %bb.239:
	global_load_dword v1, v[2:3], off
	s_movk_i32 s0, 0x7fff
	v_mov_b32_e32 v7, 0x7fc0
	s_waitcnt vmcnt(0)
	v_bfe_u32 v9, v1, 16, 1
	v_add3_u32 v9, v1, v9, s0
	v_lshrrev_b32_e32 v9, 16, v9
	v_cmp_o_f32_e32 vcc, v1, v1
	v_cndmask_b32_e32 v1, v7, v9, vcc
.LBB31_240:
	s_mov_b64 s[0:1], 0
.LBB31_241:
	s_andn2_b64 vcc, exec, s[0:1]
	s_cbranch_vccnz .LBB31_243
; %bb.242:
	global_load_ushort v1, v[2:3], off
	s_movk_i32 s0, 0x7fff
	v_mov_b32_e32 v9, 0x7fc0
	s_waitcnt vmcnt(0)
	v_cvt_f32_f16_e32 v7, v1
	v_cmp_o_f16_e32 vcc, v1, v1
	v_bfe_u32 v10, v7, 16, 1
	v_add3_u32 v7, v7, v10, s0
	v_lshrrev_b32_e32 v7, 16, v7
	v_cndmask_b32_e32 v1, v9, v7, vcc
.LBB31_243:
	s_cbranch_execnz .LBB31_263
.LBB31_244:
	v_cmp_gt_i16_e32 vcc, 2, v6
	s_cbranch_vccnz .LBB31_248
; %bb.245:
	v_cmp_gt_i16_e32 vcc, 3, v6
	s_cbranch_vccnz .LBB31_249
; %bb.246:
	v_cmp_lt_i16_e32 vcc, 3, v6
	s_cbranch_vccz .LBB31_250
; %bb.247:
	global_load_dwordx2 v[10:11], v[2:3], off
	s_movk_i32 s0, 0x7fff
	s_waitcnt vmcnt(0)
	v_xor_b32_e32 v7, v10, v11
	v_ffbh_i32_e32 v1, v11
	v_ashrrev_i32_e32 v7, 31, v7
	v_add_u32_e32 v1, -1, v1
	v_add_u32_e32 v7, 32, v7
	v_min_u32_e32 v1, v1, v7
	v_lshlrev_b64 v[10:11], v1, v[10:11]
	v_min_u32_e32 v7, 1, v10
	v_or_b32_e32 v7, v11, v7
	v_cvt_f32_i32_e32 v7, v7
	v_sub_u32_e32 v1, 32, v1
	v_ldexp_f32 v1, v7, v1
	v_bfe_u32 v7, v1, 16, 1
	v_add3_u32 v1, v1, v7, s0
	v_lshrrev_b32_e32 v1, 16, v1
	s_mov_b64 s[0:1], 0
	s_branch .LBB31_251
.LBB31_248:
	s_mov_b64 s[0:1], -1
                                        ; implicit-def: $vgpr1
	s_branch .LBB31_257
.LBB31_249:
	s_mov_b64 s[0:1], -1
                                        ; implicit-def: $vgpr1
	s_branch .LBB31_254
.LBB31_250:
	s_mov_b64 s[0:1], -1
                                        ; implicit-def: $vgpr1
.LBB31_251:
	s_andn2_b64 vcc, exec, s[0:1]
	s_cbranch_vccnz .LBB31_253
; %bb.252:
	global_load_dword v1, v[2:3], off
	s_movk_i32 s0, 0x7fff
	s_waitcnt vmcnt(0)
	v_cvt_f32_i32_e32 v1, v1
	v_bfe_u32 v7, v1, 16, 1
	v_add3_u32 v1, v1, v7, s0
	v_lshrrev_b32_e32 v1, 16, v1
.LBB31_253:
	s_mov_b64 s[0:1], 0
.LBB31_254:
	s_andn2_b64 vcc, exec, s[0:1]
	s_cbranch_vccnz .LBB31_256
; %bb.255:
	global_load_sshort v1, v[2:3], off
	s_movk_i32 s0, 0x7fff
	s_waitcnt vmcnt(0)
	v_cvt_f32_i32_e32 v1, v1
	v_bfe_u32 v7, v1, 16, 1
	v_add3_u32 v1, v1, v7, s0
	v_lshrrev_b32_e32 v1, 16, v1
.LBB31_256:
	s_mov_b64 s[0:1], 0
.LBB31_257:
	s_andn2_b64 vcc, exec, s[0:1]
	s_cbranch_vccnz .LBB31_263
; %bb.258:
	v_cmp_lt_i16_e32 vcc, 0, v6
	s_cbranch_vccz .LBB31_260
; %bb.259:
	global_load_sbyte v1, v[2:3], off
	s_movk_i32 s0, 0x7fff
	s_waitcnt vmcnt(0)
	v_cvt_f32_i32_e32 v1, v1
	v_bfe_u32 v7, v1, 16, 1
	v_add3_u32 v1, v1, v7, s0
	v_lshrrev_b32_e32 v1, 16, v1
	s_mov_b64 s[0:1], 0
	s_branch .LBB31_261
.LBB31_260:
	s_mov_b64 s[0:1], -1
                                        ; implicit-def: $vgpr1
.LBB31_261:
	s_andn2_b64 vcc, exec, s[0:1]
	s_cbranch_vccnz .LBB31_263
; %bb.262:
	global_load_ubyte v1, v[2:3], off
	s_movk_i32 s0, 0x7fff
	s_waitcnt vmcnt(0)
	v_cvt_f32_ubyte0_e32 v1, v1
	v_bfe_u32 v2, v1, 16, 1
	v_add3_u32 v1, v1, v2, s0
	v_lshrrev_b32_e32 v1, 16, v1
.LBB31_263:
	s_branch .LBB31_26
.LBB31_264:
	s_mov_b64 s[0:1], 0
.LBB31_265:
	s_mov_b64 s[8:9], 0
                                        ; implicit-def: $vgpr8
.LBB31_266:
	s_and_b64 s[52:53], s[0:1], exec
	s_and_b64 s[54:55], s[2:3], exec
	s_orn2_b64 s[2:3], s[8:9], exec
.LBB31_267:
	s_or_b64 exec, exec, s[56:57]
	s_mov_b64 s[10:11], 0
	s_mov_b64 s[0:1], 0
                                        ; implicit-def: $vgpr2_vgpr3
                                        ; implicit-def: $vgpr0
                                        ; implicit-def: $vgpr7
	s_and_saveexec_b64 s[56:57], s[2:3]
	s_cbranch_execz .LBB31_275
; %bb.268:
	v_cmp_gt_i32_e32 vcc, s72, v8
	s_mov_b64 s[0:1], -1
	s_mov_b64 s[58:59], s[54:55]
	s_mov_b64 s[60:61], s[52:53]
	s_and_saveexec_b64 s[62:63], vcc
	s_cbranch_execz .LBB31_544
; %bb.269:
	s_andn2_b64 vcc, exec, s[40:41]
	s_cbranch_vccnz .LBB31_278
; %bb.270:
	s_mov_b32 s58, 0
	s_andn2_b64 vcc, exec, s[50:51]
	v_mov_b32_e32 v2, 0
	v_mov_b32_e32 v0, 0
	s_cbranch_vccnz .LBB31_284
; %bb.271:
	s_add_i32 s66, s73, 1
	s_cmp_eq_u32 s74, 2
	s_cbranch_scc1 .LBB31_279
; %bb.272:
	s_and_b32 s58, s66, 28
	s_mov_b32 s59, 0
	v_mov_b32_e32 v0, 0
	s_mov_b64 s[60:61], s[34:35]
	s_mov_b64 s[64:65], s[48:49]
	v_mov_b32_e32 v3, v8
	v_mov_b32_e32 v2, 0
.LBB31_273:                             ; =>This Inner Loop Header: Depth=1
	s_load_dwordx8 s[16:23], s[60:61], 0x4
	s_load_dwordx4 s[0:3], s[60:61], 0x24
	s_load_dwordx8 s[8:15], s[64:65], 0x0
	s_add_u32 s60, s60, 48
	s_addc_u32 s61, s61, 0
	s_waitcnt vmcnt(0) lgkmcnt(0)
	v_mul_hi_u32 v1, s17, v3
	v_add_u32_e32 v1, v3, v1
	v_lshrrev_b32_e32 v1, s18, v1
	v_mul_lo_u32 v7, v1, s16
	v_mul_hi_u32 v9, s20, v1
	v_sub_u32_e32 v3, v3, v7
	v_add_u32_e32 v7, v1, v9
	v_lshrrev_b32_e32 v7, s21, v7
	v_mul_lo_u32 v10, v7, s19
	v_mul_hi_u32 v11, s23, v7
	v_sub_u32_e32 v1, v1, v10
	v_add_u32_e32 v10, v7, v11
	v_mul_lo_u32 v9, v3, s9
	v_mul_lo_u32 v3, v3, s8
	;; [unrolled: 1-line block ×4, first 2 shown]
	v_lshrrev_b32_e32 v10, s0, v10
	v_add3_u32 v0, v3, v0, v1
	v_mul_hi_u32 v3, s2, v10
	v_add_u32_e32 v3, v10, v3
	v_lshrrev_b32_e32 v3, s3, v3
	s_add_i32 s59, s59, 4
	v_add3_u32 v1, v9, v2, v11
	v_mul_lo_u32 v2, v10, s22
	v_mul_lo_u32 v9, v3, s1
	s_add_u32 s64, s64, 32
	v_sub_u32_e32 v2, v7, v2
	v_sub_u32_e32 v9, v10, v9
	s_addc_u32 s65, s65, 0
	v_mul_lo_u32 v7, v2, s12
	v_mul_lo_u32 v2, v2, s13
	;; [unrolled: 1-line block ×4, first 2 shown]
	s_cmp_eq_u32 s58, s59
	v_add3_u32 v2, v2, v1, v9
	v_add3_u32 v0, v7, v0, v10
	s_cbranch_scc0 .LBB31_273
; %bb.274:
	v_mov_b32_e32 v1, v2
	s_branch .LBB31_280
.LBB31_275:
	s_or_b64 exec, exec, s[56:57]
	s_mov_b64 s[2:3], 0
	s_and_saveexec_b64 s[8:9], s[54:55]
	s_cbranch_execnz .LBB31_922
.LBB31_276:
	s_or_b64 exec, exec, s[8:9]
	s_and_saveexec_b64 s[8:9], s[60:61]
	s_xor_b64 s[8:9], exec, s[8:9]
	s_cbranch_execz .LBB31_923
.LBB31_277:
	global_load_ubyte v1, v[2:3], off
	s_or_b64 s[0:1], s[0:1], exec
	s_waitcnt vmcnt(0)
	v_cmp_ne_u16_e32 vcc, 0, v1
	v_cndmask_b32_e64 v1, 0, 1.0, vcc
	v_lshrrev_b32_e32 v7, 16, v1
	s_or_b64 exec, exec, s[8:9]
	s_and_saveexec_b64 s[8:9], s[10:11]
	s_cbranch_execz .LBB31_969
	s_branch .LBB31_924
.LBB31_278:
                                        ; implicit-def: $vgpr2
                                        ; implicit-def: $vgpr0
	s_andn2_b64 vcc, exec, s[0:1]
	s_cbranch_vccz .LBB31_285
	s_branch .LBB31_287
.LBB31_279:
	s_mov_b32 s59, s58
	s_waitcnt vmcnt(0)
	v_pk_mov_b32 v[0:1], s[58:59], s[58:59] op_sel:[0,1]
                                        ; implicit-def: $vgpr2
	v_mov_b32_e32 v3, v8
.LBB31_280:
	s_and_b32 s8, s66, 3
	s_cmp_eq_u32 s8, 0
	s_cbranch_scc1 .LBB31_284
; %bb.281:
	s_lshl_b32 s0, s58, 3
	s_add_u32 s0, s0, s34
	s_addc_u32 s1, s35, 0
	s_add_u32 s0, s0, 0xc4
	s_addc_u32 s1, s1, 0
	s_mul_i32 s2, s58, 12
	s_add_u32 s2, s34, s2
	s_addc_u32 s3, s35, 0
.LBB31_282:                             ; =>This Inner Loop Header: Depth=1
	s_load_dwordx2 s[10:11], s[2:3], 0x4
	s_load_dword s9, s[2:3], 0xc
	s_load_dwordx2 s[12:13], s[0:1], 0x0
	v_mov_b32_e32 v2, v1
	s_add_u32 s2, s2, 12
	s_waitcnt lgkmcnt(0)
	v_mul_hi_u32 v1, s11, v3
	v_add_u32_e32 v1, v3, v1
	v_lshrrev_b32_e32 v1, s9, v1
	s_addc_u32 s3, s3, 0
	v_mul_lo_u32 v7, v1, s10
	s_add_u32 s0, s0, 8
	v_sub_u32_e32 v7, v3, v7
	v_mov_b32_e32 v3, v1
	s_addc_u32 s1, s1, 0
	s_add_i32 s8, s8, -1
	v_mad_u64_u32 v[10:11], s[10:11], v7, s13, v[2:3]
	v_mad_u64_u32 v[0:1], s[10:11], v7, s12, v[0:1]
	s_cmp_lg_u32 s8, 0
	v_mov_b32_e32 v1, v10
	s_cbranch_scc1 .LBB31_282
; %bb.283:
	v_mov_b32_e32 v2, v1
.LBB31_284:
	s_cbranch_execnz .LBB31_287
.LBB31_285:
	v_mul_hi_u32 v0, s29, v8
	v_add_u32_e32 v0, v8, v0
	s_waitcnt vmcnt(0)
	v_lshrrev_b32_e32 v1, s30, v0
	v_mul_lo_u32 v0, v1, s28
	v_sub_u32_e32 v0, v8, v0
	v_mul_lo_u32 v2, v0, s37
	s_andn2_b64 vcc, exec, s[46:47]
	v_mul_lo_u32 v0, v0, s36
	s_cbranch_vccnz .LBB31_287
; %bb.286:
	v_mul_hi_u32 v3, s44, v1
	v_add_u32_e32 v3, v1, v3
	v_lshrrev_b32_e32 v3, s45, v3
	v_mul_lo_u32 v3, v3, s31
	v_sub_u32_e32 v3, v1, v3
	v_mad_u64_u32 v[0:1], s[0:1], v3, s38, v[0:1]
	v_mad_u64_u32 v[2:3], s[0:1], v3, s39, v[2:3]
.LBB31_287:
	s_waitcnt vmcnt(0)
	v_mov_b32_e32 v1, s27
	v_add_co_u32_e32 v2, vcc, s26, v2
	v_addc_co_u32_e32 v3, vcc, 0, v1, vcc
	v_cmp_gt_i16_e32 vcc, 11, v6
	s_cbranch_vccnz .LBB31_294
; %bb.288:
	v_cmp_lt_i16_e32 vcc, 25, v6
	s_cbranch_vccz .LBB31_303
; %bb.289:
	v_cmp_lt_i16_e32 vcc, 28, v6
	s_cbranch_vccz .LBB31_305
	;; [unrolled: 3-line block ×4, first 2 shown]
; %bb.292:
	v_cmp_eq_u16_e32 vcc, 46, v6
	s_mov_b64 s[8:9], 0
	s_cbranch_vccz .LBB31_315
; %bb.293:
	global_load_dword v1, v[2:3], off
	s_mov_b64 s[0:1], -1
	s_mov_b64 s[2:3], 0
	s_branch .LBB31_316
.LBB31_294:
	s_mov_b64 s[0:1], 0
                                        ; implicit-def: $vgpr1
	s_mov_b64 s[2:3], s[54:55]
	s_cbranch_execnz .LBB31_493
.LBB31_295:
	s_andn2_b64 vcc, exec, s[0:1]
	s_cbranch_vccnz .LBB31_541
.LBB31_296:
	s_waitcnt vmcnt(0)
	v_and_b32_e32 v1, 0xffff8000, v1
	v_or_b32_e32 v2, v1, v5
	v_mov_b32_e32 v1, s25
	v_add_co_u32_e32 v0, vcc, s24, v0
	v_mov_b32_e32 v3, 11
	v_addc_co_u32_e32 v1, vcc, 0, v1, vcc
	v_cmp_lt_i16_sdwa s[0:1], s75, v3 src0_sel:BYTE_0 src1_sel:DWORD
	s_and_b64 vcc, exec, s[0:1]
	s_cbranch_vccnz .LBB31_304
; %bb.297:
	v_mov_b32_e32 v3, 25
	v_cmp_gt_i16_sdwa s[0:1], s75, v3 src0_sel:BYTE_0 src1_sel:DWORD
	s_and_b64 vcc, exec, s[0:1]
	s_cbranch_vccz .LBB31_306
; %bb.298:
	v_mov_b32_e32 v3, 28
	v_cmp_gt_i16_sdwa s[0:1], s75, v3 src0_sel:BYTE_0 src1_sel:DWORD
	s_and_b64 vcc, exec, s[0:1]
	s_cbranch_vccz .LBB31_308
	;; [unrolled: 5-line block ×4, first 2 shown]
; %bb.301:
	v_mov_b32_e32 v3, 46
	v_cmp_eq_u16_sdwa s[8:9], s75, v3 src0_sel:BYTE_0 src1_sel:DWORD
	s_mov_b64 s[10:11], 0
	s_mov_b64 s[0:1], -1
	s_and_b64 vcc, exec, s[8:9]
	s_mov_b64 s[8:9], 0
	s_cbranch_vccz .LBB31_320
; %bb.302:
	v_and_b32_e32 v3, 0xffff, v2
	global_store_dword v[0:1], v3, off
	s_mov_b64 s[8:9], -1
	s_mov_b64 s[0:1], 0
	s_branch .LBB31_320
.LBB31_303:
	s_mov_b64 s[8:9], -1
	s_mov_b64 s[0:1], 0
	s_mov_b64 s[2:3], s[54:55]
                                        ; implicit-def: $vgpr1
	s_branch .LBB31_457
.LBB31_304:
	s_mov_b64 s[10:11], -1
	s_mov_b64 s[8:9], 0
	s_mov_b64 s[0:1], s[52:53]
	s_branch .LBB31_389
.LBB31_305:
	s_mov_b64 s[8:9], -1
	s_mov_b64 s[0:1], 0
	s_mov_b64 s[2:3], s[54:55]
                                        ; implicit-def: $vgpr1
	s_branch .LBB31_438
.LBB31_306:
	s_mov_b64 s[10:11], -1
	s_mov_b64 s[8:9], 0
	s_mov_b64 s[0:1], s[52:53]
	s_branch .LBB31_347
.LBB31_307:
	s_mov_b64 s[8:9], -1
	s_mov_b64 s[0:1], 0
	s_mov_b64 s[2:3], s[54:55]
                                        ; implicit-def: $vgpr1
	s_branch .LBB31_433
.LBB31_308:
	s_mov_b64 s[10:11], -1
	s_mov_b64 s[8:9], 0
	s_mov_b64 s[0:1], s[52:53]
	s_branch .LBB31_330
.LBB31_309:
	s_or_saveexec_b64 s[12:13], s[12:13]
                                        ; implicit-def: $sgpr14
	s_xor_b64 exec, exec, s[12:13]
	s_cbranch_execz .LBB31_69
.LBB31_310:
	s_mov_b32 s14, 0x46000000
	v_add_f32_e64 v7, |v9|, s14
	v_and_b32_e32 v7, 0xff, v7
	v_cmp_ne_u32_e32 vcc, 0, v7
	s_andn2_b64 s[10:11], s[10:11], exec
	s_and_b64 s[16:17], vcc, exec
	s_mov_b32 s14, 0
	s_or_b64 s[10:11], s[10:11], s[16:17]
	s_or_b64 exec, exec, s[12:13]
	v_mov_b32_e32 v10, s14
	s_and_saveexec_b64 s[12:13], s[10:11]
	s_cbranch_execnz .LBB31_70
	s_branch .LBB31_71
.LBB31_311:
	s_mov_b64 s[8:9], -1
	s_mov_b64 s[0:1], 0
	s_mov_b64 s[2:3], s[54:55]
                                        ; implicit-def: $vgpr1
	s_branch .LBB31_316
.LBB31_312:
	s_mov_b64 s[10:11], -1
	s_mov_b64 s[8:9], 0
	s_mov_b64 s[0:1], s[52:53]
	s_branch .LBB31_326
.LBB31_313:
	s_or_saveexec_b64 s[12:13], s[12:13]
                                        ; implicit-def: $sgpr14
	s_xor_b64 exec, exec, s[12:13]
	s_cbranch_execz .LBB31_82
.LBB31_314:
	s_mov_b32 s14, 0x42800000
	v_add_f32_e64 v7, |v9|, s14
	v_and_b32_e32 v7, 0xff, v7
	v_cmp_ne_u32_e32 vcc, 0, v7
	s_andn2_b64 s[10:11], s[10:11], exec
	s_and_b64 s[16:17], vcc, exec
	s_mov_b32 s14, 0
	s_or_b64 s[10:11], s[10:11], s[16:17]
	s_or_b64 exec, exec, s[12:13]
	v_mov_b32_e32 v10, s14
	s_and_saveexec_b64 s[12:13], s[10:11]
	s_cbranch_execnz .LBB31_83
	s_branch .LBB31_84
.LBB31_315:
	s_mov_b64 s[2:3], -1
                                        ; implicit-def: $vgpr1
	s_mov_b64 s[0:1], 0
.LBB31_316:
	s_and_b64 vcc, exec, s[8:9]
	s_cbranch_vccz .LBB31_432
; %bb.317:
	v_cmp_eq_u16_e32 vcc, 44, v6
	s_cbranch_vccz .LBB31_431
; %bb.318:
	global_load_ubyte v1, v[2:3], off
	s_movk_i32 s2, 0xff
	v_mov_b32_e32 v7, 0x7f800001
	v_mov_b32_e32 v9, 0x400000
	;; [unrolled: 1-line block ×3, first 2 shown]
	s_mov_b64 s[0:1], -1
	s_waitcnt vmcnt(0)
	v_lshlrev_b32_e32 v11, 23, v1
	v_cmp_ne_u32_e32 vcc, s2, v1
	v_cndmask_b32_e32 v7, v7, v11, vcc
	v_cmp_ne_u32_e32 vcc, 0, v1
	v_cndmask_b32_e32 v1, v9, v7, vcc
	v_add_u32_e32 v7, 0x7fff, v1
	v_lshrrev_b32_e32 v7, 16, v7
	v_cmp_o_f32_e32 vcc, v1, v1
	v_cndmask_b32_e32 v1, v10, v7, vcc
	s_mov_b64 s[2:3], 0
	s_branch .LBB31_432
.LBB31_319:
	s_mov_b64 s[10:11], -1
	s_mov_b64 s[8:9], 0
	s_mov_b64 s[0:1], s[52:53]
.LBB31_320:
	s_and_b64 vcc, exec, s[10:11]
	s_cbranch_vccz .LBB31_325
; %bb.321:
	v_mov_b32_e32 v3, 44
	v_cmp_eq_u16_sdwa s[10:11], s75, v3 src0_sel:BYTE_0 src1_sel:DWORD
	s_mov_b64 s[0:1], -1
	s_and_b64 vcc, exec, s[10:11]
	s_cbranch_vccz .LBB31_325
; %bb.322:
	v_and_b32_e32 v7, 0xffff, v2
	v_bfe_u32 v3, v7, 7, 8
	s_movk_i32 s0, 0xff
	v_cmp_ne_u32_e32 vcc, s0, v3
	v_mov_b32_e32 v9, 0xff
	s_and_saveexec_b64 s[8:9], vcc
; %bb.323:
	v_lshlrev_b32_e32 v10, 16, v7
	s_mov_b32 s0, 0x3f0000
	v_lshrrev_b32_e32 v9, 7, v7
	v_and_b32_e32 v7, 64, v7
	v_and_or_b32 v3, v10, s0, v3
	v_cmp_ne_u32_e32 vcc, 0, v7
	v_cmp_ne_u32_e64 s[0:1], 0, v3
	s_and_b64 s[0:1], vcc, s[0:1]
	v_cndmask_b32_e64 v3, 0, 1, s[0:1]
	v_add_u32_e32 v9, v9, v3
; %bb.324:
	s_or_b64 exec, exec, s[8:9]
	s_mov_b64 s[8:9], -1
	s_mov_b64 s[0:1], 0
	global_store_byte v[0:1], v9, off
.LBB31_325:
	s_mov_b64 s[10:11], 0
.LBB31_326:
	s_and_b64 vcc, exec, s[10:11]
	s_cbranch_vccz .LBB31_329
; %bb.327:
	v_mov_b32_e32 v3, 29
	v_cmp_eq_u16_sdwa s[10:11], s75, v3 src0_sel:BYTE_0 src1_sel:DWORD
	s_mov_b64 s[0:1], -1
	s_and_b64 vcc, exec, s[10:11]
	s_cbranch_vccz .LBB31_329
; %bb.328:
	v_lshlrev_b32_e32 v3, 16, v2
	v_trunc_f32_e32 v3, v3
	v_mul_f32_e32 v7, 0x2f800000, v3
	v_floor_f32_e32 v7, v7
	v_fmac_f32_e32 v3, 0xcf800000, v7
	v_cvt_u32_f32_e32 v11, v7
	v_cvt_u32_f32_e32 v10, v3
	s_mov_b64 s[8:9], -1
	s_mov_b64 s[0:1], 0
	s_mov_b64 s[10:11], 0
	global_store_dwordx2 v[0:1], v[10:11], off
	s_branch .LBB31_330
.LBB31_329:
	s_mov_b64 s[10:11], 0
.LBB31_330:
	s_and_b64 vcc, exec, s[10:11]
	s_cbranch_vccz .LBB31_346
; %bb.331:
	v_mov_b32_e32 v3, 27
	v_cmp_lt_i16_sdwa s[10:11], s75, v3 src0_sel:BYTE_0 src1_sel:DWORD
	s_mov_b64 s[8:9], -1
	s_and_b64 vcc, exec, s[10:11]
	s_cbranch_vccnz .LBB31_337
; %bb.332:
	v_cmp_gt_i16_sdwa s[10:11], s75, v3 src0_sel:BYTE_0 src1_sel:DWORD
	s_and_b64 vcc, exec, s[10:11]
	s_cbranch_vccz .LBB31_334
; %bb.333:
	v_lshlrev_b32_e32 v3, 16, v2
	v_cvt_u32_f32_e32 v3, v3
	s_mov_b64 s[8:9], 0
	global_store_dword v[0:1], v3, off
.LBB31_334:
	s_andn2_b64 vcc, exec, s[8:9]
	s_cbranch_vccnz .LBB31_336
; %bb.335:
	v_lshlrev_b32_e32 v3, 16, v2
	v_cvt_u32_f32_e32 v3, v3
	global_store_short v[0:1], v3, off
.LBB31_336:
	s_mov_b64 s[8:9], 0
.LBB31_337:
	s_andn2_b64 vcc, exec, s[8:9]
	s_cbranch_vccnz .LBB31_345
; %bb.338:
	v_lshlrev_b32_e32 v9, 16, v2
	v_and_b32_e32 v7, 0x7fffffff, v9
	s_mov_b32 s8, 0x43800000
	v_cmp_gt_u32_e32 vcc, s8, v7
	v_mov_b32_e32 v10, 0x80
	s_and_saveexec_b64 s[8:9], vcc
	s_cbranch_execz .LBB31_344
; %bb.339:
	s_mov_b32 s10, 0x3bffffff
	v_and_b32_e32 v3, 0xffff, v2
	v_cmp_lt_u32_e32 vcc, s10, v7
	s_mov_b64 s[10:11], 0
                                        ; implicit-def: $vgpr7
	s_and_saveexec_b64 s[12:13], vcc
	s_xor_b64 s[12:13], exec, s[12:13]
	s_cbranch_execz .LBB31_573
; %bb.340:
	v_bfe_u32 v7, v3, 4, 1
	s_mov_b32 s14, 0x487ffff
	v_add3_u32 v7, v9, v7, s14
	s_mov_b64 s[10:11], exec
	v_lshrrev_b32_e32 v7, 20, v7
                                        ; implicit-def: $vgpr9
	s_or_saveexec_b64 s[12:13], s[12:13]
                                        ; implicit-def: $sgpr14
	s_xor_b64 exec, exec, s[12:13]
	s_cbranch_execnz .LBB31_574
.LBB31_341:
	s_or_b64 exec, exec, s[12:13]
	v_mov_b32_e32 v10, s14
	s_and_saveexec_b64 s[12:13], s[10:11]
.LBB31_342:
	v_lshrrev_b32_e32 v3, 8, v3
	s_movk_i32 s10, 0x80
	v_and_or_b32 v10, v3, s10, v7
.LBB31_343:
	s_or_b64 exec, exec, s[12:13]
.LBB31_344:
	s_or_b64 exec, exec, s[8:9]
	global_store_byte v[0:1], v10, off
.LBB31_345:
	s_mov_b64 s[8:9], -1
.LBB31_346:
	s_mov_b64 s[10:11], 0
.LBB31_347:
	s_and_b64 vcc, exec, s[10:11]
	s_cbranch_vccz .LBB31_388
; %bb.348:
	v_mov_b32_e32 v3, 22
	v_cmp_gt_i16_sdwa s[12:13], s75, v3 src0_sel:BYTE_0 src1_sel:DWORD
	s_mov_b64 s[10:11], -1
	s_and_b64 vcc, exec, s[12:13]
	s_cbranch_vccz .LBB31_380
; %bb.349:
	v_mov_b32_e32 v3, 24
	v_cmp_lt_i16_sdwa s[10:11], s75, v3 src0_sel:BYTE_0 src1_sel:DWORD
	s_mov_b64 s[8:9], -1
	s_and_b64 vcc, exec, s[10:11]
	s_cbranch_vccnz .LBB31_369
; %bb.350:
	v_cmp_gt_i16_sdwa s[10:11], s75, v3 src0_sel:BYTE_0 src1_sel:DWORD
	s_and_b64 vcc, exec, s[10:11]
	s_cbranch_vccz .LBB31_358
; %bb.351:
	v_lshlrev_b32_e32 v9, 16, v2
	v_and_b32_e32 v7, 0x7fffffff, v9
	s_mov_b32 s8, 0x47800000
	v_cmp_gt_u32_e32 vcc, s8, v7
	v_mov_b32_e32 v10, 0x80
	s_and_saveexec_b64 s[8:9], vcc
	s_cbranch_execz .LBB31_357
; %bb.352:
	s_mov_b32 s10, 0x37ffffff
	v_and_b32_e32 v3, 0xffff, v2
	v_cmp_lt_u32_e32 vcc, s10, v7
	s_mov_b64 s[10:11], 0
                                        ; implicit-def: $vgpr7
	s_and_saveexec_b64 s[12:13], vcc
	s_xor_b64 s[12:13], exec, s[12:13]
	s_cbranch_execz .LBB31_576
; %bb.353:
	v_bfe_u32 v7, v3, 5, 1
	s_mov_b32 s14, 0x88fffff
	v_add3_u32 v7, v9, v7, s14
	s_mov_b64 s[10:11], exec
	v_lshrrev_b32_e32 v7, 21, v7
                                        ; implicit-def: $vgpr9
	s_or_saveexec_b64 s[12:13], s[12:13]
                                        ; implicit-def: $sgpr14
	s_xor_b64 exec, exec, s[12:13]
	s_cbranch_execnz .LBB31_577
.LBB31_354:
	s_or_b64 exec, exec, s[12:13]
	v_mov_b32_e32 v10, s14
	s_and_saveexec_b64 s[12:13], s[10:11]
.LBB31_355:
	v_lshrrev_b32_e32 v3, 8, v3
	s_movk_i32 s10, 0x80
	v_and_or_b32 v10, v3, s10, v7
.LBB31_356:
	s_or_b64 exec, exec, s[12:13]
.LBB31_357:
	s_or_b64 exec, exec, s[8:9]
	s_mov_b64 s[8:9], 0
	global_store_byte v[0:1], v10, off
.LBB31_358:
	s_and_b64 vcc, exec, s[8:9]
	s_cbranch_vccz .LBB31_368
; %bb.359:
	v_lshlrev_b32_e32 v9, 16, v2
	v_and_b32_e32 v10, 0x7fffffff, v9
	s_mov_b32 s8, 0x43f00000
	v_and_b32_e32 v3, 0xffff, v2
	v_cmp_gt_u32_e32 vcc, s8, v10
                                        ; implicit-def: $vgpr7
	s_and_saveexec_b64 s[8:9], vcc
	s_xor_b64 s[8:9], exec, s[8:9]
	s_cbranch_execz .LBB31_365
; %bb.360:
	s_mov_b32 s10, 0x3c7fffff
	v_cmp_lt_u32_e32 vcc, s10, v10
                                        ; implicit-def: $vgpr7
	s_and_saveexec_b64 s[10:11], vcc
	s_xor_b64 s[10:11], exec, s[10:11]
; %bb.361:
	v_bfe_u32 v7, v3, 4, 1
	s_mov_b32 s12, 0x407ffff
	v_add3_u32 v7, v9, v7, s12
	v_lshrrev_b32_e32 v9, 20, v7
	v_and_b32_e32 v7, 0xff00000, v7
	s_mov_b32 s12, 0x7f00000
	v_mov_b32_e32 v10, 0x7e
	v_cmp_ne_u32_e32 vcc, s12, v7
	v_cndmask_b32_e32 v7, v10, v9, vcc
                                        ; implicit-def: $vgpr9
; %bb.362:
	s_andn2_saveexec_b64 s[10:11], s[10:11]
; %bb.363:
	s_mov_b32 s12, 0x46800000
	v_add_f32_e64 v7, |v9|, s12
; %bb.364:
	s_or_b64 exec, exec, s[10:11]
                                        ; implicit-def: $vgpr10
.LBB31_365:
	s_andn2_saveexec_b64 s[8:9], s[8:9]
; %bb.366:
	s_mov_b32 s10, 0x7f800000
	v_mov_b32_e32 v7, 0x7e
	v_mov_b32_e32 v9, 0x7f
	v_cmp_lt_u32_e32 vcc, s10, v10
	v_cndmask_b32_e32 v7, v7, v9, vcc
; %bb.367:
	s_or_b64 exec, exec, s[8:9]
	v_lshrrev_b32_e32 v3, 8, v3
	s_movk_i32 s8, 0x80
	v_and_or_b32 v3, v3, s8, v7
	global_store_byte v[0:1], v3, off
.LBB31_368:
	s_mov_b64 s[8:9], 0
.LBB31_369:
	s_andn2_b64 vcc, exec, s[8:9]
	s_cbranch_vccnz .LBB31_379
; %bb.370:
	v_lshlrev_b32_e32 v9, 16, v2
	v_and_b32_e32 v10, 0x7fffffff, v9
	s_mov_b32 s8, 0x47800000
	v_and_b32_e32 v3, 0xffff, v2
	v_cmp_gt_u32_e32 vcc, s8, v10
                                        ; implicit-def: $vgpr7
	s_and_saveexec_b64 s[8:9], vcc
	s_xor_b64 s[8:9], exec, s[8:9]
	s_cbranch_execz .LBB31_376
; %bb.371:
	s_mov_b32 s10, 0x387fffff
	v_cmp_lt_u32_e32 vcc, s10, v10
                                        ; implicit-def: $vgpr7
	s_and_saveexec_b64 s[10:11], vcc
	s_xor_b64 s[10:11], exec, s[10:11]
; %bb.372:
	v_bfe_u32 v7, v3, 5, 1
	s_mov_b32 s12, 0x80fffff
	v_add3_u32 v7, v9, v7, s12
	v_lshrrev_b32_e32 v7, 21, v7
                                        ; implicit-def: $vgpr9
; %bb.373:
	s_andn2_saveexec_b64 s[10:11], s[10:11]
; %bb.374:
	s_mov_b32 s12, 0x43000000
	v_add_f32_e64 v7, |v9|, s12
; %bb.375:
	s_or_b64 exec, exec, s[10:11]
                                        ; implicit-def: $vgpr10
.LBB31_376:
	s_andn2_saveexec_b64 s[8:9], s[8:9]
; %bb.377:
	s_mov_b32 s10, 0x7f800000
	v_mov_b32_e32 v7, 0x7c
	v_mov_b32_e32 v9, 0x7f
	v_cmp_lt_u32_e32 vcc, s10, v10
	v_cndmask_b32_e32 v7, v7, v9, vcc
; %bb.378:
	s_or_b64 exec, exec, s[8:9]
	v_lshrrev_b32_e32 v3, 8, v3
	s_movk_i32 s8, 0x80
	v_and_or_b32 v3, v3, s8, v7
	global_store_byte v[0:1], v3, off
.LBB31_379:
	s_mov_b64 s[10:11], 0
	s_mov_b64 s[8:9], -1
.LBB31_380:
	s_andn2_b64 vcc, exec, s[10:11]
	s_cbranch_vccnz .LBB31_388
; %bb.381:
	v_mov_b32_e32 v3, 14
	v_cmp_gt_i16_sdwa s[12:13], s75, v3 src0_sel:BYTE_0 src1_sel:DWORD
	s_mov_b64 s[10:11], -1
	s_and_b64 vcc, exec, s[12:13]
	s_cbranch_vccz .LBB31_385
; %bb.382:
	v_mov_b32_e32 v3, 15
	v_cmp_eq_u16_sdwa s[10:11], s75, v3 src0_sel:BYTE_0 src1_sel:DWORD
	s_mov_b64 s[0:1], -1
	s_and_b64 vcc, exec, s[10:11]
	s_cbranch_vccz .LBB31_384
; %bb.383:
	global_store_short v[0:1], v2, off
	s_mov_b64 s[8:9], -1
	s_mov_b64 s[0:1], 0
.LBB31_384:
	s_mov_b64 s[10:11], 0
.LBB31_385:
	s_and_b64 vcc, exec, s[10:11]
	s_cbranch_vccz .LBB31_388
; %bb.386:
	v_mov_b32_e32 v3, 11
	v_cmp_eq_u16_sdwa s[10:11], s75, v3 src0_sel:BYTE_0 src1_sel:DWORD
	s_mov_b64 s[0:1], -1
	s_and_b64 vcc, exec, s[10:11]
	s_cbranch_vccz .LBB31_388
; %bb.387:
	s_mov_b64 s[8:9], -1
	s_mov_b64 s[0:1], 0
	global_store_byte v[0:1], v4, off
.LBB31_388:
	s_mov_b64 s[10:11], 0
.LBB31_389:
	s_and_b64 vcc, exec, s[10:11]
	s_cbranch_vccz .LBB31_428
; %bb.390:
	v_mov_b32_e32 v3, 5
	v_cmp_lt_i16_sdwa s[10:11], s75, v3 src0_sel:BYTE_0 src1_sel:DWORD
	s_mov_b64 s[8:9], -1
	s_and_b64 vcc, exec, s[10:11]
	s_cbranch_vccnz .LBB31_411
; %bb.391:
	v_mov_b32_e32 v3, 8
	v_cmp_lt_i16_sdwa s[10:11], s75, v3 src0_sel:BYTE_0 src1_sel:DWORD
	s_and_b64 vcc, exec, s[10:11]
	s_cbranch_vccnz .LBB31_401
; %bb.392:
	v_mov_b32_e32 v3, 9
	v_cmp_lt_i16_sdwa s[10:11], s75, v3 src0_sel:BYTE_0 src1_sel:DWORD
	s_and_b64 vcc, exec, s[10:11]
	s_cbranch_vccnz .LBB31_398
; %bb.393:
	v_cmp_gt_i16_sdwa s[10:11], s75, v3 src0_sel:BYTE_0 src1_sel:DWORD
	s_and_b64 vcc, exec, s[10:11]
	s_cbranch_vccz .LBB31_395
; %bb.394:
	v_lshlrev_b32_e32 v3, 16, v2
	v_mov_b32_e32 v12, 0
	v_cvt_f64_f32_e32 v[10:11], v3
	v_mov_b32_e32 v13, v12
	s_mov_b64 s[8:9], 0
	global_store_dwordx4 v[0:1], v[10:13], off
.LBB31_395:
	s_andn2_b64 vcc, exec, s[8:9]
	s_cbranch_vccnz .LBB31_397
; %bb.396:
	v_lshlrev_b32_e32 v10, 16, v2
	v_mov_b32_e32 v11, 0
	global_store_dwordx2 v[0:1], v[10:11], off
.LBB31_397:
	s_mov_b64 s[8:9], 0
.LBB31_398:
	s_andn2_b64 vcc, exec, s[8:9]
	s_cbranch_vccnz .LBB31_400
; %bb.399:
	v_lshlrev_b32_e32 v3, 16, v2
	v_cvt_f16_f32_e32 v3, v3
	global_store_dword v[0:1], v3, off
.LBB31_400:
	s_mov_b64 s[8:9], 0
.LBB31_401:
	s_andn2_b64 vcc, exec, s[8:9]
	s_cbranch_vccnz .LBB31_410
; %bb.402:
	v_mov_b32_e32 v3, 6
	v_cmp_lt_i16_sdwa s[10:11], s75, v3 src0_sel:BYTE_0 src1_sel:DWORD
	s_mov_b64 s[8:9], -1
	s_and_b64 vcc, exec, s[10:11]
	s_cbranch_vccnz .LBB31_408
; %bb.403:
	v_cmp_gt_i16_sdwa s[10:11], s75, v3 src0_sel:BYTE_0 src1_sel:DWORD
	s_and_b64 vcc, exec, s[10:11]
	s_cbranch_vccz .LBB31_405
; %bb.404:
	v_lshlrev_b32_e32 v3, 16, v2
	v_cvt_f64_f32_e32 v[10:11], v3
	s_mov_b64 s[8:9], 0
	global_store_dwordx2 v[0:1], v[10:11], off
.LBB31_405:
	s_andn2_b64 vcc, exec, s[8:9]
	s_cbranch_vccnz .LBB31_407
; %bb.406:
	v_lshlrev_b32_e32 v3, 16, v2
	global_store_dword v[0:1], v3, off
.LBB31_407:
	s_mov_b64 s[8:9], 0
.LBB31_408:
	s_andn2_b64 vcc, exec, s[8:9]
	s_cbranch_vccnz .LBB31_410
; %bb.409:
	v_lshlrev_b32_e32 v3, 16, v2
	v_cvt_f16_f32_e32 v3, v3
	global_store_short v[0:1], v3, off
.LBB31_410:
	s_mov_b64 s[8:9], 0
.LBB31_411:
	s_andn2_b64 vcc, exec, s[8:9]
	s_cbranch_vccnz .LBB31_427
; %bb.412:
	v_mov_b32_e32 v3, 2
	v_cmp_lt_i16_sdwa s[10:11], s75, v3 src0_sel:BYTE_0 src1_sel:DWORD
	s_mov_b64 s[8:9], -1
	s_and_b64 vcc, exec, s[10:11]
	s_cbranch_vccnz .LBB31_422
; %bb.413:
	v_mov_b32_e32 v3, 3
	v_cmp_lt_i16_sdwa s[10:11], s75, v3 src0_sel:BYTE_0 src1_sel:DWORD
	s_and_b64 vcc, exec, s[10:11]
	s_cbranch_vccnz .LBB31_419
; %bb.414:
	v_cmp_gt_i16_sdwa s[10:11], s75, v3 src0_sel:BYTE_0 src1_sel:DWORD
	s_and_b64 vcc, exec, s[10:11]
	s_cbranch_vccz .LBB31_416
; %bb.415:
	v_lshlrev_b32_e32 v3, 16, v2
	v_trunc_f32_e32 v3, v3
	s_mov_b32 s8, 0x2f800000
	v_mul_f32_e64 v7, |v3|, s8
	v_floor_f32_e32 v7, v7
	s_mov_b32 s8, 0xcf800000
	v_cvt_u32_f32_e32 v9, v7
	v_fma_f32 v7, v7, s8, |v3|
	v_cvt_u32_f32_e32 v7, v7
	v_ashrrev_i32_e32 v3, 31, v3
	v_xor_b32_e32 v9, v9, v3
	s_mov_b64 s[8:9], 0
	v_xor_b32_e32 v7, v7, v3
	v_sub_co_u32_e32 v10, vcc, v7, v3
	v_subb_co_u32_e32 v11, vcc, v9, v3, vcc
	global_store_dwordx2 v[0:1], v[10:11], off
.LBB31_416:
	s_andn2_b64 vcc, exec, s[8:9]
	s_cbranch_vccnz .LBB31_418
; %bb.417:
	v_lshlrev_b32_e32 v3, 16, v2
	v_cvt_i32_f32_e32 v3, v3
	global_store_dword v[0:1], v3, off
.LBB31_418:
	s_mov_b64 s[8:9], 0
.LBB31_419:
	s_andn2_b64 vcc, exec, s[8:9]
	s_cbranch_vccnz .LBB31_421
; %bb.420:
	v_lshlrev_b32_e32 v3, 16, v2
	v_cvt_i32_f32_e32 v3, v3
	global_store_short v[0:1], v3, off
.LBB31_421:
	s_mov_b64 s[8:9], 0
.LBB31_422:
	s_andn2_b64 vcc, exec, s[8:9]
	s_cbranch_vccnz .LBB31_427
; %bb.423:
	v_mov_b32_e32 v3, 0
	v_cmp_gt_i16_sdwa s[10:11], s75, v3 src0_sel:BYTE_0 src1_sel:DWORD
	s_mov_b64 s[8:9], -1
	s_and_b64 vcc, exec, s[10:11]
	v_lshlrev_b32_e32 v2, 16, v2
	s_cbranch_vccz .LBB31_425
; %bb.424:
	v_cvt_i32_f32_e32 v3, v2
	s_mov_b64 s[8:9], 0
	global_store_byte v[0:1], v3, off
.LBB31_425:
	s_andn2_b64 vcc, exec, s[8:9]
	s_cbranch_vccnz .LBB31_427
; %bb.426:
	v_trunc_f32_e32 v2, v2
	s_mov_b32 s8, 0x2f800000
	v_mul_f32_e64 v3, |v2|, s8
	v_floor_f32_e32 v3, v3
	s_mov_b32 s8, 0xcf800000
	v_fma_f32 v3, v3, s8, |v2|
	v_cvt_u32_f32_e32 v3, v3
	v_ashrrev_i32_e32 v2, 31, v2
	v_xor_b32_e32 v3, v3, v2
	v_sub_u32_e32 v2, v3, v2
	global_store_byte v[0:1], v2, off
.LBB31_427:
	s_mov_b64 s[8:9], -1
.LBB31_428:
	s_andn2_b64 vcc, exec, s[8:9]
	s_cbranch_vccnz .LBB31_430
; %bb.429:
	v_add_u32_e32 v8, 0x80, v8
	s_mov_b64 s[8:9], -1
	s_branch .LBB31_543
.LBB31_430:
	s_mov_b64 s[8:9], 0
	s_branch .LBB31_542
.LBB31_431:
	s_mov_b64 s[2:3], -1
                                        ; implicit-def: $vgpr1
.LBB31_432:
	s_mov_b64 s[8:9], 0
.LBB31_433:
	s_and_b64 vcc, exec, s[8:9]
	s_cbranch_vccz .LBB31_437
; %bb.434:
	v_cmp_eq_u16_e32 vcc, 29, v6
	s_cbranch_vccz .LBB31_436
; %bb.435:
	global_load_dwordx2 v[10:11], v[2:3], off
	s_movk_i32 s2, 0x7fff
	s_mov_b64 s[0:1], -1
	s_mov_b64 s[8:9], 0
	s_waitcnt vmcnt(0)
	v_ffbh_u32_e32 v1, v11
	v_min_u32_e32 v1, 32, v1
	v_lshlrev_b64 v[10:11], v1, v[10:11]
	v_min_u32_e32 v7, 1, v10
	v_or_b32_e32 v7, v11, v7
	v_cvt_f32_u32_e32 v7, v7
	v_sub_u32_e32 v1, 32, v1
	v_ldexp_f32 v1, v7, v1
	v_bfe_u32 v7, v1, 16, 1
	v_add3_u32 v1, v1, v7, s2
	v_lshrrev_b32_e32 v1, 16, v1
	s_mov_b64 s[2:3], 0
	s_branch .LBB31_438
.LBB31_436:
	s_mov_b64 s[2:3], -1
                                        ; implicit-def: $vgpr1
.LBB31_437:
	s_mov_b64 s[8:9], 0
.LBB31_438:
	s_and_b64 vcc, exec, s[8:9]
	s_cbranch_vccz .LBB31_456
; %bb.439:
	v_cmp_gt_i16_e32 vcc, 27, v6
	s_cbranch_vccnz .LBB31_442
; %bb.440:
	v_cmp_lt_i16_e32 vcc, 27, v6
	s_cbranch_vccz .LBB31_443
; %bb.441:
	global_load_dword v1, v[2:3], off
	s_movk_i32 s0, 0x7fff
	s_waitcnt vmcnt(0)
	v_cvt_f32_u32_e32 v1, v1
	v_bfe_u32 v7, v1, 16, 1
	v_add3_u32 v1, v1, v7, s0
	v_lshrrev_b32_e32 v1, 16, v1
	s_mov_b64 s[0:1], 0
	s_branch .LBB31_444
.LBB31_442:
	s_mov_b64 s[0:1], -1
                                        ; implicit-def: $vgpr1
	s_branch .LBB31_447
.LBB31_443:
	s_mov_b64 s[0:1], -1
                                        ; implicit-def: $vgpr1
.LBB31_444:
	s_andn2_b64 vcc, exec, s[0:1]
	s_cbranch_vccnz .LBB31_446
; %bb.445:
	global_load_ushort v1, v[2:3], off
	s_movk_i32 s0, 0x7fff
	s_waitcnt vmcnt(0)
	v_cvt_f32_u32_e32 v1, v1
	v_bfe_u32 v7, v1, 16, 1
	v_add3_u32 v1, v1, v7, s0
	v_lshrrev_b32_e32 v1, 16, v1
.LBB31_446:
	s_mov_b64 s[0:1], 0
.LBB31_447:
	s_andn2_b64 vcc, exec, s[0:1]
	s_cbranch_vccnz .LBB31_455
; %bb.448:
	global_load_ubyte v1, v[2:3], off
	s_movk_i32 s0, 0x7f
                                        ; implicit-def: $sgpr12
	s_waitcnt vmcnt(0)
	v_cmp_lt_i16_e32 vcc, s0, v1
	s_mov_b64 s[0:1], 0
	s_and_saveexec_b64 s[8:9], vcc
	s_xor_b64 s[8:9], exec, s[8:9]
	s_cbranch_execz .LBB31_469
; %bb.449:
	s_movk_i32 s0, 0x80
	v_cmp_eq_u16_e32 vcc, s0, v1
	s_mov_b64 s[0:1], -1
                                        ; implicit-def: $sgpr12
	s_and_saveexec_b64 s[10:11], vcc
; %bb.450:
	s_mov_b32 s12, 0x7f800001
	s_xor_b64 s[0:1], exec, -1
; %bb.451:
	s_or_b64 exec, exec, s[10:11]
	s_and_b64 s[0:1], s[0:1], exec
	s_or_saveexec_b64 s[8:9], s[8:9]
	v_mov_b32_e32 v7, s12
	s_xor_b64 exec, exec, s[8:9]
	s_cbranch_execnz .LBB31_470
.LBB31_452:
	s_or_b64 exec, exec, s[8:9]
	s_and_saveexec_b64 s[8:9], s[0:1]
	s_cbranch_execz .LBB31_454
.LBB31_453:
	v_lshlrev_b32_e32 v7, 24, v1
	v_and_b32_e32 v1, 0xffff, v1
	v_and_b32_e32 v9, 7, v1
	v_ffbh_u32_e32 v11, v9
	v_min_u32_e32 v11, 32, v11
	v_subrev_u32_e32 v12, 28, v11
	v_bfe_u32 v10, v1, 3, 4
	v_lshlrev_b32_e32 v1, v12, v1
	v_sub_u32_e32 v11, 29, v11
	v_and_b32_e32 v1, 7, v1
	v_cmp_eq_u32_e32 vcc, 0, v10
	v_cndmask_b32_e32 v10, v10, v11, vcc
	v_cndmask_b32_e32 v1, v9, v1, vcc
	v_mov_b32_e32 v9, 0x3b800000
	v_lshlrev_b32_e32 v1, 20, v1
	v_and_b32_e32 v7, 0x80000000, v7
	v_lshl_add_u32 v9, v10, 23, v9
	v_or3_b32 v7, v7, v9, v1
.LBB31_454:
	s_or_b64 exec, exec, s[8:9]
	v_bfe_u32 v1, v7, 16, 1
	s_movk_i32 s0, 0x7fff
	v_add3_u32 v1, v7, v1, s0
	v_lshrrev_b32_e32 v1, 16, v1
	v_mov_b32_e32 v9, 0x7fc0
	v_cmp_o_f32_e32 vcc, v7, v7
	v_cndmask_b32_e32 v1, v9, v1, vcc
.LBB31_455:
	s_mov_b64 s[0:1], -1
.LBB31_456:
	s_mov_b64 s[8:9], 0
.LBB31_457:
	s_and_b64 vcc, exec, s[8:9]
	s_cbranch_vccz .LBB31_492
; %bb.458:
	v_cmp_lt_i16_e32 vcc, 22, v6
	s_cbranch_vccz .LBB31_468
; %bb.459:
	v_cmp_gt_i16_e32 vcc, 24, v6
	s_cbranch_vccnz .LBB31_471
; %bb.460:
	v_cmp_lt_i16_e32 vcc, 24, v6
	s_cbranch_vccz .LBB31_472
; %bb.461:
	global_load_ubyte v1, v[2:3], off
	s_movk_i32 s0, 0x7f
                                        ; implicit-def: $sgpr12
	s_waitcnt vmcnt(0)
	v_cmp_lt_i16_e32 vcc, s0, v1
	s_mov_b64 s[0:1], 0
	s_and_saveexec_b64 s[8:9], vcc
	s_xor_b64 s[8:9], exec, s[8:9]
	s_cbranch_execz .LBB31_484
; %bb.462:
	s_movk_i32 s0, 0x80
	v_cmp_eq_u16_e32 vcc, s0, v1
	s_mov_b64 s[0:1], -1
                                        ; implicit-def: $sgpr12
	s_and_saveexec_b64 s[10:11], vcc
; %bb.463:
	s_mov_b32 s12, 0x7f800001
	s_xor_b64 s[0:1], exec, -1
; %bb.464:
	s_or_b64 exec, exec, s[10:11]
	s_and_b64 s[0:1], s[0:1], exec
	s_or_saveexec_b64 s[8:9], s[8:9]
	v_mov_b32_e32 v7, s12
	s_xor_b64 exec, exec, s[8:9]
	s_cbranch_execnz .LBB31_485
.LBB31_465:
	s_or_b64 exec, exec, s[8:9]
	s_and_saveexec_b64 s[8:9], s[0:1]
	s_cbranch_execz .LBB31_467
.LBB31_466:
	v_lshlrev_b32_e32 v7, 24, v1
	v_and_b32_e32 v1, 0xffff, v1
	v_and_b32_e32 v9, 3, v1
	v_ffbh_u32_e32 v11, v9
	v_min_u32_e32 v11, 32, v11
	v_subrev_u32_e32 v12, 29, v11
	v_bfe_u32 v10, v1, 2, 5
	v_lshlrev_b32_e32 v1, v12, v1
	v_sub_u32_e32 v11, 30, v11
	v_and_b32_e32 v1, 3, v1
	v_cmp_eq_u32_e32 vcc, 0, v10
	v_cndmask_b32_e32 v10, v10, v11, vcc
	v_cndmask_b32_e32 v1, v9, v1, vcc
	v_mov_b32_e32 v9, 0x37800000
	v_lshlrev_b32_e32 v1, 21, v1
	v_and_b32_e32 v7, 0x80000000, v7
	v_lshl_add_u32 v9, v10, 23, v9
	v_or3_b32 v7, v7, v9, v1
.LBB31_467:
	s_or_b64 exec, exec, s[8:9]
	v_bfe_u32 v1, v7, 16, 1
	s_movk_i32 s0, 0x7fff
	v_add3_u32 v1, v7, v1, s0
	v_lshrrev_b32_e32 v1, 16, v1
	v_mov_b32_e32 v9, 0x7fc0
	v_cmp_o_f32_e32 vcc, v7, v7
	v_cndmask_b32_e32 v1, v9, v1, vcc
	s_mov_b64 s[0:1], 0
	s_branch .LBB31_473
.LBB31_468:
	s_mov_b64 s[8:9], -1
                                        ; implicit-def: $vgpr1
	s_branch .LBB31_479
.LBB31_469:
	s_or_saveexec_b64 s[8:9], s[8:9]
	v_mov_b32_e32 v7, s12
	s_xor_b64 exec, exec, s[8:9]
	s_cbranch_execz .LBB31_452
.LBB31_470:
	v_cmp_ne_u16_e32 vcc, 0, v1
	s_andn2_b64 s[0:1], s[0:1], exec
	s_and_b64 s[10:11], vcc, exec
	v_mov_b32_e32 v7, 0
	s_or_b64 s[0:1], s[0:1], s[10:11]
	s_or_b64 exec, exec, s[8:9]
	s_and_saveexec_b64 s[8:9], s[0:1]
	s_cbranch_execnz .LBB31_453
	s_branch .LBB31_454
.LBB31_471:
	s_mov_b64 s[0:1], -1
                                        ; implicit-def: $vgpr1
	s_branch .LBB31_476
.LBB31_472:
	s_mov_b64 s[0:1], -1
                                        ; implicit-def: $vgpr1
.LBB31_473:
	s_and_b64 vcc, exec, s[0:1]
	s_cbranch_vccz .LBB31_475
; %bb.474:
	global_load_ubyte v1, v[2:3], off
	s_mov_b32 s0, 0x7f800000
	s_brev_b32 s1, 1
	s_movk_i32 s8, 0x7fff
	v_mov_b32_e32 v7, 0x7fc0
	s_waitcnt vmcnt(0)
	v_lshlrev_b32_e32 v1, 24, v1
	v_and_b32_e32 v9, 0x7f000000, v1
	v_ffbh_u32_e32 v10, v9
	v_min_u32_e32 v10, 32, v10
	v_sub_u32_e64 v10, v10, 4 clamp
	v_lshlrev_b32_e32 v12, v10, v9
	v_lshlrev_b32_e32 v10, 23, v10
	v_lshrrev_b32_e32 v12, 4, v12
	v_add_u32_e32 v11, 0x1000000, v9
	v_sub_u32_e32 v10, v12, v10
	v_ashrrev_i32_e32 v11, 8, v11
	v_add_u32_e32 v10, 0x3c000000, v10
	v_and_or_b32 v10, v11, s0, v10
	v_cmp_ne_u32_e32 vcc, 0, v9
	v_cndmask_b32_e32 v9, 0, v10, vcc
	v_and_or_b32 v1, v1, s1, v9
	v_bfe_u32 v9, v9, 16, 1
	v_add3_u32 v9, v1, v9, s8
	v_lshrrev_b32_e32 v9, 16, v9
	v_cmp_o_f32_e32 vcc, v1, v1
	v_cndmask_b32_e32 v1, v7, v9, vcc
.LBB31_475:
	s_mov_b64 s[0:1], 0
.LBB31_476:
	s_andn2_b64 vcc, exec, s[0:1]
	s_cbranch_vccnz .LBB31_478
; %bb.477:
	global_load_ubyte v1, v[2:3], off
	s_movk_i32 s0, 0x7f00
	s_brev_b32 s1, 16
	s_brev_b32 s8, 1
	s_movk_i32 s9, 0x7fff
	v_mov_b32_e32 v7, 0x7fc0
	s_waitcnt vmcnt(0)
	v_lshlrev_b16_e32 v9, 8, v1
	v_lshlrev_b32_e32 v1, 25, v1
	v_lshrrev_b32_e32 v10, 4, v1
	v_and_or_b32 v11, v9, s0, 0.5
	v_or_b32_e32 v10, 0x70000000, v10
	v_add_f32_e32 v11, -0.5, v11
	v_mul_f32_e32 v10, 0x7800000, v10
	v_cmp_gt_u32_e32 vcc, s1, v1
	v_bfe_i32 v9, v9, 0, 16
	v_cndmask_b32_e32 v1, v10, v11, vcc
	v_and_or_b32 v9, v9, s8, v1
	v_bfe_u32 v1, v1, 16, 1
	v_add3_u32 v1, v9, v1, s9
	v_lshrrev_b32_e32 v1, 16, v1
	v_cmp_o_f32_e32 vcc, v9, v9
	v_cndmask_b32_e32 v1, v7, v1, vcc
.LBB31_478:
	s_mov_b64 s[8:9], 0
	s_mov_b64 s[0:1], -1
.LBB31_479:
	s_andn2_b64 vcc, exec, s[8:9]
	s_cbranch_vccnz .LBB31_492
; %bb.480:
	v_cmp_lt_i16_e32 vcc, 14, v6
	s_cbranch_vccz .LBB31_483
; %bb.481:
	v_cmp_eq_u16_e32 vcc, 15, v6
	s_cbranch_vccz .LBB31_486
; %bb.482:
	global_load_ushort v1, v[2:3], off
	s_mov_b64 s[0:1], -1
	s_mov_b64 s[2:3], 0
	s_branch .LBB31_487
.LBB31_483:
	s_mov_b64 s[8:9], -1
                                        ; implicit-def: $vgpr1
	s_branch .LBB31_488
.LBB31_484:
	s_or_saveexec_b64 s[8:9], s[8:9]
	v_mov_b32_e32 v7, s12
	s_xor_b64 exec, exec, s[8:9]
	s_cbranch_execz .LBB31_465
.LBB31_485:
	v_cmp_ne_u16_e32 vcc, 0, v1
	s_andn2_b64 s[0:1], s[0:1], exec
	s_and_b64 s[10:11], vcc, exec
	v_mov_b32_e32 v7, 0
	s_or_b64 s[0:1], s[0:1], s[10:11]
	s_or_b64 exec, exec, s[8:9]
	s_and_saveexec_b64 s[8:9], s[0:1]
	s_cbranch_execnz .LBB31_466
	s_branch .LBB31_467
.LBB31_486:
	s_mov_b64 s[2:3], -1
                                        ; implicit-def: $vgpr1
.LBB31_487:
	s_mov_b64 s[8:9], 0
.LBB31_488:
	s_and_b64 vcc, exec, s[8:9]
	s_cbranch_vccz .LBB31_492
; %bb.489:
	v_cmp_eq_u16_e32 vcc, 11, v6
	s_cbranch_vccz .LBB31_491
; %bb.490:
	global_load_ubyte v1, v[2:3], off
	s_mov_b64 s[0:1], -1
	s_mov_b64 s[2:3], 0
	s_waitcnt vmcnt(0)
	v_cmp_ne_u16_e32 vcc, 0, v1
	v_cndmask_b32_e64 v1, 0, 1.0, vcc
	v_lshrrev_b32_e32 v1, 16, v1
	s_branch .LBB31_492
.LBB31_491:
	s_mov_b64 s[2:3], -1
                                        ; implicit-def: $vgpr1
.LBB31_492:
	s_branch .LBB31_295
.LBB31_493:
	v_cmp_gt_i16_e32 vcc, 5, v6
	s_cbranch_vccnz .LBB31_498
; %bb.494:
	v_cmp_gt_i16_e32 vcc, 8, v6
	s_cbranch_vccnz .LBB31_499
; %bb.495:
	;; [unrolled: 3-line block ×3, first 2 shown]
	v_cmp_lt_i16_e32 vcc, 9, v6
	s_cbranch_vccz .LBB31_501
; %bb.497:
	global_load_dwordx2 v[10:11], v[2:3], off
	s_movk_i32 s0, 0x7fff
	s_waitcnt vmcnt(1)
	v_mov_b32_e32 v1, 0x7fc0
	s_waitcnt vmcnt(0)
	v_cvt_f32_f64_e32 v7, v[10:11]
	v_bfe_u32 v9, v7, 16, 1
	v_add3_u32 v9, v7, v9, s0
	v_lshrrev_b32_e32 v9, 16, v9
	v_cmp_o_f32_e32 vcc, v7, v7
	v_cndmask_b32_e32 v1, v1, v9, vcc
	s_mov_b64 s[0:1], 0
	s_branch .LBB31_502
.LBB31_498:
	s_mov_b64 s[0:1], -1
                                        ; implicit-def: $vgpr1
	s_branch .LBB31_520
.LBB31_499:
	s_mov_b64 s[0:1], -1
                                        ; implicit-def: $vgpr1
	s_branch .LBB31_508
.LBB31_500:
	s_mov_b64 s[0:1], -1
                                        ; implicit-def: $vgpr1
	s_branch .LBB31_505
.LBB31_501:
	s_mov_b64 s[0:1], -1
                                        ; implicit-def: $vgpr1
.LBB31_502:
	s_andn2_b64 vcc, exec, s[0:1]
	s_cbranch_vccnz .LBB31_504
; %bb.503:
	global_load_dword v1, v[2:3], off
	s_movk_i32 s0, 0x7fff
	v_mov_b32_e32 v7, 0x7fc0
	s_waitcnt vmcnt(0)
	v_bfe_u32 v9, v1, 16, 1
	v_add3_u32 v9, v1, v9, s0
	v_lshrrev_b32_e32 v9, 16, v9
	v_cmp_o_f32_e32 vcc, v1, v1
	v_cndmask_b32_e32 v1, v7, v9, vcc
.LBB31_504:
	s_mov_b64 s[0:1], 0
.LBB31_505:
	s_andn2_b64 vcc, exec, s[0:1]
	s_cbranch_vccnz .LBB31_507
; %bb.506:
	global_load_dword v1, v[2:3], off
	s_movk_i32 s0, 0x7fff
	v_mov_b32_e32 v9, 0x7fc0
	s_waitcnt vmcnt(0)
	v_cvt_f32_f16_e32 v7, v1
	v_cmp_o_f16_e32 vcc, v1, v1
	v_bfe_u32 v10, v7, 16, 1
	v_add3_u32 v7, v7, v10, s0
	v_lshrrev_b32_e32 v7, 16, v7
	v_cndmask_b32_e32 v1, v9, v7, vcc
.LBB31_507:
	s_mov_b64 s[0:1], 0
.LBB31_508:
	s_andn2_b64 vcc, exec, s[0:1]
	s_cbranch_vccnz .LBB31_519
; %bb.509:
	v_cmp_gt_i16_e32 vcc, 6, v6
	s_cbranch_vccnz .LBB31_512
; %bb.510:
	v_cmp_lt_i16_e32 vcc, 6, v6
	s_cbranch_vccz .LBB31_513
; %bb.511:
	global_load_dwordx2 v[10:11], v[2:3], off
	s_movk_i32 s0, 0x7fff
	s_waitcnt vmcnt(1)
	v_mov_b32_e32 v1, 0x7fc0
	s_waitcnt vmcnt(0)
	v_cvt_f32_f64_e32 v7, v[10:11]
	v_bfe_u32 v9, v7, 16, 1
	v_add3_u32 v9, v7, v9, s0
	v_lshrrev_b32_e32 v9, 16, v9
	v_cmp_o_f32_e32 vcc, v7, v7
	v_cndmask_b32_e32 v1, v1, v9, vcc
	s_mov_b64 s[0:1], 0
	s_branch .LBB31_514
.LBB31_512:
	s_mov_b64 s[0:1], -1
                                        ; implicit-def: $vgpr1
	s_branch .LBB31_517
.LBB31_513:
	s_mov_b64 s[0:1], -1
                                        ; implicit-def: $vgpr1
.LBB31_514:
	s_andn2_b64 vcc, exec, s[0:1]
	s_cbranch_vccnz .LBB31_516
; %bb.515:
	global_load_dword v1, v[2:3], off
	s_movk_i32 s0, 0x7fff
	v_mov_b32_e32 v7, 0x7fc0
	s_waitcnt vmcnt(0)
	v_bfe_u32 v9, v1, 16, 1
	v_add3_u32 v9, v1, v9, s0
	v_lshrrev_b32_e32 v9, 16, v9
	v_cmp_o_f32_e32 vcc, v1, v1
	v_cndmask_b32_e32 v1, v7, v9, vcc
.LBB31_516:
	s_mov_b64 s[0:1], 0
.LBB31_517:
	s_andn2_b64 vcc, exec, s[0:1]
	s_cbranch_vccnz .LBB31_519
; %bb.518:
	global_load_ushort v1, v[2:3], off
	s_movk_i32 s0, 0x7fff
	v_mov_b32_e32 v9, 0x7fc0
	s_waitcnt vmcnt(0)
	v_cvt_f32_f16_e32 v7, v1
	v_cmp_o_f16_e32 vcc, v1, v1
	v_bfe_u32 v10, v7, 16, 1
	v_add3_u32 v7, v7, v10, s0
	v_lshrrev_b32_e32 v7, 16, v7
	v_cndmask_b32_e32 v1, v9, v7, vcc
.LBB31_519:
	s_mov_b64 s[0:1], 0
.LBB31_520:
	s_andn2_b64 vcc, exec, s[0:1]
	s_cbranch_vccnz .LBB31_540
; %bb.521:
	v_cmp_gt_i16_e32 vcc, 2, v6
	s_cbranch_vccnz .LBB31_525
; %bb.522:
	v_cmp_gt_i16_e32 vcc, 3, v6
	s_cbranch_vccnz .LBB31_526
; %bb.523:
	v_cmp_lt_i16_e32 vcc, 3, v6
	s_cbranch_vccz .LBB31_527
; %bb.524:
	global_load_dwordx2 v[10:11], v[2:3], off
	s_movk_i32 s0, 0x7fff
	s_waitcnt vmcnt(0)
	v_xor_b32_e32 v7, v10, v11
	v_ffbh_i32_e32 v1, v11
	v_ashrrev_i32_e32 v7, 31, v7
	v_add_u32_e32 v1, -1, v1
	v_add_u32_e32 v7, 32, v7
	v_min_u32_e32 v1, v1, v7
	v_lshlrev_b64 v[10:11], v1, v[10:11]
	v_min_u32_e32 v7, 1, v10
	v_or_b32_e32 v7, v11, v7
	v_cvt_f32_i32_e32 v7, v7
	v_sub_u32_e32 v1, 32, v1
	v_ldexp_f32 v1, v7, v1
	v_bfe_u32 v7, v1, 16, 1
	v_add3_u32 v1, v1, v7, s0
	v_lshrrev_b32_e32 v1, 16, v1
	s_mov_b64 s[0:1], 0
	s_branch .LBB31_528
.LBB31_525:
	s_mov_b64 s[0:1], -1
                                        ; implicit-def: $vgpr1
	s_branch .LBB31_534
.LBB31_526:
	s_mov_b64 s[0:1], -1
                                        ; implicit-def: $vgpr1
	s_branch .LBB31_531
.LBB31_527:
	s_mov_b64 s[0:1], -1
                                        ; implicit-def: $vgpr1
.LBB31_528:
	s_andn2_b64 vcc, exec, s[0:1]
	s_cbranch_vccnz .LBB31_530
; %bb.529:
	global_load_dword v1, v[2:3], off
	s_movk_i32 s0, 0x7fff
	s_waitcnt vmcnt(0)
	v_cvt_f32_i32_e32 v1, v1
	v_bfe_u32 v7, v1, 16, 1
	v_add3_u32 v1, v1, v7, s0
	v_lshrrev_b32_e32 v1, 16, v1
.LBB31_530:
	s_mov_b64 s[0:1], 0
.LBB31_531:
	s_andn2_b64 vcc, exec, s[0:1]
	s_cbranch_vccnz .LBB31_533
; %bb.532:
	global_load_sshort v1, v[2:3], off
	s_movk_i32 s0, 0x7fff
	s_waitcnt vmcnt(0)
	v_cvt_f32_i32_e32 v1, v1
	v_bfe_u32 v7, v1, 16, 1
	v_add3_u32 v1, v1, v7, s0
	v_lshrrev_b32_e32 v1, 16, v1
.LBB31_533:
	s_mov_b64 s[0:1], 0
.LBB31_534:
	s_andn2_b64 vcc, exec, s[0:1]
	s_cbranch_vccnz .LBB31_540
; %bb.535:
	v_cmp_lt_i16_e32 vcc, 0, v6
	s_cbranch_vccz .LBB31_537
; %bb.536:
	global_load_sbyte v1, v[2:3], off
	s_movk_i32 s0, 0x7fff
	s_waitcnt vmcnt(0)
	v_cvt_f32_i32_e32 v1, v1
	v_bfe_u32 v7, v1, 16, 1
	v_add3_u32 v1, v1, v7, s0
	v_lshrrev_b32_e32 v1, 16, v1
	s_mov_b64 s[0:1], 0
	s_branch .LBB31_538
.LBB31_537:
	s_mov_b64 s[0:1], -1
                                        ; implicit-def: $vgpr1
.LBB31_538:
	s_andn2_b64 vcc, exec, s[0:1]
	s_cbranch_vccnz .LBB31_540
; %bb.539:
	global_load_ubyte v1, v[2:3], off
	s_movk_i32 s0, 0x7fff
	s_waitcnt vmcnt(0)
	v_cvt_f32_ubyte0_e32 v1, v1
	v_bfe_u32 v2, v1, 16, 1
	v_add3_u32 v1, v1, v2, s0
	v_lshrrev_b32_e32 v1, 16, v1
.LBB31_540:
	s_branch .LBB31_296
.LBB31_541:
	s_mov_b64 s[8:9], 0
	s_mov_b64 s[0:1], s[52:53]
.LBB31_542:
                                        ; implicit-def: $vgpr8
.LBB31_543:
	s_andn2_b64 s[10:11], s[52:53], exec
	s_and_b64 s[0:1], s[0:1], exec
	s_or_b64 s[60:61], s[10:11], s[0:1]
	s_andn2_b64 s[0:1], s[54:55], exec
	s_and_b64 s[2:3], s[2:3], exec
	s_or_b64 s[58:59], s[0:1], s[2:3]
	s_orn2_b64 s[0:1], s[8:9], exec
.LBB31_544:
	s_or_b64 exec, exec, s[62:63]
	s_mov_b64 s[2:3], 0
	s_mov_b64 s[8:9], 0
	;; [unrolled: 1-line block ×3, first 2 shown]
                                        ; implicit-def: $vgpr2_vgpr3
                                        ; implicit-def: $vgpr0
                                        ; implicit-def: $vgpr7
	s_and_saveexec_b64 s[62:63], s[0:1]
	s_cbranch_execz .LBB31_921
; %bb.545:
	v_cmp_gt_i32_e32 vcc, s72, v8
	s_mov_b64 s[2:3], -1
	s_mov_b64 s[66:67], s[58:59]
	s_mov_b64 s[68:69], s[60:61]
	s_and_saveexec_b64 s[64:65], vcc
	s_cbranch_execz .LBB31_820
; %bb.546:
	s_andn2_b64 vcc, exec, s[40:41]
	s_cbranch_vccnz .LBB31_552
; %bb.547:
	s_mov_b32 s66, 0
	s_andn2_b64 vcc, exec, s[50:51]
	v_mov_b32_e32 v2, 0
	v_mov_b32_e32 v0, 0
	s_cbranch_vccnz .LBB31_558
; %bb.548:
	s_add_i32 s76, s73, 1
	s_cmp_eq_u32 s74, 2
	s_cbranch_scc1 .LBB31_553
; %bb.549:
	s_and_b32 s66, s76, 28
	s_mov_b32 s67, 0
	v_mov_b32_e32 v0, 0
	s_mov_b64 s[68:69], s[34:35]
	s_mov_b64 s[70:71], s[48:49]
	v_mov_b32_e32 v3, v8
	v_mov_b32_e32 v2, 0
.LBB31_550:                             ; =>This Inner Loop Header: Depth=1
	s_load_dwordx8 s[16:23], s[68:69], 0x4
	s_load_dwordx4 s[0:3], s[68:69], 0x24
	s_load_dwordx8 s[8:15], s[70:71], 0x0
	s_add_u32 s68, s68, 48
	s_addc_u32 s69, s69, 0
	s_waitcnt vmcnt(0) lgkmcnt(0)
	v_mul_hi_u32 v1, s17, v3
	v_add_u32_e32 v1, v3, v1
	v_lshrrev_b32_e32 v1, s18, v1
	v_mul_lo_u32 v7, v1, s16
	v_mul_hi_u32 v9, s20, v1
	v_sub_u32_e32 v3, v3, v7
	v_add_u32_e32 v7, v1, v9
	v_lshrrev_b32_e32 v7, s21, v7
	v_mul_lo_u32 v10, v7, s19
	v_mul_hi_u32 v11, s23, v7
	v_sub_u32_e32 v1, v1, v10
	v_add_u32_e32 v10, v7, v11
	v_mul_lo_u32 v9, v3, s9
	v_mul_lo_u32 v3, v3, s8
	;; [unrolled: 1-line block ×4, first 2 shown]
	v_lshrrev_b32_e32 v10, s0, v10
	v_add3_u32 v0, v3, v0, v1
	v_mul_hi_u32 v3, s2, v10
	v_add_u32_e32 v3, v10, v3
	v_lshrrev_b32_e32 v3, s3, v3
	s_add_i32 s67, s67, 4
	v_add3_u32 v1, v9, v2, v11
	v_mul_lo_u32 v2, v10, s22
	v_mul_lo_u32 v9, v3, s1
	s_add_u32 s70, s70, 32
	v_sub_u32_e32 v2, v7, v2
	v_sub_u32_e32 v9, v10, v9
	s_addc_u32 s71, s71, 0
	v_mul_lo_u32 v7, v2, s12
	v_mul_lo_u32 v2, v2, s13
	;; [unrolled: 1-line block ×4, first 2 shown]
	s_cmp_eq_u32 s66, s67
	v_add3_u32 v2, v2, v1, v9
	v_add3_u32 v0, v7, v0, v10
	s_cbranch_scc0 .LBB31_550
; %bb.551:
	v_mov_b32_e32 v1, v2
	s_branch .LBB31_554
.LBB31_552:
	s_mov_b64 s[0:1], -1
                                        ; implicit-def: $vgpr2
                                        ; implicit-def: $vgpr0
	s_branch .LBB31_559
.LBB31_553:
	s_mov_b32 s67, s66
	s_waitcnt vmcnt(0)
	v_pk_mov_b32 v[0:1], s[66:67], s[66:67] op_sel:[0,1]
                                        ; implicit-def: $vgpr2
	v_mov_b32_e32 v3, v8
.LBB31_554:
	s_and_b32 s8, s76, 3
	s_cmp_eq_u32 s8, 0
	s_cbranch_scc1 .LBB31_558
; %bb.555:
	s_lshl_b32 s0, s66, 3
	s_add_u32 s0, s0, s34
	s_addc_u32 s1, s35, 0
	s_add_u32 s0, s0, 0xc4
	s_addc_u32 s1, s1, 0
	s_mul_i32 s2, s66, 12
	s_add_u32 s2, s34, s2
	s_addc_u32 s3, s35, 0
.LBB31_556:                             ; =>This Inner Loop Header: Depth=1
	s_load_dwordx2 s[10:11], s[2:3], 0x4
	s_load_dword s9, s[2:3], 0xc
	s_load_dwordx2 s[12:13], s[0:1], 0x0
	v_mov_b32_e32 v2, v1
	s_add_u32 s2, s2, 12
	s_waitcnt lgkmcnt(0)
	v_mul_hi_u32 v1, s11, v3
	v_add_u32_e32 v1, v3, v1
	v_lshrrev_b32_e32 v1, s9, v1
	s_addc_u32 s3, s3, 0
	v_mul_lo_u32 v7, v1, s10
	s_add_u32 s0, s0, 8
	v_sub_u32_e32 v7, v3, v7
	v_mov_b32_e32 v3, v1
	s_addc_u32 s1, s1, 0
	s_add_i32 s8, s8, -1
	v_mad_u64_u32 v[10:11], s[10:11], v7, s13, v[2:3]
	v_mad_u64_u32 v[0:1], s[10:11], v7, s12, v[0:1]
	s_cmp_lg_u32 s8, 0
	v_mov_b32_e32 v1, v10
	s_cbranch_scc1 .LBB31_556
; %bb.557:
	v_mov_b32_e32 v2, v1
.LBB31_558:
	s_mov_b64 s[0:1], 0
.LBB31_559:
	s_andn2_b64 vcc, exec, s[0:1]
	s_cbranch_vccnz .LBB31_562
; %bb.560:
	v_mul_hi_u32 v0, s29, v8
	v_add_u32_e32 v0, v8, v0
	s_waitcnt vmcnt(0)
	v_lshrrev_b32_e32 v1, s30, v0
	v_mul_lo_u32 v0, v1, s28
	v_sub_u32_e32 v0, v8, v0
	v_mul_lo_u32 v2, v0, s37
	s_andn2_b64 vcc, exec, s[46:47]
	v_mul_lo_u32 v0, v0, s36
	s_cbranch_vccnz .LBB31_562
; %bb.561:
	v_mul_hi_u32 v3, s44, v1
	v_add_u32_e32 v3, v1, v3
	v_lshrrev_b32_e32 v3, s45, v3
	v_mul_lo_u32 v3, v3, s31
	v_sub_u32_e32 v3, v1, v3
	v_mad_u64_u32 v[0:1], s[0:1], v3, s38, v[0:1]
	v_mad_u64_u32 v[2:3], s[0:1], v3, s39, v[2:3]
.LBB31_562:
	s_waitcnt vmcnt(0)
	v_mov_b32_e32 v1, s27
	v_add_co_u32_e32 v2, vcc, s26, v2
	v_addc_co_u32_e32 v3, vcc, 0, v1, vcc
	v_cmp_gt_i16_e32 vcc, 11, v6
	s_cbranch_vccnz .LBB31_569
; %bb.563:
	v_cmp_lt_i16_e32 vcc, 25, v6
	s_cbranch_vccz .LBB31_570
; %bb.564:
	v_cmp_lt_i16_e32 vcc, 28, v6
	s_cbranch_vccz .LBB31_571
	;; [unrolled: 3-line block ×4, first 2 shown]
; %bb.567:
	v_cmp_eq_u16_e32 vcc, 46, v6
	s_mov_b64 s[8:9], 0
	s_cbranch_vccz .LBB31_578
; %bb.568:
	global_load_dword v1, v[2:3], off
	s_mov_b64 s[0:1], -1
	s_mov_b64 s[2:3], 0
	s_branch .LBB31_579
.LBB31_569:
	s_mov_b64 s[8:9], -1
	s_mov_b64 s[0:1], 0
                                        ; implicit-def: $vgpr1
	s_mov_b64 s[2:3], s[58:59]
	s_branch .LBB31_644
.LBB31_570:
	s_mov_b64 s[8:9], -1
	s_mov_b64 s[0:1], 0
	s_mov_b64 s[2:3], s[58:59]
                                        ; implicit-def: $vgpr1
	s_branch .LBB31_608
.LBB31_571:
	s_mov_b64 s[8:9], -1
	s_mov_b64 s[0:1], 0
	s_mov_b64 s[2:3], s[58:59]
                                        ; implicit-def: $vgpr1
	s_branch .LBB31_589
.LBB31_572:
	s_mov_b64 s[8:9], -1
	s_mov_b64 s[0:1], 0
	s_mov_b64 s[2:3], s[58:59]
                                        ; implicit-def: $vgpr1
	s_branch .LBB31_584
.LBB31_573:
	s_or_saveexec_b64 s[12:13], s[12:13]
                                        ; implicit-def: $sgpr14
	s_xor_b64 exec, exec, s[12:13]
	s_cbranch_execz .LBB31_341
.LBB31_574:
	s_mov_b32 s14, 0x46000000
	v_add_f32_e64 v7, |v9|, s14
	v_and_b32_e32 v7, 0xff, v7
	v_cmp_ne_u32_e32 vcc, 0, v7
	s_andn2_b64 s[10:11], s[10:11], exec
	s_and_b64 s[16:17], vcc, exec
	s_mov_b32 s14, 0
	s_or_b64 s[10:11], s[10:11], s[16:17]
	s_or_b64 exec, exec, s[12:13]
	v_mov_b32_e32 v10, s14
	s_and_saveexec_b64 s[12:13], s[10:11]
	s_cbranch_execnz .LBB31_342
	s_branch .LBB31_343
.LBB31_575:
	s_mov_b64 s[8:9], -1
	s_mov_b64 s[0:1], 0
	s_mov_b64 s[2:3], s[58:59]
                                        ; implicit-def: $vgpr1
	s_branch .LBB31_579
.LBB31_576:
	s_or_saveexec_b64 s[12:13], s[12:13]
                                        ; implicit-def: $sgpr14
	s_xor_b64 exec, exec, s[12:13]
	s_cbranch_execz .LBB31_354
.LBB31_577:
	s_mov_b32 s14, 0x42800000
	v_add_f32_e64 v7, |v9|, s14
	v_and_b32_e32 v7, 0xff, v7
	v_cmp_ne_u32_e32 vcc, 0, v7
	s_andn2_b64 s[10:11], s[10:11], exec
	s_and_b64 s[16:17], vcc, exec
	s_mov_b32 s14, 0
	s_or_b64 s[10:11], s[10:11], s[16:17]
	s_or_b64 exec, exec, s[12:13]
	v_mov_b32_e32 v10, s14
	s_and_saveexec_b64 s[12:13], s[10:11]
	s_cbranch_execnz .LBB31_355
	s_branch .LBB31_356
.LBB31_578:
	s_mov_b64 s[2:3], -1
                                        ; implicit-def: $vgpr1
	s_mov_b64 s[0:1], 0
.LBB31_579:
	s_and_b64 vcc, exec, s[8:9]
	s_cbranch_vccz .LBB31_583
; %bb.580:
	v_cmp_eq_u16_e32 vcc, 44, v6
	s_cbranch_vccz .LBB31_582
; %bb.581:
	global_load_ubyte v1, v[2:3], off
	s_movk_i32 s2, 0xff
	v_mov_b32_e32 v7, 0x7f800001
	v_mov_b32_e32 v9, 0x400000
	;; [unrolled: 1-line block ×3, first 2 shown]
	s_mov_b64 s[0:1], -1
	s_waitcnt vmcnt(0)
	v_lshlrev_b32_e32 v11, 23, v1
	v_cmp_ne_u32_e32 vcc, s2, v1
	v_cndmask_b32_e32 v7, v7, v11, vcc
	v_cmp_ne_u32_e32 vcc, 0, v1
	v_cndmask_b32_e32 v1, v9, v7, vcc
	v_add_u32_e32 v7, 0x7fff, v1
	v_lshrrev_b32_e32 v7, 16, v7
	v_cmp_o_f32_e32 vcc, v1, v1
	v_cndmask_b32_e32 v1, v10, v7, vcc
	s_mov_b64 s[2:3], 0
	s_branch .LBB31_583
.LBB31_582:
	s_mov_b64 s[2:3], -1
                                        ; implicit-def: $vgpr1
.LBB31_583:
	s_mov_b64 s[8:9], 0
.LBB31_584:
	s_and_b64 vcc, exec, s[8:9]
	s_cbranch_vccz .LBB31_588
; %bb.585:
	v_cmp_eq_u16_e32 vcc, 29, v6
	s_cbranch_vccz .LBB31_587
; %bb.586:
	global_load_dwordx2 v[10:11], v[2:3], off
	s_movk_i32 s2, 0x7fff
	s_mov_b64 s[0:1], -1
	s_mov_b64 s[8:9], 0
	s_waitcnt vmcnt(0)
	v_ffbh_u32_e32 v1, v11
	v_min_u32_e32 v1, 32, v1
	v_lshlrev_b64 v[10:11], v1, v[10:11]
	v_min_u32_e32 v7, 1, v10
	v_or_b32_e32 v7, v11, v7
	v_cvt_f32_u32_e32 v7, v7
	v_sub_u32_e32 v1, 32, v1
	v_ldexp_f32 v1, v7, v1
	v_bfe_u32 v7, v1, 16, 1
	v_add3_u32 v1, v1, v7, s2
	v_lshrrev_b32_e32 v1, 16, v1
	s_mov_b64 s[2:3], 0
	s_branch .LBB31_589
.LBB31_587:
	s_mov_b64 s[2:3], -1
                                        ; implicit-def: $vgpr1
.LBB31_588:
	s_mov_b64 s[8:9], 0
.LBB31_589:
	s_and_b64 vcc, exec, s[8:9]
	s_cbranch_vccz .LBB31_607
; %bb.590:
	v_cmp_gt_i16_e32 vcc, 27, v6
	s_cbranch_vccnz .LBB31_593
; %bb.591:
	v_cmp_lt_i16_e32 vcc, 27, v6
	s_cbranch_vccz .LBB31_594
; %bb.592:
	global_load_dword v1, v[2:3], off
	s_movk_i32 s0, 0x7fff
	s_waitcnt vmcnt(0)
	v_cvt_f32_u32_e32 v1, v1
	v_bfe_u32 v7, v1, 16, 1
	v_add3_u32 v1, v1, v7, s0
	v_lshrrev_b32_e32 v1, 16, v1
	s_mov_b64 s[0:1], 0
	s_branch .LBB31_595
.LBB31_593:
	s_mov_b64 s[0:1], -1
                                        ; implicit-def: $vgpr1
	s_branch .LBB31_598
.LBB31_594:
	s_mov_b64 s[0:1], -1
                                        ; implicit-def: $vgpr1
.LBB31_595:
	s_andn2_b64 vcc, exec, s[0:1]
	s_cbranch_vccnz .LBB31_597
; %bb.596:
	global_load_ushort v1, v[2:3], off
	s_movk_i32 s0, 0x7fff
	s_waitcnt vmcnt(0)
	v_cvt_f32_u32_e32 v1, v1
	v_bfe_u32 v7, v1, 16, 1
	v_add3_u32 v1, v1, v7, s0
	v_lshrrev_b32_e32 v1, 16, v1
.LBB31_597:
	s_mov_b64 s[0:1], 0
.LBB31_598:
	s_andn2_b64 vcc, exec, s[0:1]
	s_cbranch_vccnz .LBB31_606
; %bb.599:
	global_load_ubyte v1, v[2:3], off
	s_movk_i32 s0, 0x7f
                                        ; implicit-def: $sgpr12
	s_waitcnt vmcnt(0)
	v_cmp_lt_i16_e32 vcc, s0, v1
	s_mov_b64 s[0:1], 0
	s_and_saveexec_b64 s[8:9], vcc
	s_xor_b64 s[8:9], exec, s[8:9]
	s_cbranch_execz .LBB31_620
; %bb.600:
	s_movk_i32 s0, 0x80
	v_cmp_eq_u16_e32 vcc, s0, v1
	s_mov_b64 s[0:1], -1
                                        ; implicit-def: $sgpr12
	s_and_saveexec_b64 s[10:11], vcc
; %bb.601:
	s_mov_b32 s12, 0x7f800001
	s_xor_b64 s[0:1], exec, -1
; %bb.602:
	s_or_b64 exec, exec, s[10:11]
	s_and_b64 s[0:1], s[0:1], exec
	s_or_saveexec_b64 s[8:9], s[8:9]
	v_mov_b32_e32 v7, s12
	s_xor_b64 exec, exec, s[8:9]
	s_cbranch_execnz .LBB31_621
.LBB31_603:
	s_or_b64 exec, exec, s[8:9]
	s_and_saveexec_b64 s[8:9], s[0:1]
	s_cbranch_execz .LBB31_605
.LBB31_604:
	v_lshlrev_b32_e32 v7, 24, v1
	v_and_b32_e32 v1, 0xffff, v1
	v_and_b32_e32 v9, 7, v1
	v_ffbh_u32_e32 v11, v9
	v_min_u32_e32 v11, 32, v11
	v_subrev_u32_e32 v12, 28, v11
	v_bfe_u32 v10, v1, 3, 4
	v_lshlrev_b32_e32 v1, v12, v1
	v_sub_u32_e32 v11, 29, v11
	v_and_b32_e32 v1, 7, v1
	v_cmp_eq_u32_e32 vcc, 0, v10
	v_cndmask_b32_e32 v10, v10, v11, vcc
	v_cndmask_b32_e32 v1, v9, v1, vcc
	v_mov_b32_e32 v9, 0x3b800000
	v_lshlrev_b32_e32 v1, 20, v1
	v_and_b32_e32 v7, 0x80000000, v7
	v_lshl_add_u32 v9, v10, 23, v9
	v_or3_b32 v7, v7, v9, v1
.LBB31_605:
	s_or_b64 exec, exec, s[8:9]
	v_bfe_u32 v1, v7, 16, 1
	s_movk_i32 s0, 0x7fff
	v_add3_u32 v1, v7, v1, s0
	v_lshrrev_b32_e32 v1, 16, v1
	v_mov_b32_e32 v9, 0x7fc0
	v_cmp_o_f32_e32 vcc, v7, v7
	v_cndmask_b32_e32 v1, v9, v1, vcc
.LBB31_606:
	s_mov_b64 s[0:1], -1
.LBB31_607:
	s_mov_b64 s[8:9], 0
.LBB31_608:
	s_and_b64 vcc, exec, s[8:9]
	s_cbranch_vccz .LBB31_643
; %bb.609:
	v_cmp_lt_i16_e32 vcc, 22, v6
	s_cbranch_vccz .LBB31_619
; %bb.610:
	v_cmp_gt_i16_e32 vcc, 24, v6
	s_cbranch_vccnz .LBB31_622
; %bb.611:
	v_cmp_lt_i16_e32 vcc, 24, v6
	s_cbranch_vccz .LBB31_623
; %bb.612:
	global_load_ubyte v1, v[2:3], off
	s_movk_i32 s0, 0x7f
                                        ; implicit-def: $sgpr12
	s_waitcnt vmcnt(0)
	v_cmp_lt_i16_e32 vcc, s0, v1
	s_mov_b64 s[0:1], 0
	s_and_saveexec_b64 s[8:9], vcc
	s_xor_b64 s[8:9], exec, s[8:9]
	s_cbranch_execz .LBB31_635
; %bb.613:
	s_movk_i32 s0, 0x80
	v_cmp_eq_u16_e32 vcc, s0, v1
	s_mov_b64 s[0:1], -1
                                        ; implicit-def: $sgpr12
	s_and_saveexec_b64 s[10:11], vcc
; %bb.614:
	s_mov_b32 s12, 0x7f800001
	s_xor_b64 s[0:1], exec, -1
; %bb.615:
	s_or_b64 exec, exec, s[10:11]
	s_and_b64 s[0:1], s[0:1], exec
	s_or_saveexec_b64 s[8:9], s[8:9]
	v_mov_b32_e32 v7, s12
	s_xor_b64 exec, exec, s[8:9]
	s_cbranch_execnz .LBB31_636
.LBB31_616:
	s_or_b64 exec, exec, s[8:9]
	s_and_saveexec_b64 s[8:9], s[0:1]
	s_cbranch_execz .LBB31_618
.LBB31_617:
	v_lshlrev_b32_e32 v7, 24, v1
	v_and_b32_e32 v1, 0xffff, v1
	v_and_b32_e32 v9, 3, v1
	v_ffbh_u32_e32 v11, v9
	v_min_u32_e32 v11, 32, v11
	v_subrev_u32_e32 v12, 29, v11
	v_bfe_u32 v10, v1, 2, 5
	v_lshlrev_b32_e32 v1, v12, v1
	v_sub_u32_e32 v11, 30, v11
	v_and_b32_e32 v1, 3, v1
	v_cmp_eq_u32_e32 vcc, 0, v10
	v_cndmask_b32_e32 v10, v10, v11, vcc
	v_cndmask_b32_e32 v1, v9, v1, vcc
	v_mov_b32_e32 v9, 0x37800000
	v_lshlrev_b32_e32 v1, 21, v1
	v_and_b32_e32 v7, 0x80000000, v7
	v_lshl_add_u32 v9, v10, 23, v9
	v_or3_b32 v7, v7, v9, v1
.LBB31_618:
	s_or_b64 exec, exec, s[8:9]
	v_bfe_u32 v1, v7, 16, 1
	s_movk_i32 s0, 0x7fff
	v_add3_u32 v1, v7, v1, s0
	v_lshrrev_b32_e32 v1, 16, v1
	v_mov_b32_e32 v9, 0x7fc0
	v_cmp_o_f32_e32 vcc, v7, v7
	v_cndmask_b32_e32 v1, v9, v1, vcc
	s_mov_b64 s[0:1], 0
	s_branch .LBB31_624
.LBB31_619:
	s_mov_b64 s[8:9], -1
                                        ; implicit-def: $vgpr1
	s_branch .LBB31_630
.LBB31_620:
	s_or_saveexec_b64 s[8:9], s[8:9]
	v_mov_b32_e32 v7, s12
	s_xor_b64 exec, exec, s[8:9]
	s_cbranch_execz .LBB31_603
.LBB31_621:
	v_cmp_ne_u16_e32 vcc, 0, v1
	s_andn2_b64 s[0:1], s[0:1], exec
	s_and_b64 s[10:11], vcc, exec
	v_mov_b32_e32 v7, 0
	s_or_b64 s[0:1], s[0:1], s[10:11]
	s_or_b64 exec, exec, s[8:9]
	s_and_saveexec_b64 s[8:9], s[0:1]
	s_cbranch_execnz .LBB31_604
	s_branch .LBB31_605
.LBB31_622:
	s_mov_b64 s[0:1], -1
                                        ; implicit-def: $vgpr1
	s_branch .LBB31_627
.LBB31_623:
	s_mov_b64 s[0:1], -1
                                        ; implicit-def: $vgpr1
.LBB31_624:
	s_and_b64 vcc, exec, s[0:1]
	s_cbranch_vccz .LBB31_626
; %bb.625:
	global_load_ubyte v1, v[2:3], off
	s_mov_b32 s0, 0x7f800000
	s_brev_b32 s1, 1
	s_movk_i32 s8, 0x7fff
	v_mov_b32_e32 v7, 0x7fc0
	s_waitcnt vmcnt(0)
	v_lshlrev_b32_e32 v1, 24, v1
	v_and_b32_e32 v9, 0x7f000000, v1
	v_ffbh_u32_e32 v10, v9
	v_min_u32_e32 v10, 32, v10
	v_sub_u32_e64 v10, v10, 4 clamp
	v_lshlrev_b32_e32 v12, v10, v9
	v_lshlrev_b32_e32 v10, 23, v10
	v_lshrrev_b32_e32 v12, 4, v12
	v_add_u32_e32 v11, 0x1000000, v9
	v_sub_u32_e32 v10, v12, v10
	v_ashrrev_i32_e32 v11, 8, v11
	v_add_u32_e32 v10, 0x3c000000, v10
	v_and_or_b32 v10, v11, s0, v10
	v_cmp_ne_u32_e32 vcc, 0, v9
	v_cndmask_b32_e32 v9, 0, v10, vcc
	v_and_or_b32 v1, v1, s1, v9
	v_bfe_u32 v9, v9, 16, 1
	v_add3_u32 v9, v1, v9, s8
	v_lshrrev_b32_e32 v9, 16, v9
	v_cmp_o_f32_e32 vcc, v1, v1
	v_cndmask_b32_e32 v1, v7, v9, vcc
.LBB31_626:
	s_mov_b64 s[0:1], 0
.LBB31_627:
	s_andn2_b64 vcc, exec, s[0:1]
	s_cbranch_vccnz .LBB31_629
; %bb.628:
	global_load_ubyte v1, v[2:3], off
	s_movk_i32 s0, 0x7f00
	s_brev_b32 s1, 16
	s_brev_b32 s8, 1
	s_movk_i32 s9, 0x7fff
	v_mov_b32_e32 v7, 0x7fc0
	s_waitcnt vmcnt(0)
	v_lshlrev_b16_e32 v9, 8, v1
	v_lshlrev_b32_e32 v1, 25, v1
	v_lshrrev_b32_e32 v10, 4, v1
	v_and_or_b32 v11, v9, s0, 0.5
	v_or_b32_e32 v10, 0x70000000, v10
	v_add_f32_e32 v11, -0.5, v11
	v_mul_f32_e32 v10, 0x7800000, v10
	v_cmp_gt_u32_e32 vcc, s1, v1
	v_bfe_i32 v9, v9, 0, 16
	v_cndmask_b32_e32 v1, v10, v11, vcc
	v_and_or_b32 v9, v9, s8, v1
	v_bfe_u32 v1, v1, 16, 1
	v_add3_u32 v1, v9, v1, s9
	v_lshrrev_b32_e32 v1, 16, v1
	v_cmp_o_f32_e32 vcc, v9, v9
	v_cndmask_b32_e32 v1, v7, v1, vcc
.LBB31_629:
	s_mov_b64 s[8:9], 0
	s_mov_b64 s[0:1], -1
.LBB31_630:
	s_andn2_b64 vcc, exec, s[8:9]
	s_cbranch_vccnz .LBB31_643
; %bb.631:
	v_cmp_lt_i16_e32 vcc, 14, v6
	s_cbranch_vccz .LBB31_634
; %bb.632:
	v_cmp_eq_u16_e32 vcc, 15, v6
	s_cbranch_vccz .LBB31_637
; %bb.633:
	global_load_ushort v1, v[2:3], off
	s_mov_b64 s[0:1], -1
	s_mov_b64 s[2:3], 0
	s_branch .LBB31_638
.LBB31_634:
	s_mov_b64 s[8:9], -1
                                        ; implicit-def: $vgpr1
	s_branch .LBB31_639
.LBB31_635:
	s_or_saveexec_b64 s[8:9], s[8:9]
	v_mov_b32_e32 v7, s12
	s_xor_b64 exec, exec, s[8:9]
	s_cbranch_execz .LBB31_616
.LBB31_636:
	v_cmp_ne_u16_e32 vcc, 0, v1
	s_andn2_b64 s[0:1], s[0:1], exec
	s_and_b64 s[10:11], vcc, exec
	v_mov_b32_e32 v7, 0
	s_or_b64 s[0:1], s[0:1], s[10:11]
	s_or_b64 exec, exec, s[8:9]
	s_and_saveexec_b64 s[8:9], s[0:1]
	s_cbranch_execnz .LBB31_617
	s_branch .LBB31_618
.LBB31_637:
	s_mov_b64 s[2:3], -1
                                        ; implicit-def: $vgpr1
.LBB31_638:
	s_mov_b64 s[8:9], 0
.LBB31_639:
	s_and_b64 vcc, exec, s[8:9]
	s_cbranch_vccz .LBB31_643
; %bb.640:
	v_cmp_eq_u16_e32 vcc, 11, v6
	s_cbranch_vccz .LBB31_642
; %bb.641:
	global_load_ubyte v1, v[2:3], off
	s_mov_b64 s[0:1], -1
	s_mov_b64 s[2:3], 0
	s_waitcnt vmcnt(0)
	v_cmp_ne_u16_e32 vcc, 0, v1
	v_cndmask_b32_e64 v1, 0, 1.0, vcc
	v_lshrrev_b32_e32 v1, 16, v1
	s_branch .LBB31_643
.LBB31_642:
	s_mov_b64 s[2:3], -1
                                        ; implicit-def: $vgpr1
.LBB31_643:
	s_mov_b64 s[8:9], 0
.LBB31_644:
	s_and_b64 vcc, exec, s[8:9]
	s_cbranch_vccz .LBB31_693
; %bb.645:
	v_cmp_gt_i16_e32 vcc, 5, v6
	s_cbranch_vccnz .LBB31_650
; %bb.646:
	v_cmp_gt_i16_e32 vcc, 8, v6
	s_cbranch_vccnz .LBB31_651
; %bb.647:
	v_cmp_gt_i16_e32 vcc, 9, v6
	s_cbranch_vccnz .LBB31_652
; %bb.648:
	v_cmp_lt_i16_e32 vcc, 9, v6
	s_cbranch_vccz .LBB31_653
; %bb.649:
	global_load_dwordx2 v[10:11], v[2:3], off
	s_movk_i32 s0, 0x7fff
	s_waitcnt vmcnt(1)
	v_mov_b32_e32 v1, 0x7fc0
	s_waitcnt vmcnt(0)
	v_cvt_f32_f64_e32 v7, v[10:11]
	v_bfe_u32 v9, v7, 16, 1
	v_add3_u32 v9, v7, v9, s0
	v_lshrrev_b32_e32 v9, 16, v9
	v_cmp_o_f32_e32 vcc, v7, v7
	v_cndmask_b32_e32 v1, v1, v9, vcc
	s_mov_b64 s[0:1], 0
	s_branch .LBB31_654
.LBB31_650:
	s_mov_b64 s[0:1], -1
                                        ; implicit-def: $vgpr1
	s_branch .LBB31_672
.LBB31_651:
	s_mov_b64 s[0:1], -1
                                        ; implicit-def: $vgpr1
	s_branch .LBB31_660
.LBB31_652:
	s_mov_b64 s[0:1], -1
                                        ; implicit-def: $vgpr1
	s_branch .LBB31_657
.LBB31_653:
	s_mov_b64 s[0:1], -1
                                        ; implicit-def: $vgpr1
.LBB31_654:
	s_andn2_b64 vcc, exec, s[0:1]
	s_cbranch_vccnz .LBB31_656
; %bb.655:
	global_load_dword v1, v[2:3], off
	s_movk_i32 s0, 0x7fff
	v_mov_b32_e32 v7, 0x7fc0
	s_waitcnt vmcnt(0)
	v_bfe_u32 v9, v1, 16, 1
	v_add3_u32 v9, v1, v9, s0
	v_lshrrev_b32_e32 v9, 16, v9
	v_cmp_o_f32_e32 vcc, v1, v1
	v_cndmask_b32_e32 v1, v7, v9, vcc
.LBB31_656:
	s_mov_b64 s[0:1], 0
.LBB31_657:
	s_andn2_b64 vcc, exec, s[0:1]
	s_cbranch_vccnz .LBB31_659
; %bb.658:
	global_load_dword v1, v[2:3], off
	s_movk_i32 s0, 0x7fff
	v_mov_b32_e32 v9, 0x7fc0
	s_waitcnt vmcnt(0)
	v_cvt_f32_f16_e32 v7, v1
	v_cmp_o_f16_e32 vcc, v1, v1
	v_bfe_u32 v10, v7, 16, 1
	v_add3_u32 v7, v7, v10, s0
	v_lshrrev_b32_e32 v7, 16, v7
	v_cndmask_b32_e32 v1, v9, v7, vcc
.LBB31_659:
	s_mov_b64 s[0:1], 0
.LBB31_660:
	s_andn2_b64 vcc, exec, s[0:1]
	s_cbranch_vccnz .LBB31_671
; %bb.661:
	v_cmp_gt_i16_e32 vcc, 6, v6
	s_cbranch_vccnz .LBB31_664
; %bb.662:
	v_cmp_lt_i16_e32 vcc, 6, v6
	s_cbranch_vccz .LBB31_665
; %bb.663:
	global_load_dwordx2 v[10:11], v[2:3], off
	s_movk_i32 s0, 0x7fff
	s_waitcnt vmcnt(1)
	v_mov_b32_e32 v1, 0x7fc0
	s_waitcnt vmcnt(0)
	v_cvt_f32_f64_e32 v7, v[10:11]
	v_bfe_u32 v9, v7, 16, 1
	v_add3_u32 v9, v7, v9, s0
	v_lshrrev_b32_e32 v9, 16, v9
	v_cmp_o_f32_e32 vcc, v7, v7
	v_cndmask_b32_e32 v1, v1, v9, vcc
	s_mov_b64 s[0:1], 0
	s_branch .LBB31_666
.LBB31_664:
	s_mov_b64 s[0:1], -1
                                        ; implicit-def: $vgpr1
	s_branch .LBB31_669
.LBB31_665:
	s_mov_b64 s[0:1], -1
                                        ; implicit-def: $vgpr1
.LBB31_666:
	s_andn2_b64 vcc, exec, s[0:1]
	s_cbranch_vccnz .LBB31_668
; %bb.667:
	global_load_dword v1, v[2:3], off
	s_movk_i32 s0, 0x7fff
	v_mov_b32_e32 v7, 0x7fc0
	s_waitcnt vmcnt(0)
	v_bfe_u32 v9, v1, 16, 1
	v_add3_u32 v9, v1, v9, s0
	v_lshrrev_b32_e32 v9, 16, v9
	v_cmp_o_f32_e32 vcc, v1, v1
	v_cndmask_b32_e32 v1, v7, v9, vcc
.LBB31_668:
	s_mov_b64 s[0:1], 0
.LBB31_669:
	s_andn2_b64 vcc, exec, s[0:1]
	s_cbranch_vccnz .LBB31_671
; %bb.670:
	global_load_ushort v1, v[2:3], off
	s_movk_i32 s0, 0x7fff
	v_mov_b32_e32 v9, 0x7fc0
	s_waitcnt vmcnt(0)
	v_cvt_f32_f16_e32 v7, v1
	v_cmp_o_f16_e32 vcc, v1, v1
	v_bfe_u32 v10, v7, 16, 1
	v_add3_u32 v7, v7, v10, s0
	v_lshrrev_b32_e32 v7, 16, v7
	v_cndmask_b32_e32 v1, v9, v7, vcc
.LBB31_671:
	s_mov_b64 s[0:1], 0
.LBB31_672:
	s_andn2_b64 vcc, exec, s[0:1]
	s_cbranch_vccnz .LBB31_692
; %bb.673:
	v_cmp_gt_i16_e32 vcc, 2, v6
	s_cbranch_vccnz .LBB31_677
; %bb.674:
	v_cmp_gt_i16_e32 vcc, 3, v6
	s_cbranch_vccnz .LBB31_678
; %bb.675:
	v_cmp_lt_i16_e32 vcc, 3, v6
	s_cbranch_vccz .LBB31_679
; %bb.676:
	global_load_dwordx2 v[10:11], v[2:3], off
	s_movk_i32 s0, 0x7fff
	s_waitcnt vmcnt(0)
	v_xor_b32_e32 v7, v10, v11
	v_ffbh_i32_e32 v1, v11
	v_ashrrev_i32_e32 v7, 31, v7
	v_add_u32_e32 v1, -1, v1
	v_add_u32_e32 v7, 32, v7
	v_min_u32_e32 v1, v1, v7
	v_lshlrev_b64 v[10:11], v1, v[10:11]
	v_min_u32_e32 v7, 1, v10
	v_or_b32_e32 v7, v11, v7
	v_cvt_f32_i32_e32 v7, v7
	v_sub_u32_e32 v1, 32, v1
	v_ldexp_f32 v1, v7, v1
	v_bfe_u32 v7, v1, 16, 1
	v_add3_u32 v1, v1, v7, s0
	v_lshrrev_b32_e32 v1, 16, v1
	s_mov_b64 s[0:1], 0
	s_branch .LBB31_680
.LBB31_677:
	s_mov_b64 s[0:1], -1
                                        ; implicit-def: $vgpr1
	s_branch .LBB31_686
.LBB31_678:
	s_mov_b64 s[0:1], -1
                                        ; implicit-def: $vgpr1
	s_branch .LBB31_683
.LBB31_679:
	s_mov_b64 s[0:1], -1
                                        ; implicit-def: $vgpr1
.LBB31_680:
	s_andn2_b64 vcc, exec, s[0:1]
	s_cbranch_vccnz .LBB31_682
; %bb.681:
	global_load_dword v1, v[2:3], off
	s_movk_i32 s0, 0x7fff
	s_waitcnt vmcnt(0)
	v_cvt_f32_i32_e32 v1, v1
	v_bfe_u32 v7, v1, 16, 1
	v_add3_u32 v1, v1, v7, s0
	v_lshrrev_b32_e32 v1, 16, v1
.LBB31_682:
	s_mov_b64 s[0:1], 0
.LBB31_683:
	s_andn2_b64 vcc, exec, s[0:1]
	s_cbranch_vccnz .LBB31_685
; %bb.684:
	global_load_sshort v1, v[2:3], off
	s_movk_i32 s0, 0x7fff
	s_waitcnt vmcnt(0)
	v_cvt_f32_i32_e32 v1, v1
	v_bfe_u32 v7, v1, 16, 1
	v_add3_u32 v1, v1, v7, s0
	v_lshrrev_b32_e32 v1, 16, v1
.LBB31_685:
	s_mov_b64 s[0:1], 0
.LBB31_686:
	s_andn2_b64 vcc, exec, s[0:1]
	s_cbranch_vccnz .LBB31_692
; %bb.687:
	v_cmp_lt_i16_e32 vcc, 0, v6
	s_cbranch_vccz .LBB31_689
; %bb.688:
	global_load_sbyte v1, v[2:3], off
	s_movk_i32 s0, 0x7fff
	s_waitcnt vmcnt(0)
	v_cvt_f32_i32_e32 v1, v1
	v_bfe_u32 v7, v1, 16, 1
	v_add3_u32 v1, v1, v7, s0
	v_lshrrev_b32_e32 v1, 16, v1
	s_mov_b64 s[0:1], 0
	s_branch .LBB31_690
.LBB31_689:
	s_mov_b64 s[0:1], -1
                                        ; implicit-def: $vgpr1
.LBB31_690:
	s_andn2_b64 vcc, exec, s[0:1]
	s_cbranch_vccnz .LBB31_692
; %bb.691:
	global_load_ubyte v1, v[2:3], off
	s_movk_i32 s0, 0x7fff
	s_waitcnt vmcnt(0)
	v_cvt_f32_ubyte0_e32 v1, v1
	v_bfe_u32 v2, v1, 16, 1
	v_add3_u32 v1, v1, v2, s0
	v_lshrrev_b32_e32 v1, 16, v1
.LBB31_692:
	s_mov_b64 s[0:1], -1
.LBB31_693:
	s_andn2_b64 vcc, exec, s[0:1]
	s_cbranch_vccnz .LBB31_701
; %bb.694:
	s_waitcnt vmcnt(0)
	v_and_b32_e32 v1, 0xffff8000, v1
	v_or_b32_e32 v2, v1, v5
	v_mov_b32_e32 v1, s25
	v_add_co_u32_e32 v0, vcc, s24, v0
	v_mov_b32_e32 v3, 11
	v_addc_co_u32_e32 v1, vcc, 0, v1, vcc
	v_cmp_lt_i16_sdwa s[0:1], s75, v3 src0_sel:BYTE_0 src1_sel:DWORD
	s_and_b64 vcc, exec, s[0:1]
	s_cbranch_vccnz .LBB31_702
; %bb.695:
	v_mov_b32_e32 v3, 25
	v_cmp_gt_i16_sdwa s[0:1], s75, v3 src0_sel:BYTE_0 src1_sel:DWORD
	s_and_b64 vcc, exec, s[0:1]
	s_cbranch_vccz .LBB31_703
; %bb.696:
	v_mov_b32_e32 v3, 28
	v_cmp_gt_i16_sdwa s[0:1], s75, v3 src0_sel:BYTE_0 src1_sel:DWORD
	s_and_b64 vcc, exec, s[0:1]
	s_cbranch_vccz .LBB31_704
	;; [unrolled: 5-line block ×4, first 2 shown]
; %bb.699:
	v_mov_b32_e32 v3, 46
	v_cmp_eq_u16_sdwa s[8:9], s75, v3 src0_sel:BYTE_0 src1_sel:DWORD
	s_mov_b64 s[10:11], 0
	s_mov_b64 s[0:1], -1
	s_and_b64 vcc, exec, s[8:9]
	s_mov_b64 s[8:9], 0
	s_cbranch_vccz .LBB31_707
; %bb.700:
	v_and_b32_e32 v3, 0xffff, v2
	global_store_dword v[0:1], v3, off
	s_mov_b64 s[8:9], -1
	s_mov_b64 s[0:1], 0
	s_branch .LBB31_707
.LBB31_701:
	s_mov_b64 s[8:9], 0
	s_mov_b64 s[0:1], s[60:61]
	s_branch .LBB31_818
.LBB31_702:
	s_mov_b64 s[10:11], -1
	s_mov_b64 s[8:9], 0
	s_mov_b64 s[0:1], s[60:61]
	s_branch .LBB31_776
.LBB31_703:
	s_mov_b64 s[10:11], -1
	s_mov_b64 s[8:9], 0
	s_mov_b64 s[0:1], s[60:61]
	s_branch .LBB31_734
.LBB31_704:
	s_mov_b64 s[10:11], -1
	s_mov_b64 s[8:9], 0
	s_mov_b64 s[0:1], s[60:61]
	s_branch .LBB31_717
.LBB31_705:
	s_mov_b64 s[10:11], -1
	s_mov_b64 s[8:9], 0
	s_mov_b64 s[0:1], s[60:61]
	s_branch .LBB31_713
.LBB31_706:
	s_mov_b64 s[10:11], -1
	s_mov_b64 s[8:9], 0
	s_mov_b64 s[0:1], s[60:61]
.LBB31_707:
	s_and_b64 vcc, exec, s[10:11]
	s_cbranch_vccz .LBB31_712
; %bb.708:
	v_mov_b32_e32 v3, 44
	v_cmp_eq_u16_sdwa s[10:11], s75, v3 src0_sel:BYTE_0 src1_sel:DWORD
	s_mov_b64 s[0:1], -1
	s_and_b64 vcc, exec, s[10:11]
	s_cbranch_vccz .LBB31_712
; %bb.709:
	v_and_b32_e32 v7, 0xffff, v2
	v_bfe_u32 v3, v7, 7, 8
	s_movk_i32 s0, 0xff
	v_cmp_ne_u32_e32 vcc, s0, v3
	v_mov_b32_e32 v9, 0xff
	s_and_saveexec_b64 s[8:9], vcc
; %bb.710:
	v_lshlrev_b32_e32 v10, 16, v7
	s_mov_b32 s0, 0x3f0000
	v_lshrrev_b32_e32 v9, 7, v7
	v_and_b32_e32 v7, 64, v7
	v_and_or_b32 v3, v10, s0, v3
	v_cmp_ne_u32_e32 vcc, 0, v7
	v_cmp_ne_u32_e64 s[0:1], 0, v3
	s_and_b64 s[0:1], vcc, s[0:1]
	v_cndmask_b32_e64 v3, 0, 1, s[0:1]
	v_add_u32_e32 v9, v9, v3
; %bb.711:
	s_or_b64 exec, exec, s[8:9]
	s_mov_b64 s[8:9], -1
	s_mov_b64 s[0:1], 0
	global_store_byte v[0:1], v9, off
.LBB31_712:
	s_mov_b64 s[10:11], 0
.LBB31_713:
	s_and_b64 vcc, exec, s[10:11]
	s_cbranch_vccz .LBB31_716
; %bb.714:
	v_mov_b32_e32 v3, 29
	v_cmp_eq_u16_sdwa s[10:11], s75, v3 src0_sel:BYTE_0 src1_sel:DWORD
	s_mov_b64 s[0:1], -1
	s_and_b64 vcc, exec, s[10:11]
	s_cbranch_vccz .LBB31_716
; %bb.715:
	v_lshlrev_b32_e32 v3, 16, v2
	v_trunc_f32_e32 v3, v3
	v_mul_f32_e32 v7, 0x2f800000, v3
	v_floor_f32_e32 v7, v7
	v_fmac_f32_e32 v3, 0xcf800000, v7
	v_cvt_u32_f32_e32 v11, v7
	v_cvt_u32_f32_e32 v10, v3
	s_mov_b64 s[8:9], -1
	s_mov_b64 s[0:1], 0
	s_mov_b64 s[10:11], 0
	global_store_dwordx2 v[0:1], v[10:11], off
	s_branch .LBB31_717
.LBB31_716:
	s_mov_b64 s[10:11], 0
.LBB31_717:
	s_and_b64 vcc, exec, s[10:11]
	s_cbranch_vccz .LBB31_733
; %bb.718:
	v_mov_b32_e32 v3, 27
	v_cmp_lt_i16_sdwa s[10:11], s75, v3 src0_sel:BYTE_0 src1_sel:DWORD
	s_mov_b64 s[8:9], -1
	s_and_b64 vcc, exec, s[10:11]
	s_cbranch_vccnz .LBB31_724
; %bb.719:
	v_cmp_gt_i16_sdwa s[10:11], s75, v3 src0_sel:BYTE_0 src1_sel:DWORD
	s_and_b64 vcc, exec, s[10:11]
	s_cbranch_vccz .LBB31_721
; %bb.720:
	v_lshlrev_b32_e32 v3, 16, v2
	v_cvt_u32_f32_e32 v3, v3
	s_mov_b64 s[8:9], 0
	global_store_dword v[0:1], v3, off
.LBB31_721:
	s_andn2_b64 vcc, exec, s[8:9]
	s_cbranch_vccnz .LBB31_723
; %bb.722:
	v_lshlrev_b32_e32 v3, 16, v2
	v_cvt_u32_f32_e32 v3, v3
	global_store_short v[0:1], v3, off
.LBB31_723:
	s_mov_b64 s[8:9], 0
.LBB31_724:
	s_andn2_b64 vcc, exec, s[8:9]
	s_cbranch_vccnz .LBB31_732
; %bb.725:
	v_lshlrev_b32_e32 v9, 16, v2
	v_and_b32_e32 v7, 0x7fffffff, v9
	s_mov_b32 s8, 0x43800000
	v_cmp_gt_u32_e32 vcc, s8, v7
	v_mov_b32_e32 v10, 0x80
	s_and_saveexec_b64 s[8:9], vcc
	s_cbranch_execz .LBB31_731
; %bb.726:
	s_mov_b32 s10, 0x3bffffff
	v_and_b32_e32 v3, 0xffff, v2
	v_cmp_lt_u32_e32 vcc, s10, v7
	s_mov_b64 s[10:11], 0
                                        ; implicit-def: $vgpr7
	s_and_saveexec_b64 s[12:13], vcc
	s_xor_b64 s[12:13], exec, s[12:13]
	s_cbranch_execz .LBB31_849
; %bb.727:
	v_bfe_u32 v7, v3, 4, 1
	s_mov_b32 s14, 0x487ffff
	v_add3_u32 v7, v9, v7, s14
	s_mov_b64 s[10:11], exec
	v_lshrrev_b32_e32 v7, 20, v7
                                        ; implicit-def: $vgpr9
	s_or_saveexec_b64 s[12:13], s[12:13]
                                        ; implicit-def: $sgpr14
	s_xor_b64 exec, exec, s[12:13]
	s_cbranch_execnz .LBB31_850
.LBB31_728:
	s_or_b64 exec, exec, s[12:13]
	v_mov_b32_e32 v10, s14
	s_and_saveexec_b64 s[12:13], s[10:11]
.LBB31_729:
	v_lshrrev_b32_e32 v3, 8, v3
	s_movk_i32 s10, 0x80
	v_and_or_b32 v10, v3, s10, v7
.LBB31_730:
	s_or_b64 exec, exec, s[12:13]
.LBB31_731:
	s_or_b64 exec, exec, s[8:9]
	global_store_byte v[0:1], v10, off
.LBB31_732:
	s_mov_b64 s[8:9], -1
.LBB31_733:
	s_mov_b64 s[10:11], 0
.LBB31_734:
	s_and_b64 vcc, exec, s[10:11]
	s_cbranch_vccz .LBB31_775
; %bb.735:
	v_mov_b32_e32 v3, 22
	v_cmp_gt_i16_sdwa s[12:13], s75, v3 src0_sel:BYTE_0 src1_sel:DWORD
	s_mov_b64 s[10:11], -1
	s_and_b64 vcc, exec, s[12:13]
	s_cbranch_vccz .LBB31_767
; %bb.736:
	v_mov_b32_e32 v3, 24
	v_cmp_lt_i16_sdwa s[10:11], s75, v3 src0_sel:BYTE_0 src1_sel:DWORD
	s_mov_b64 s[8:9], -1
	s_and_b64 vcc, exec, s[10:11]
	s_cbranch_vccnz .LBB31_756
; %bb.737:
	v_cmp_gt_i16_sdwa s[10:11], s75, v3 src0_sel:BYTE_0 src1_sel:DWORD
	s_and_b64 vcc, exec, s[10:11]
	s_cbranch_vccz .LBB31_745
; %bb.738:
	v_lshlrev_b32_e32 v9, 16, v2
	v_and_b32_e32 v7, 0x7fffffff, v9
	s_mov_b32 s8, 0x47800000
	v_cmp_gt_u32_e32 vcc, s8, v7
	v_mov_b32_e32 v10, 0x80
	s_and_saveexec_b64 s[8:9], vcc
	s_cbranch_execz .LBB31_744
; %bb.739:
	s_mov_b32 s10, 0x37ffffff
	v_and_b32_e32 v3, 0xffff, v2
	v_cmp_lt_u32_e32 vcc, s10, v7
	s_mov_b64 s[10:11], 0
                                        ; implicit-def: $vgpr7
	s_and_saveexec_b64 s[12:13], vcc
	s_xor_b64 s[12:13], exec, s[12:13]
	s_cbranch_execz .LBB31_852
; %bb.740:
	v_bfe_u32 v7, v3, 5, 1
	s_mov_b32 s14, 0x88fffff
	v_add3_u32 v7, v9, v7, s14
	s_mov_b64 s[10:11], exec
	v_lshrrev_b32_e32 v7, 21, v7
                                        ; implicit-def: $vgpr9
	s_or_saveexec_b64 s[12:13], s[12:13]
                                        ; implicit-def: $sgpr14
	s_xor_b64 exec, exec, s[12:13]
	s_cbranch_execnz .LBB31_853
.LBB31_741:
	s_or_b64 exec, exec, s[12:13]
	v_mov_b32_e32 v10, s14
	s_and_saveexec_b64 s[12:13], s[10:11]
.LBB31_742:
	v_lshrrev_b32_e32 v3, 8, v3
	s_movk_i32 s10, 0x80
	v_and_or_b32 v10, v3, s10, v7
.LBB31_743:
	s_or_b64 exec, exec, s[12:13]
.LBB31_744:
	s_or_b64 exec, exec, s[8:9]
	s_mov_b64 s[8:9], 0
	global_store_byte v[0:1], v10, off
.LBB31_745:
	s_and_b64 vcc, exec, s[8:9]
	s_cbranch_vccz .LBB31_755
; %bb.746:
	v_lshlrev_b32_e32 v9, 16, v2
	v_and_b32_e32 v10, 0x7fffffff, v9
	s_mov_b32 s8, 0x43f00000
	v_and_b32_e32 v3, 0xffff, v2
	v_cmp_gt_u32_e32 vcc, s8, v10
                                        ; implicit-def: $vgpr7
	s_and_saveexec_b64 s[8:9], vcc
	s_xor_b64 s[8:9], exec, s[8:9]
	s_cbranch_execz .LBB31_752
; %bb.747:
	s_mov_b32 s10, 0x3c7fffff
	v_cmp_lt_u32_e32 vcc, s10, v10
                                        ; implicit-def: $vgpr7
	s_and_saveexec_b64 s[10:11], vcc
	s_xor_b64 s[10:11], exec, s[10:11]
; %bb.748:
	v_bfe_u32 v7, v3, 4, 1
	s_mov_b32 s12, 0x407ffff
	v_add3_u32 v7, v9, v7, s12
	v_lshrrev_b32_e32 v9, 20, v7
	v_and_b32_e32 v7, 0xff00000, v7
	s_mov_b32 s12, 0x7f00000
	v_mov_b32_e32 v10, 0x7e
	v_cmp_ne_u32_e32 vcc, s12, v7
	v_cndmask_b32_e32 v7, v10, v9, vcc
                                        ; implicit-def: $vgpr9
; %bb.749:
	s_andn2_saveexec_b64 s[10:11], s[10:11]
; %bb.750:
	s_mov_b32 s12, 0x46800000
	v_add_f32_e64 v7, |v9|, s12
; %bb.751:
	s_or_b64 exec, exec, s[10:11]
                                        ; implicit-def: $vgpr10
.LBB31_752:
	s_andn2_saveexec_b64 s[8:9], s[8:9]
; %bb.753:
	s_mov_b32 s10, 0x7f800000
	v_mov_b32_e32 v7, 0x7e
	v_mov_b32_e32 v9, 0x7f
	v_cmp_lt_u32_e32 vcc, s10, v10
	v_cndmask_b32_e32 v7, v7, v9, vcc
; %bb.754:
	s_or_b64 exec, exec, s[8:9]
	v_lshrrev_b32_e32 v3, 8, v3
	s_movk_i32 s8, 0x80
	v_and_or_b32 v3, v3, s8, v7
	global_store_byte v[0:1], v3, off
.LBB31_755:
	s_mov_b64 s[8:9], 0
.LBB31_756:
	s_andn2_b64 vcc, exec, s[8:9]
	s_cbranch_vccnz .LBB31_766
; %bb.757:
	v_lshlrev_b32_e32 v9, 16, v2
	v_and_b32_e32 v10, 0x7fffffff, v9
	s_mov_b32 s8, 0x47800000
	v_and_b32_e32 v3, 0xffff, v2
	v_cmp_gt_u32_e32 vcc, s8, v10
                                        ; implicit-def: $vgpr7
	s_and_saveexec_b64 s[8:9], vcc
	s_xor_b64 s[8:9], exec, s[8:9]
	s_cbranch_execz .LBB31_763
; %bb.758:
	s_mov_b32 s10, 0x387fffff
	v_cmp_lt_u32_e32 vcc, s10, v10
                                        ; implicit-def: $vgpr7
	s_and_saveexec_b64 s[10:11], vcc
	s_xor_b64 s[10:11], exec, s[10:11]
; %bb.759:
	v_bfe_u32 v7, v3, 5, 1
	s_mov_b32 s12, 0x80fffff
	v_add3_u32 v7, v9, v7, s12
	v_lshrrev_b32_e32 v7, 21, v7
                                        ; implicit-def: $vgpr9
; %bb.760:
	s_andn2_saveexec_b64 s[10:11], s[10:11]
; %bb.761:
	s_mov_b32 s12, 0x43000000
	v_add_f32_e64 v7, |v9|, s12
; %bb.762:
	s_or_b64 exec, exec, s[10:11]
                                        ; implicit-def: $vgpr10
.LBB31_763:
	s_andn2_saveexec_b64 s[8:9], s[8:9]
; %bb.764:
	s_mov_b32 s10, 0x7f800000
	v_mov_b32_e32 v7, 0x7c
	v_mov_b32_e32 v9, 0x7f
	v_cmp_lt_u32_e32 vcc, s10, v10
	v_cndmask_b32_e32 v7, v7, v9, vcc
; %bb.765:
	s_or_b64 exec, exec, s[8:9]
	v_lshrrev_b32_e32 v3, 8, v3
	s_movk_i32 s8, 0x80
	v_and_or_b32 v3, v3, s8, v7
	global_store_byte v[0:1], v3, off
.LBB31_766:
	s_mov_b64 s[10:11], 0
	s_mov_b64 s[8:9], -1
.LBB31_767:
	s_andn2_b64 vcc, exec, s[10:11]
	s_cbranch_vccnz .LBB31_775
; %bb.768:
	v_mov_b32_e32 v3, 14
	v_cmp_gt_i16_sdwa s[12:13], s75, v3 src0_sel:BYTE_0 src1_sel:DWORD
	s_mov_b64 s[10:11], -1
	s_and_b64 vcc, exec, s[12:13]
	s_cbranch_vccz .LBB31_772
; %bb.769:
	v_mov_b32_e32 v3, 15
	v_cmp_eq_u16_sdwa s[10:11], s75, v3 src0_sel:BYTE_0 src1_sel:DWORD
	s_mov_b64 s[0:1], -1
	s_and_b64 vcc, exec, s[10:11]
	s_cbranch_vccz .LBB31_771
; %bb.770:
	global_store_short v[0:1], v2, off
	s_mov_b64 s[8:9], -1
	s_mov_b64 s[0:1], 0
.LBB31_771:
	s_mov_b64 s[10:11], 0
.LBB31_772:
	s_and_b64 vcc, exec, s[10:11]
	s_cbranch_vccz .LBB31_775
; %bb.773:
	v_mov_b32_e32 v3, 11
	v_cmp_eq_u16_sdwa s[10:11], s75, v3 src0_sel:BYTE_0 src1_sel:DWORD
	s_mov_b64 s[0:1], -1
	s_and_b64 vcc, exec, s[10:11]
	s_cbranch_vccz .LBB31_775
; %bb.774:
	s_mov_b64 s[8:9], -1
	s_mov_b64 s[0:1], 0
	global_store_byte v[0:1], v4, off
.LBB31_775:
	s_mov_b64 s[10:11], 0
.LBB31_776:
	s_and_b64 vcc, exec, s[10:11]
	s_cbranch_vccz .LBB31_815
; %bb.777:
	v_mov_b32_e32 v3, 5
	v_cmp_lt_i16_sdwa s[10:11], s75, v3 src0_sel:BYTE_0 src1_sel:DWORD
	s_mov_b64 s[8:9], -1
	s_and_b64 vcc, exec, s[10:11]
	s_cbranch_vccnz .LBB31_798
; %bb.778:
	v_mov_b32_e32 v3, 8
	v_cmp_lt_i16_sdwa s[10:11], s75, v3 src0_sel:BYTE_0 src1_sel:DWORD
	s_and_b64 vcc, exec, s[10:11]
	s_cbranch_vccnz .LBB31_788
; %bb.779:
	v_mov_b32_e32 v3, 9
	v_cmp_lt_i16_sdwa s[10:11], s75, v3 src0_sel:BYTE_0 src1_sel:DWORD
	s_and_b64 vcc, exec, s[10:11]
	s_cbranch_vccnz .LBB31_785
; %bb.780:
	v_cmp_gt_i16_sdwa s[10:11], s75, v3 src0_sel:BYTE_0 src1_sel:DWORD
	s_and_b64 vcc, exec, s[10:11]
	s_cbranch_vccz .LBB31_782
; %bb.781:
	v_lshlrev_b32_e32 v3, 16, v2
	v_mov_b32_e32 v12, 0
	v_cvt_f64_f32_e32 v[10:11], v3
	v_mov_b32_e32 v13, v12
	s_mov_b64 s[8:9], 0
	global_store_dwordx4 v[0:1], v[10:13], off
.LBB31_782:
	s_andn2_b64 vcc, exec, s[8:9]
	s_cbranch_vccnz .LBB31_784
; %bb.783:
	v_lshlrev_b32_e32 v10, 16, v2
	v_mov_b32_e32 v11, 0
	global_store_dwordx2 v[0:1], v[10:11], off
.LBB31_784:
	s_mov_b64 s[8:9], 0
.LBB31_785:
	s_andn2_b64 vcc, exec, s[8:9]
	s_cbranch_vccnz .LBB31_787
; %bb.786:
	v_lshlrev_b32_e32 v3, 16, v2
	v_cvt_f16_f32_e32 v3, v3
	global_store_dword v[0:1], v3, off
.LBB31_787:
	s_mov_b64 s[8:9], 0
.LBB31_788:
	s_andn2_b64 vcc, exec, s[8:9]
	s_cbranch_vccnz .LBB31_797
; %bb.789:
	v_mov_b32_e32 v3, 6
	v_cmp_lt_i16_sdwa s[10:11], s75, v3 src0_sel:BYTE_0 src1_sel:DWORD
	s_mov_b64 s[8:9], -1
	s_and_b64 vcc, exec, s[10:11]
	s_cbranch_vccnz .LBB31_795
; %bb.790:
	v_cmp_gt_i16_sdwa s[10:11], s75, v3 src0_sel:BYTE_0 src1_sel:DWORD
	s_and_b64 vcc, exec, s[10:11]
	s_cbranch_vccz .LBB31_792
; %bb.791:
	v_lshlrev_b32_e32 v3, 16, v2
	v_cvt_f64_f32_e32 v[10:11], v3
	s_mov_b64 s[8:9], 0
	global_store_dwordx2 v[0:1], v[10:11], off
.LBB31_792:
	s_andn2_b64 vcc, exec, s[8:9]
	s_cbranch_vccnz .LBB31_794
; %bb.793:
	v_lshlrev_b32_e32 v3, 16, v2
	global_store_dword v[0:1], v3, off
.LBB31_794:
	s_mov_b64 s[8:9], 0
.LBB31_795:
	s_andn2_b64 vcc, exec, s[8:9]
	s_cbranch_vccnz .LBB31_797
; %bb.796:
	v_lshlrev_b32_e32 v3, 16, v2
	v_cvt_f16_f32_e32 v3, v3
	global_store_short v[0:1], v3, off
.LBB31_797:
	s_mov_b64 s[8:9], 0
.LBB31_798:
	s_andn2_b64 vcc, exec, s[8:9]
	s_cbranch_vccnz .LBB31_814
; %bb.799:
	v_mov_b32_e32 v3, 2
	v_cmp_lt_i16_sdwa s[10:11], s75, v3 src0_sel:BYTE_0 src1_sel:DWORD
	s_mov_b64 s[8:9], -1
	s_and_b64 vcc, exec, s[10:11]
	s_cbranch_vccnz .LBB31_809
; %bb.800:
	v_mov_b32_e32 v3, 3
	v_cmp_lt_i16_sdwa s[10:11], s75, v3 src0_sel:BYTE_0 src1_sel:DWORD
	s_and_b64 vcc, exec, s[10:11]
	s_cbranch_vccnz .LBB31_806
; %bb.801:
	v_cmp_gt_i16_sdwa s[10:11], s75, v3 src0_sel:BYTE_0 src1_sel:DWORD
	s_and_b64 vcc, exec, s[10:11]
	s_cbranch_vccz .LBB31_803
; %bb.802:
	v_lshlrev_b32_e32 v3, 16, v2
	v_trunc_f32_e32 v3, v3
	s_mov_b32 s8, 0x2f800000
	v_mul_f32_e64 v7, |v3|, s8
	v_floor_f32_e32 v7, v7
	s_mov_b32 s8, 0xcf800000
	v_cvt_u32_f32_e32 v9, v7
	v_fma_f32 v7, v7, s8, |v3|
	v_cvt_u32_f32_e32 v7, v7
	v_ashrrev_i32_e32 v3, 31, v3
	v_xor_b32_e32 v9, v9, v3
	s_mov_b64 s[8:9], 0
	v_xor_b32_e32 v7, v7, v3
	v_sub_co_u32_e32 v10, vcc, v7, v3
	v_subb_co_u32_e32 v11, vcc, v9, v3, vcc
	global_store_dwordx2 v[0:1], v[10:11], off
.LBB31_803:
	s_andn2_b64 vcc, exec, s[8:9]
	s_cbranch_vccnz .LBB31_805
; %bb.804:
	v_lshlrev_b32_e32 v3, 16, v2
	v_cvt_i32_f32_e32 v3, v3
	global_store_dword v[0:1], v3, off
.LBB31_805:
	s_mov_b64 s[8:9], 0
.LBB31_806:
	s_andn2_b64 vcc, exec, s[8:9]
	s_cbranch_vccnz .LBB31_808
; %bb.807:
	v_lshlrev_b32_e32 v3, 16, v2
	v_cvt_i32_f32_e32 v3, v3
	global_store_short v[0:1], v3, off
.LBB31_808:
	s_mov_b64 s[8:9], 0
.LBB31_809:
	s_andn2_b64 vcc, exec, s[8:9]
	s_cbranch_vccnz .LBB31_814
; %bb.810:
	v_mov_b32_e32 v3, 0
	v_cmp_gt_i16_sdwa s[10:11], s75, v3 src0_sel:BYTE_0 src1_sel:DWORD
	s_mov_b64 s[8:9], -1
	s_and_b64 vcc, exec, s[10:11]
	v_lshlrev_b32_e32 v2, 16, v2
	s_cbranch_vccz .LBB31_812
; %bb.811:
	v_cvt_i32_f32_e32 v3, v2
	s_mov_b64 s[8:9], 0
	global_store_byte v[0:1], v3, off
.LBB31_812:
	s_andn2_b64 vcc, exec, s[8:9]
	s_cbranch_vccnz .LBB31_814
; %bb.813:
	v_trunc_f32_e32 v2, v2
	s_mov_b32 s8, 0x2f800000
	v_mul_f32_e64 v3, |v2|, s8
	v_floor_f32_e32 v3, v3
	s_mov_b32 s8, 0xcf800000
	v_fma_f32 v3, v3, s8, |v2|
	v_cvt_u32_f32_e32 v3, v3
	v_ashrrev_i32_e32 v2, 31, v2
	v_xor_b32_e32 v3, v3, v2
	v_sub_u32_e32 v2, v3, v2
	global_store_byte v[0:1], v2, off
.LBB31_814:
	s_mov_b64 s[8:9], -1
.LBB31_815:
	s_andn2_b64 vcc, exec, s[8:9]
	s_cbranch_vccnz .LBB31_817
; %bb.816:
	v_add_u32_e32 v8, 0x80, v8
	s_mov_b64 s[8:9], -1
	s_branch .LBB31_819
.LBB31_817:
	s_mov_b64 s[8:9], 0
.LBB31_818:
                                        ; implicit-def: $vgpr8
.LBB31_819:
	s_andn2_b64 s[10:11], s[60:61], exec
	s_and_b64 s[0:1], s[0:1], exec
	s_or_b64 s[68:69], s[10:11], s[0:1]
	s_andn2_b64 s[0:1], s[58:59], exec
	s_and_b64 s[2:3], s[2:3], exec
	s_or_b64 s[66:67], s[0:1], s[2:3]
	s_orn2_b64 s[2:3], s[8:9], exec
.LBB31_820:
	s_or_b64 exec, exec, s[64:65]
	s_mov_b64 s[0:1], 0
	s_mov_b64 s[8:9], 0
	;; [unrolled: 1-line block ×3, first 2 shown]
                                        ; implicit-def: $vgpr2_vgpr3
                                        ; implicit-def: $vgpr0
                                        ; implicit-def: $vgpr7
	s_and_saveexec_b64 s[64:65], s[2:3]
	s_cbranch_execz .LBB31_920
; %bb.821:
	v_cmp_gt_i32_e32 vcc, s72, v8
	s_mov_b64 s[2:3], 0
	s_mov_b64 s[12:13], s[66:67]
                                        ; implicit-def: $vgpr2_vgpr3
                                        ; implicit-def: $vgpr0
                                        ; implicit-def: $vgpr7
	s_and_saveexec_b64 s[70:71], vcc
	s_cbranch_execz .LBB31_919
; %bb.822:
	s_andn2_b64 vcc, exec, s[40:41]
	s_cbranch_vccnz .LBB31_828
; %bb.823:
	s_mov_b32 s72, 0
	s_andn2_b64 vcc, exec, s[50:51]
	v_mov_b32_e32 v2, 0
	v_mov_b32_e32 v0, 0
	s_cbranch_vccnz .LBB31_834
; %bb.824:
	s_add_i32 s76, s73, 1
	s_cmp_eq_u32 s74, 2
	s_cbranch_scc1 .LBB31_829
; %bb.825:
	s_and_b32 s72, s76, 28
	s_mov_b32 s73, 0
	v_mov_b32_e32 v0, 0
	s_mov_b64 s[50:51], s[34:35]
	v_mov_b32_e32 v3, v8
	v_mov_b32_e32 v2, 0
.LBB31_826:                             ; =>This Inner Loop Header: Depth=1
	s_load_dwordx8 s[16:23], s[50:51], 0x4
	s_load_dwordx4 s[0:3], s[50:51], 0x24
	s_load_dwordx8 s[8:15], s[48:49], 0x0
	s_add_u32 s50, s50, 48
	s_addc_u32 s51, s51, 0
	s_waitcnt vmcnt(0) lgkmcnt(0)
	v_mul_hi_u32 v1, s17, v3
	v_add_u32_e32 v1, v3, v1
	v_lshrrev_b32_e32 v1, s18, v1
	v_mul_lo_u32 v7, v1, s16
	v_mul_hi_u32 v9, s20, v1
	v_sub_u32_e32 v3, v3, v7
	v_add_u32_e32 v7, v1, v9
	v_lshrrev_b32_e32 v7, s21, v7
	v_mul_lo_u32 v10, v7, s19
	v_mul_hi_u32 v11, s23, v7
	v_sub_u32_e32 v1, v1, v10
	v_add_u32_e32 v10, v7, v11
	v_mul_lo_u32 v9, v3, s9
	v_mul_lo_u32 v3, v3, s8
	;; [unrolled: 1-line block ×4, first 2 shown]
	v_lshrrev_b32_e32 v10, s0, v10
	v_add3_u32 v0, v3, v0, v1
	v_mul_hi_u32 v3, s2, v10
	v_add_u32_e32 v3, v10, v3
	v_lshrrev_b32_e32 v3, s3, v3
	s_add_i32 s73, s73, 4
	v_add3_u32 v1, v9, v2, v11
	v_mul_lo_u32 v2, v10, s22
	v_mul_lo_u32 v9, v3, s1
	s_add_u32 s48, s48, 32
	v_sub_u32_e32 v2, v7, v2
	v_sub_u32_e32 v9, v10, v9
	s_addc_u32 s49, s49, 0
	v_mul_lo_u32 v7, v2, s12
	v_mul_lo_u32 v2, v2, s13
	;; [unrolled: 1-line block ×4, first 2 shown]
	s_cmp_eq_u32 s72, s73
	v_add3_u32 v2, v2, v1, v9
	v_add3_u32 v0, v7, v0, v10
	s_cbranch_scc0 .LBB31_826
; %bb.827:
	v_mov_b32_e32 v1, v2
	s_branch .LBB31_830
.LBB31_828:
	s_mov_b64 s[0:1], -1
                                        ; implicit-def: $vgpr2
                                        ; implicit-def: $vgpr0
	s_branch .LBB31_835
.LBB31_829:
	s_mov_b32 s73, s72
	s_waitcnt vmcnt(0)
	v_pk_mov_b32 v[0:1], s[72:73], s[72:73] op_sel:[0,1]
                                        ; implicit-def: $vgpr2
	v_mov_b32_e32 v3, v8
.LBB31_830:
	s_and_b32 s8, s76, 3
	s_cmp_eq_u32 s8, 0
	s_cbranch_scc1 .LBB31_834
; %bb.831:
	s_lshl_b32 s0, s72, 3
	s_add_u32 s0, s0, s34
	s_addc_u32 s1, s35, 0
	s_add_u32 s0, s0, 0xc4
	s_addc_u32 s1, s1, 0
	s_mul_i32 s2, s72, 12
	s_add_u32 s2, s34, s2
	s_addc_u32 s3, s35, 0
.LBB31_832:                             ; =>This Inner Loop Header: Depth=1
	s_load_dwordx2 s[10:11], s[2:3], 0x4
	s_load_dword s9, s[2:3], 0xc
	s_load_dwordx2 s[12:13], s[0:1], 0x0
	v_mov_b32_e32 v2, v1
	s_add_u32 s2, s2, 12
	s_waitcnt lgkmcnt(0)
	v_mul_hi_u32 v1, s11, v3
	v_add_u32_e32 v1, v3, v1
	v_lshrrev_b32_e32 v1, s9, v1
	s_addc_u32 s3, s3, 0
	v_mul_lo_u32 v7, v1, s10
	s_add_u32 s0, s0, 8
	v_sub_u32_e32 v7, v3, v7
	v_mov_b32_e32 v3, v1
	s_addc_u32 s1, s1, 0
	s_add_i32 s8, s8, -1
	v_mad_u64_u32 v[10:11], s[10:11], v7, s13, v[2:3]
	v_mad_u64_u32 v[0:1], s[10:11], v7, s12, v[0:1]
	s_cmp_lg_u32 s8, 0
	v_mov_b32_e32 v1, v10
	s_cbranch_scc1 .LBB31_832
; %bb.833:
	v_mov_b32_e32 v2, v1
.LBB31_834:
	s_mov_b64 s[0:1], 0
.LBB31_835:
	s_andn2_b64 vcc, exec, s[0:1]
	s_cbranch_vccnz .LBB31_838
; %bb.836:
	v_mul_hi_u32 v0, s29, v8
	v_add_u32_e32 v0, v8, v0
	s_waitcnt vmcnt(0)
	v_lshrrev_b32_e32 v1, s30, v0
	v_mul_lo_u32 v0, v1, s28
	v_sub_u32_e32 v0, v8, v0
	v_mul_lo_u32 v2, v0, s37
	s_andn2_b64 vcc, exec, s[46:47]
	v_mul_lo_u32 v0, v0, s36
	s_cbranch_vccnz .LBB31_838
; %bb.837:
	v_mul_hi_u32 v3, s44, v1
	v_add_u32_e32 v3, v1, v3
	v_lshrrev_b32_e32 v3, s45, v3
	v_mul_lo_u32 v3, v3, s31
	v_sub_u32_e32 v3, v1, v3
	v_mad_u64_u32 v[0:1], s[0:1], v3, s38, v[0:1]
	v_mad_u64_u32 v[2:3], s[0:1], v3, s39, v[2:3]
.LBB31_838:
	s_waitcnt vmcnt(0)
	v_mov_b32_e32 v1, s27
	v_add_co_u32_e32 v2, vcc, s26, v2
	v_addc_co_u32_e32 v3, vcc, 0, v1, vcc
	v_cmp_gt_i16_e32 vcc, 11, v6
	s_cbranch_vccnz .LBB31_845
; %bb.839:
	v_cmp_lt_i16_e32 vcc, 25, v6
	s_mov_b64 s[2:3], 0
	s_cbranch_vccz .LBB31_846
; %bb.840:
	v_cmp_lt_i16_e32 vcc, 28, v6
	s_cbranch_vccz .LBB31_847
; %bb.841:
	v_cmp_lt_i16_e32 vcc, 43, v6
	;; [unrolled: 3-line block ×3, first 2 shown]
	s_cbranch_vccz .LBB31_851
; %bb.843:
	v_cmp_eq_u16_e32 vcc, 46, v6
	s_mov_b64 s[10:11], 0
	s_cbranch_vccz .LBB31_854
; %bb.844:
	global_load_dword v7, v[2:3], off
	s_mov_b64 s[0:1], 0
	s_mov_b64 s[8:9], -1
	s_branch .LBB31_855
.LBB31_845:
	s_mov_b64 s[12:13], -1
	s_mov_b64 s[8:9], 0
	s_mov_b64 s[2:3], 0
	;; [unrolled: 1-line block ×3, first 2 shown]
                                        ; implicit-def: $vgpr7
	s_branch .LBB31_918
.LBB31_846:
	s_mov_b64 s[10:11], -1
	s_mov_b64 s[8:9], 0
	s_mov_b64 s[0:1], s[66:67]
                                        ; implicit-def: $vgpr7
	s_branch .LBB31_884
.LBB31_847:
	s_mov_b64 s[10:11], -1
	s_mov_b64 s[8:9], 0
	s_mov_b64 s[0:1], s[66:67]
                                        ; implicit-def: $vgpr7
	s_branch .LBB31_865
.LBB31_848:
	s_mov_b64 s[10:11], -1
	s_mov_b64 s[8:9], 0
	s_mov_b64 s[0:1], s[66:67]
                                        ; implicit-def: $vgpr7
	s_branch .LBB31_860
.LBB31_849:
	s_or_saveexec_b64 s[12:13], s[12:13]
                                        ; implicit-def: $sgpr14
	s_xor_b64 exec, exec, s[12:13]
	s_cbranch_execz .LBB31_728
.LBB31_850:
	s_mov_b32 s14, 0x46000000
	v_add_f32_e64 v7, |v9|, s14
	v_and_b32_e32 v7, 0xff, v7
	v_cmp_ne_u32_e32 vcc, 0, v7
	s_andn2_b64 s[10:11], s[10:11], exec
	s_and_b64 s[16:17], vcc, exec
	s_mov_b32 s14, 0
	s_or_b64 s[10:11], s[10:11], s[16:17]
	s_or_b64 exec, exec, s[12:13]
	v_mov_b32_e32 v10, s14
	s_and_saveexec_b64 s[12:13], s[10:11]
	s_cbranch_execnz .LBB31_729
	s_branch .LBB31_730
.LBB31_851:
	s_mov_b64 s[10:11], -1
	s_mov_b64 s[8:9], 0
	s_mov_b64 s[0:1], s[66:67]
                                        ; implicit-def: $vgpr7
	s_branch .LBB31_855
.LBB31_852:
	s_or_saveexec_b64 s[12:13], s[12:13]
                                        ; implicit-def: $sgpr14
	s_xor_b64 exec, exec, s[12:13]
	s_cbranch_execz .LBB31_741
.LBB31_853:
	s_mov_b32 s14, 0x42800000
	v_add_f32_e64 v7, |v9|, s14
	v_and_b32_e32 v7, 0xff, v7
	v_cmp_ne_u32_e32 vcc, 0, v7
	s_andn2_b64 s[10:11], s[10:11], exec
	s_and_b64 s[16:17], vcc, exec
	s_mov_b32 s14, 0
	s_or_b64 s[10:11], s[10:11], s[16:17]
	s_or_b64 exec, exec, s[12:13]
	v_mov_b32_e32 v10, s14
	s_and_saveexec_b64 s[12:13], s[10:11]
	s_cbranch_execnz .LBB31_742
	s_branch .LBB31_743
.LBB31_854:
	s_mov_b64 s[0:1], -1
                                        ; implicit-def: $vgpr7
	s_mov_b64 s[8:9], 0
.LBB31_855:
	s_and_b64 vcc, exec, s[10:11]
	s_cbranch_vccz .LBB31_859
; %bb.856:
	v_cmp_eq_u16_e32 vcc, 44, v6
	s_cbranch_vccz .LBB31_858
; %bb.857:
	global_load_ubyte v1, v[2:3], off
	s_movk_i32 s8, 0xff
	s_waitcnt vmcnt(1)
	v_mov_b32_e32 v7, 0x7f800001
	v_mov_b32_e32 v8, 0x400000
	;; [unrolled: 1-line block ×3, first 2 shown]
	s_mov_b64 s[0:1], 0
	s_waitcnt vmcnt(0)
	v_lshlrev_b32_e32 v10, 23, v1
	v_cmp_ne_u32_e32 vcc, s8, v1
	v_cndmask_b32_e32 v7, v7, v10, vcc
	v_cmp_ne_u32_e32 vcc, 0, v1
	v_cndmask_b32_e32 v1, v8, v7, vcc
	v_add_u32_e32 v7, 0x7fff, v1
	v_lshrrev_b32_e32 v7, 16, v7
	v_cmp_o_f32_e32 vcc, v1, v1
	v_cndmask_b32_e32 v7, v9, v7, vcc
	s_mov_b64 s[8:9], -1
	s_branch .LBB31_859
.LBB31_858:
	s_mov_b64 s[0:1], -1
                                        ; implicit-def: $vgpr7
.LBB31_859:
	s_mov_b64 s[10:11], 0
.LBB31_860:
	s_and_b64 vcc, exec, s[10:11]
	s_cbranch_vccz .LBB31_864
; %bb.861:
	v_cmp_eq_u16_e32 vcc, 29, v6
	s_cbranch_vccz .LBB31_863
; %bb.862:
	global_load_dwordx2 v[8:9], v[2:3], off
	s_movk_i32 s8, 0x7fff
	s_mov_b64 s[0:1], 0
	s_mov_b64 s[10:11], 0
	s_waitcnt vmcnt(0)
	v_ffbh_u32_e32 v1, v9
	v_min_u32_e32 v1, 32, v1
	v_lshlrev_b64 v[8:9], v1, v[8:9]
	v_min_u32_e32 v7, 1, v8
	v_or_b32_e32 v7, v9, v7
	v_cvt_f32_u32_e32 v7, v7
	v_sub_u32_e32 v1, 32, v1
	v_ldexp_f32 v1, v7, v1
	v_bfe_u32 v7, v1, 16, 1
	v_add3_u32 v1, v1, v7, s8
	v_lshrrev_b32_e32 v7, 16, v1
	s_mov_b64 s[8:9], -1
	s_branch .LBB31_865
.LBB31_863:
	s_mov_b64 s[0:1], -1
                                        ; implicit-def: $vgpr7
.LBB31_864:
	s_mov_b64 s[10:11], 0
.LBB31_865:
	s_and_b64 vcc, exec, s[10:11]
	s_cbranch_vccz .LBB31_883
; %bb.866:
	v_cmp_gt_i16_e32 vcc, 27, v6
	s_cbranch_vccnz .LBB31_869
; %bb.867:
	v_cmp_lt_i16_e32 vcc, 27, v6
	s_cbranch_vccz .LBB31_870
; %bb.868:
	global_load_dword v1, v[2:3], off
	s_movk_i32 s8, 0x7fff
	s_waitcnt vmcnt(0)
	v_cvt_f32_u32_e32 v1, v1
	v_bfe_u32 v7, v1, 16, 1
	v_add3_u32 v1, v1, v7, s8
	v_lshrrev_b32_e32 v7, 16, v1
	s_mov_b64 s[8:9], 0
	s_branch .LBB31_871
.LBB31_869:
	s_mov_b64 s[8:9], -1
                                        ; implicit-def: $vgpr7
	s_branch .LBB31_874
.LBB31_870:
	s_mov_b64 s[8:9], -1
                                        ; implicit-def: $vgpr7
.LBB31_871:
	s_andn2_b64 vcc, exec, s[8:9]
	s_cbranch_vccnz .LBB31_873
; %bb.872:
	global_load_ushort v1, v[2:3], off
	s_movk_i32 s8, 0x7fff
	s_waitcnt vmcnt(0)
	v_cvt_f32_u32_e32 v1, v1
	v_bfe_u32 v7, v1, 16, 1
	v_add3_u32 v1, v1, v7, s8
	v_lshrrev_b32_e32 v7, 16, v1
.LBB31_873:
	s_mov_b64 s[8:9], 0
.LBB31_874:
	s_andn2_b64 vcc, exec, s[8:9]
	s_cbranch_vccnz .LBB31_882
; %bb.875:
	global_load_ubyte v1, v[2:3], off
	s_movk_i32 s8, 0x7f
                                        ; implicit-def: $sgpr14
	s_waitcnt vmcnt(0)
	v_cmp_lt_i16_e32 vcc, s8, v1
	s_mov_b64 s[8:9], 0
	s_and_saveexec_b64 s[10:11], vcc
	s_xor_b64 s[10:11], exec, s[10:11]
	s_cbranch_execz .LBB31_896
; %bb.876:
	s_movk_i32 s8, 0x80
	v_cmp_eq_u16_e32 vcc, s8, v1
	s_mov_b64 s[8:9], -1
                                        ; implicit-def: $sgpr14
	s_and_saveexec_b64 s[12:13], vcc
; %bb.877:
	s_mov_b32 s14, 0x7f800001
	s_xor_b64 s[8:9], exec, -1
; %bb.878:
	s_or_b64 exec, exec, s[12:13]
	s_and_b64 s[8:9], s[8:9], exec
	s_or_saveexec_b64 s[10:11], s[10:11]
	v_mov_b32_e32 v7, s14
	s_xor_b64 exec, exec, s[10:11]
	s_cbranch_execnz .LBB31_897
.LBB31_879:
	s_or_b64 exec, exec, s[10:11]
	s_and_saveexec_b64 s[10:11], s[8:9]
	s_cbranch_execz .LBB31_881
.LBB31_880:
	v_lshlrev_b32_e32 v7, 24, v1
	v_and_b32_e32 v1, 0xffff, v1
	v_and_b32_e32 v8, 7, v1
	v_ffbh_u32_e32 v10, v8
	v_min_u32_e32 v10, 32, v10
	v_subrev_u32_e32 v11, 28, v10
	v_bfe_u32 v9, v1, 3, 4
	v_lshlrev_b32_e32 v1, v11, v1
	v_sub_u32_e32 v10, 29, v10
	v_and_b32_e32 v1, 7, v1
	v_cmp_eq_u32_e32 vcc, 0, v9
	v_cndmask_b32_e32 v9, v9, v10, vcc
	v_cndmask_b32_e32 v1, v8, v1, vcc
	v_mov_b32_e32 v8, 0x3b800000
	v_lshlrev_b32_e32 v1, 20, v1
	v_and_b32_e32 v7, 0x80000000, v7
	v_lshl_add_u32 v8, v9, 23, v8
	v_or3_b32 v7, v7, v8, v1
.LBB31_881:
	s_or_b64 exec, exec, s[10:11]
	v_bfe_u32 v1, v7, 16, 1
	s_movk_i32 s8, 0x7fff
	v_add3_u32 v1, v7, v1, s8
	v_lshrrev_b32_e32 v1, 16, v1
	v_mov_b32_e32 v8, 0x7fc0
	v_cmp_o_f32_e32 vcc, v7, v7
	v_cndmask_b32_e32 v7, v8, v1, vcc
.LBB31_882:
	s_mov_b64 s[8:9], -1
.LBB31_883:
	s_mov_b64 s[10:11], 0
.LBB31_884:
	s_and_b64 vcc, exec, s[10:11]
	s_cbranch_vccz .LBB31_917
; %bb.885:
	v_cmp_lt_i16_e32 vcc, 22, v6
	s_cbranch_vccz .LBB31_895
; %bb.886:
	v_cmp_gt_i16_e32 vcc, 24, v6
	s_cbranch_vccnz .LBB31_898
; %bb.887:
	v_cmp_lt_i16_e32 vcc, 24, v6
	s_cbranch_vccz .LBB31_899
; %bb.888:
	global_load_ubyte v1, v[2:3], off
	s_movk_i32 s2, 0x7f
                                        ; implicit-def: $sgpr12
	s_waitcnt vmcnt(0)
	v_cmp_lt_i16_e32 vcc, s2, v1
	s_mov_b64 s[2:3], 0
	s_and_saveexec_b64 s[8:9], vcc
	s_xor_b64 s[8:9], exec, s[8:9]
	s_cbranch_execz .LBB31_911
; %bb.889:
	s_movk_i32 s2, 0x80
	v_cmp_eq_u16_e32 vcc, s2, v1
	s_mov_b64 s[2:3], -1
                                        ; implicit-def: $sgpr12
	s_and_saveexec_b64 s[10:11], vcc
; %bb.890:
	s_mov_b32 s12, 0x7f800001
	s_xor_b64 s[2:3], exec, -1
; %bb.891:
	s_or_b64 exec, exec, s[10:11]
	s_and_b64 s[2:3], s[2:3], exec
	s_or_saveexec_b64 s[8:9], s[8:9]
	v_mov_b32_e32 v7, s12
	s_xor_b64 exec, exec, s[8:9]
	s_cbranch_execnz .LBB31_912
.LBB31_892:
	s_or_b64 exec, exec, s[8:9]
	s_and_saveexec_b64 s[8:9], s[2:3]
	s_cbranch_execz .LBB31_894
.LBB31_893:
	v_lshlrev_b32_e32 v7, 24, v1
	v_and_b32_e32 v1, 0xffff, v1
	v_and_b32_e32 v8, 3, v1
	v_ffbh_u32_e32 v10, v8
	v_min_u32_e32 v10, 32, v10
	v_subrev_u32_e32 v11, 29, v10
	v_bfe_u32 v9, v1, 2, 5
	v_lshlrev_b32_e32 v1, v11, v1
	v_sub_u32_e32 v10, 30, v10
	v_and_b32_e32 v1, 3, v1
	v_cmp_eq_u32_e32 vcc, 0, v9
	v_cndmask_b32_e32 v9, v9, v10, vcc
	v_cndmask_b32_e32 v1, v8, v1, vcc
	v_mov_b32_e32 v8, 0x37800000
	v_lshlrev_b32_e32 v1, 21, v1
	v_and_b32_e32 v7, 0x80000000, v7
	v_lshl_add_u32 v8, v9, 23, v8
	v_or3_b32 v7, v7, v8, v1
.LBB31_894:
	s_or_b64 exec, exec, s[8:9]
	v_bfe_u32 v1, v7, 16, 1
	s_movk_i32 s2, 0x7fff
	v_add3_u32 v1, v7, v1, s2
	v_lshrrev_b32_e32 v1, 16, v1
	v_mov_b32_e32 v8, 0x7fc0
	v_cmp_o_f32_e32 vcc, v7, v7
	v_cndmask_b32_e32 v7, v8, v1, vcc
	s_mov_b64 s[2:3], 0
	s_branch .LBB31_900
.LBB31_895:
	s_mov_b64 s[2:3], -1
                                        ; implicit-def: $vgpr7
	s_branch .LBB31_906
.LBB31_896:
	s_or_saveexec_b64 s[10:11], s[10:11]
	v_mov_b32_e32 v7, s14
	s_xor_b64 exec, exec, s[10:11]
	s_cbranch_execz .LBB31_879
.LBB31_897:
	v_cmp_ne_u16_e32 vcc, 0, v1
	s_andn2_b64 s[8:9], s[8:9], exec
	s_and_b64 s[12:13], vcc, exec
	v_mov_b32_e32 v7, 0
	s_or_b64 s[8:9], s[8:9], s[12:13]
	s_or_b64 exec, exec, s[10:11]
	s_and_saveexec_b64 s[10:11], s[8:9]
	s_cbranch_execnz .LBB31_880
	s_branch .LBB31_881
.LBB31_898:
	s_mov_b64 s[2:3], -1
                                        ; implicit-def: $vgpr7
	s_branch .LBB31_903
.LBB31_899:
	s_mov_b64 s[2:3], -1
                                        ; implicit-def: $vgpr7
.LBB31_900:
	s_and_b64 vcc, exec, s[2:3]
	s_cbranch_vccz .LBB31_902
; %bb.901:
	global_load_ubyte v1, v[2:3], off
	s_mov_b32 s2, 0x7f800000
	s_brev_b32 s3, 1
	s_movk_i32 s8, 0x7fff
	s_waitcnt vmcnt(1)
	v_mov_b32_e32 v7, 0x7fc0
	s_waitcnt vmcnt(0)
	v_lshlrev_b32_e32 v1, 24, v1
	v_and_b32_e32 v8, 0x7f000000, v1
	v_ffbh_u32_e32 v9, v8
	v_min_u32_e32 v9, 32, v9
	v_sub_u32_e64 v9, v9, 4 clamp
	v_lshlrev_b32_e32 v11, v9, v8
	v_lshlrev_b32_e32 v9, 23, v9
	v_lshrrev_b32_e32 v11, 4, v11
	v_add_u32_e32 v10, 0x1000000, v8
	v_sub_u32_e32 v9, v11, v9
	v_ashrrev_i32_e32 v10, 8, v10
	v_add_u32_e32 v9, 0x3c000000, v9
	v_and_or_b32 v9, v10, s2, v9
	v_cmp_ne_u32_e32 vcc, 0, v8
	v_cndmask_b32_e32 v8, 0, v9, vcc
	v_and_or_b32 v1, v1, s3, v8
	v_bfe_u32 v8, v8, 16, 1
	v_add3_u32 v8, v1, v8, s8
	v_lshrrev_b32_e32 v8, 16, v8
	v_cmp_o_f32_e32 vcc, v1, v1
	v_cndmask_b32_e32 v7, v7, v8, vcc
.LBB31_902:
	s_mov_b64 s[2:3], 0
.LBB31_903:
	s_andn2_b64 vcc, exec, s[2:3]
	s_cbranch_vccnz .LBB31_905
; %bb.904:
	global_load_ubyte v1, v[2:3], off
	s_movk_i32 s2, 0x7f00
	s_brev_b32 s3, 16
	s_brev_b32 s8, 1
	s_movk_i32 s9, 0x7fff
	s_waitcnt vmcnt(1)
	v_mov_b32_e32 v7, 0x7fc0
	s_waitcnt vmcnt(0)
	v_lshlrev_b16_e32 v8, 8, v1
	v_lshlrev_b32_e32 v1, 25, v1
	v_lshrrev_b32_e32 v9, 4, v1
	v_and_or_b32 v10, v8, s2, 0.5
	v_or_b32_e32 v9, 0x70000000, v9
	v_add_f32_e32 v10, -0.5, v10
	v_mul_f32_e32 v9, 0x7800000, v9
	v_cmp_gt_u32_e32 vcc, s3, v1
	v_bfe_i32 v8, v8, 0, 16
	v_cndmask_b32_e32 v1, v9, v10, vcc
	v_and_or_b32 v8, v8, s8, v1
	v_bfe_u32 v1, v1, 16, 1
	v_add3_u32 v1, v8, v1, s9
	v_lshrrev_b32_e32 v1, 16, v1
	v_cmp_o_f32_e32 vcc, v8, v8
	v_cndmask_b32_e32 v7, v7, v1, vcc
.LBB31_905:
	s_mov_b64 s[2:3], 0
	s_mov_b64 s[8:9], -1
.LBB31_906:
	s_andn2_b64 vcc, exec, s[2:3]
	s_mov_b64 s[2:3], 0
	s_cbranch_vccnz .LBB31_917
; %bb.907:
	v_cmp_lt_i16_e32 vcc, 14, v6
	s_cbranch_vccz .LBB31_910
; %bb.908:
	v_cmp_eq_u16_e32 vcc, 15, v6
	s_cbranch_vccz .LBB31_913
; %bb.909:
	global_load_ushort v7, v[2:3], off
	s_mov_b64 s[0:1], 0
	s_mov_b64 s[8:9], -1
	s_branch .LBB31_914
.LBB31_910:
	s_mov_b64 s[10:11], -1
                                        ; implicit-def: $vgpr7
	s_branch .LBB31_915
.LBB31_911:
	s_or_saveexec_b64 s[8:9], s[8:9]
	v_mov_b32_e32 v7, s12
	s_xor_b64 exec, exec, s[8:9]
	s_cbranch_execz .LBB31_892
.LBB31_912:
	v_cmp_ne_u16_e32 vcc, 0, v1
	s_andn2_b64 s[2:3], s[2:3], exec
	s_and_b64 s[10:11], vcc, exec
	v_mov_b32_e32 v7, 0
	s_or_b64 s[2:3], s[2:3], s[10:11]
	s_or_b64 exec, exec, s[8:9]
	s_and_saveexec_b64 s[8:9], s[2:3]
	s_cbranch_execnz .LBB31_893
	s_branch .LBB31_894
.LBB31_913:
	s_mov_b64 s[0:1], -1
                                        ; implicit-def: $vgpr7
.LBB31_914:
	s_mov_b64 s[10:11], 0
.LBB31_915:
	s_and_b64 vcc, exec, s[10:11]
	s_cbranch_vccz .LBB31_917
; %bb.916:
	v_cmp_ne_u16_e32 vcc, 11, v6
	s_andn2_b64 s[0:1], s[0:1], exec
	s_and_b64 s[10:11], vcc, exec
	s_mov_b64 s[2:3], -1
	s_or_b64 s[0:1], s[0:1], s[10:11]
                                        ; implicit-def: $vgpr7
.LBB31_917:
	s_mov_b64 s[12:13], 0
.LBB31_918:
	s_and_b64 s[10:11], s[8:9], exec
	s_and_b64 s[8:9], s[12:13], exec
	s_andn2_b64 s[12:13], s[66:67], exec
	s_and_b64 s[0:1], s[0:1], exec
	s_and_b64 s[2:3], s[2:3], exec
	s_or_b64 s[12:13], s[12:13], s[0:1]
.LBB31_919:
	s_or_b64 exec, exec, s[70:71]
	s_and_b64 s[0:1], s[2:3], exec
	s_andn2_b64 s[2:3], s[66:67], exec
	s_and_b64 s[12:13], s[12:13], exec
	s_and_b64 s[10:11], s[10:11], exec
	;; [unrolled: 1-line block ×3, first 2 shown]
	s_or_b64 s[66:67], s[2:3], s[12:13]
.LBB31_920:
	s_or_b64 exec, exec, s[64:65]
	s_andn2_b64 s[2:3], s[60:61], exec
	s_and_b64 s[12:13], s[68:69], exec
	s_or_b64 s[60:61], s[2:3], s[12:13]
	s_and_b64 s[2:3], s[0:1], exec
	s_andn2_b64 s[0:1], s[58:59], exec
	s_and_b64 s[12:13], s[66:67], exec
	s_and_b64 s[10:11], s[10:11], exec
	;; [unrolled: 1-line block ×3, first 2 shown]
	s_or_b64 s[58:59], s[0:1], s[12:13]
.LBB31_921:
	s_or_b64 exec, exec, s[62:63]
	s_andn2_b64 s[0:1], s[52:53], exec
	s_and_b64 s[12:13], s[60:61], exec
	s_or_b64 s[52:53], s[0:1], s[12:13]
	s_and_b64 s[0:1], s[10:11], exec
	s_and_b64 s[10:11], s[8:9], exec
	;; [unrolled: 1-line block ×3, first 2 shown]
	s_andn2_b64 s[2:3], s[54:55], exec
	s_and_b64 s[8:9], s[58:59], exec
	s_or_b64 s[54:55], s[2:3], s[8:9]
	s_or_b64 exec, exec, s[56:57]
	s_mov_b64 s[2:3], 0
	s_and_saveexec_b64 s[8:9], s[54:55]
	s_cbranch_execz .LBB31_276
.LBB31_922:
	s_mov_b64 s[2:3], exec
	s_andn2_b64 s[60:61], s[60:61], exec
	s_trap 2
                                        ; implicit-def: $vgpr7
	s_or_b64 exec, exec, s[8:9]
	s_and_saveexec_b64 s[8:9], s[60:61]
	s_xor_b64 s[8:9], exec, s[8:9]
	s_cbranch_execnz .LBB31_277
.LBB31_923:
	s_or_b64 exec, exec, s[8:9]
	s_and_saveexec_b64 s[8:9], s[10:11]
	s_cbranch_execz .LBB31_969
.LBB31_924:
	v_cmp_gt_i16_e32 vcc, 5, v6
	s_cbranch_vccnz .LBB31_929
; %bb.925:
	v_cmp_gt_i16_e32 vcc, 8, v6
	s_cbranch_vccnz .LBB31_930
; %bb.926:
	;; [unrolled: 3-line block ×3, first 2 shown]
	v_cmp_lt_i16_e32 vcc, 9, v6
	s_cbranch_vccz .LBB31_932
; %bb.928:
	global_load_dwordx2 v[8:9], v[2:3], off
	s_movk_i32 s10, 0x7fff
	s_waitcnt vmcnt(1)
	v_mov_b32_e32 v1, 0x7fc0
	s_waitcnt vmcnt(0)
	v_cvt_f32_f64_e32 v7, v[8:9]
	v_bfe_u32 v8, v7, 16, 1
	v_add3_u32 v8, v7, v8, s10
	v_lshrrev_b32_e32 v8, 16, v8
	v_cmp_o_f32_e32 vcc, v7, v7
	v_cndmask_b32_e32 v7, v1, v8, vcc
	s_mov_b64 s[10:11], 0
	s_branch .LBB31_933
.LBB31_929:
                                        ; implicit-def: $vgpr7
	s_branch .LBB31_950
.LBB31_930:
                                        ; implicit-def: $vgpr7
	s_branch .LBB31_939
.LBB31_931:
	s_mov_b64 s[10:11], -1
                                        ; implicit-def: $vgpr7
	s_branch .LBB31_936
.LBB31_932:
	s_mov_b64 s[10:11], -1
                                        ; implicit-def: $vgpr7
.LBB31_933:
	s_andn2_b64 vcc, exec, s[10:11]
	s_cbranch_vccnz .LBB31_935
; %bb.934:
	global_load_dword v1, v[2:3], off
	s_movk_i32 s10, 0x7fff
	s_waitcnt vmcnt(1)
	v_mov_b32_e32 v7, 0x7fc0
	s_waitcnt vmcnt(0)
	v_bfe_u32 v8, v1, 16, 1
	v_add3_u32 v8, v1, v8, s10
	v_lshrrev_b32_e32 v8, 16, v8
	v_cmp_o_f32_e32 vcc, v1, v1
	v_cndmask_b32_e32 v7, v7, v8, vcc
.LBB31_935:
	s_mov_b64 s[10:11], 0
.LBB31_936:
	s_andn2_b64 vcc, exec, s[10:11]
	s_cbranch_vccnz .LBB31_938
; %bb.937:
	global_load_dword v1, v[2:3], off
	s_movk_i32 s10, 0x7fff
	v_mov_b32_e32 v8, 0x7fc0
	s_waitcnt vmcnt(0)
	v_cvt_f32_f16_e32 v7, v1
	v_cmp_o_f16_e32 vcc, v1, v1
	v_bfe_u32 v9, v7, 16, 1
	v_add3_u32 v7, v7, v9, s10
	v_lshrrev_b32_e32 v7, 16, v7
	v_cndmask_b32_e32 v7, v8, v7, vcc
.LBB31_938:
	s_cbranch_execnz .LBB31_949
.LBB31_939:
	v_cmp_gt_i16_e32 vcc, 6, v6
	s_cbranch_vccnz .LBB31_942
; %bb.940:
	v_cmp_lt_i16_e32 vcc, 6, v6
	s_cbranch_vccz .LBB31_943
; %bb.941:
	global_load_dwordx2 v[8:9], v[2:3], off
	s_movk_i32 s10, 0x7fff
	s_waitcnt vmcnt(1)
	v_mov_b32_e32 v1, 0x7fc0
	s_waitcnt vmcnt(0)
	v_cvt_f32_f64_e32 v7, v[8:9]
	v_bfe_u32 v8, v7, 16, 1
	v_add3_u32 v8, v7, v8, s10
	v_lshrrev_b32_e32 v8, 16, v8
	v_cmp_o_f32_e32 vcc, v7, v7
	v_cndmask_b32_e32 v7, v1, v8, vcc
	s_mov_b64 s[10:11], 0
	s_branch .LBB31_944
.LBB31_942:
	s_mov_b64 s[10:11], -1
                                        ; implicit-def: $vgpr7
	s_branch .LBB31_947
.LBB31_943:
	s_mov_b64 s[10:11], -1
                                        ; implicit-def: $vgpr7
.LBB31_944:
	s_andn2_b64 vcc, exec, s[10:11]
	s_cbranch_vccnz .LBB31_946
; %bb.945:
	global_load_dword v1, v[2:3], off
	s_movk_i32 s10, 0x7fff
	s_waitcnt vmcnt(1)
	v_mov_b32_e32 v7, 0x7fc0
	s_waitcnt vmcnt(0)
	v_bfe_u32 v8, v1, 16, 1
	v_add3_u32 v8, v1, v8, s10
	v_lshrrev_b32_e32 v8, 16, v8
	v_cmp_o_f32_e32 vcc, v1, v1
	v_cndmask_b32_e32 v7, v7, v8, vcc
.LBB31_946:
	s_mov_b64 s[10:11], 0
.LBB31_947:
	s_andn2_b64 vcc, exec, s[10:11]
	s_cbranch_vccnz .LBB31_949
; %bb.948:
	global_load_ushort v1, v[2:3], off
	s_movk_i32 s10, 0x7fff
	v_mov_b32_e32 v8, 0x7fc0
	s_waitcnt vmcnt(0)
	v_cvt_f32_f16_e32 v7, v1
	v_cmp_o_f16_e32 vcc, v1, v1
	v_bfe_u32 v9, v7, 16, 1
	v_add3_u32 v7, v7, v9, s10
	v_lshrrev_b32_e32 v7, 16, v7
	v_cndmask_b32_e32 v7, v8, v7, vcc
.LBB31_949:
	s_cbranch_execnz .LBB31_968
.LBB31_950:
	v_cmp_gt_i16_e32 vcc, 2, v6
	s_cbranch_vccnz .LBB31_954
; %bb.951:
	v_cmp_gt_i16_e32 vcc, 3, v6
	s_cbranch_vccnz .LBB31_955
; %bb.952:
	v_cmp_lt_i16_e32 vcc, 3, v6
	s_cbranch_vccz .LBB31_956
; %bb.953:
	global_load_dwordx2 v[8:9], v[2:3], off
	s_movk_i32 s10, 0x7fff
	s_waitcnt vmcnt(0)
	v_xor_b32_e32 v7, v8, v9
	v_ffbh_i32_e32 v1, v9
	v_ashrrev_i32_e32 v7, 31, v7
	v_add_u32_e32 v1, -1, v1
	v_add_u32_e32 v7, 32, v7
	v_min_u32_e32 v1, v1, v7
	v_lshlrev_b64 v[8:9], v1, v[8:9]
	v_min_u32_e32 v7, 1, v8
	v_or_b32_e32 v7, v9, v7
	v_cvt_f32_i32_e32 v7, v7
	v_sub_u32_e32 v1, 32, v1
	v_ldexp_f32 v1, v7, v1
	v_bfe_u32 v7, v1, 16, 1
	v_add3_u32 v1, v1, v7, s10
	v_lshrrev_b32_e32 v7, 16, v1
	s_mov_b64 s[10:11], 0
	s_branch .LBB31_957
.LBB31_954:
                                        ; implicit-def: $vgpr7
	s_branch .LBB31_963
.LBB31_955:
	s_mov_b64 s[10:11], -1
                                        ; implicit-def: $vgpr7
	s_branch .LBB31_960
.LBB31_956:
	s_mov_b64 s[10:11], -1
                                        ; implicit-def: $vgpr7
.LBB31_957:
	s_andn2_b64 vcc, exec, s[10:11]
	s_cbranch_vccnz .LBB31_959
; %bb.958:
	global_load_dword v1, v[2:3], off
	s_movk_i32 s10, 0x7fff
	s_waitcnt vmcnt(0)
	v_cvt_f32_i32_e32 v1, v1
	v_bfe_u32 v7, v1, 16, 1
	v_add3_u32 v1, v1, v7, s10
	v_lshrrev_b32_e32 v7, 16, v1
.LBB31_959:
	s_mov_b64 s[10:11], 0
.LBB31_960:
	s_andn2_b64 vcc, exec, s[10:11]
	s_cbranch_vccnz .LBB31_962
; %bb.961:
	global_load_sshort v1, v[2:3], off
	s_movk_i32 s10, 0x7fff
	s_waitcnt vmcnt(0)
	v_cvt_f32_i32_e32 v1, v1
	v_bfe_u32 v7, v1, 16, 1
	v_add3_u32 v1, v1, v7, s10
	v_lshrrev_b32_e32 v7, 16, v1
.LBB31_962:
	s_cbranch_execnz .LBB31_968
.LBB31_963:
	v_cmp_lt_i16_e32 vcc, 0, v6
	s_cbranch_vccz .LBB31_965
; %bb.964:
	global_load_sbyte v1, v[2:3], off
	s_movk_i32 s10, 0x7fff
	s_waitcnt vmcnt(0)
	v_cvt_f32_i32_e32 v1, v1
	v_bfe_u32 v6, v1, 16, 1
	v_add3_u32 v1, v1, v6, s10
	v_lshrrev_b32_e32 v7, 16, v1
	s_mov_b64 s[10:11], 0
	s_branch .LBB31_966
.LBB31_965:
	s_mov_b64 s[10:11], -1
                                        ; implicit-def: $vgpr7
.LBB31_966:
	s_andn2_b64 vcc, exec, s[10:11]
	s_cbranch_vccnz .LBB31_968
; %bb.967:
	global_load_ubyte v1, v[2:3], off
	s_movk_i32 s10, 0x7fff
	s_waitcnt vmcnt(0)
	v_cvt_f32_ubyte0_e32 v1, v1
	v_bfe_u32 v2, v1, 16, 1
	v_add3_u32 v1, v1, v2, s10
	v_lshrrev_b32_e32 v7, 16, v1
.LBB31_968:
	s_or_b64 s[0:1], s[0:1], exec
.LBB31_969:
	s_or_b64 exec, exec, s[8:9]
	s_mov_b64 s[12:13], 0
	s_mov_b64 s[10:11], 0
                                        ; implicit-def: $vgpr6
                                        ; implicit-def: $vgpr2_vgpr3
                                        ; implicit-def: $vgpr1
	s_and_saveexec_b64 s[8:9], s[0:1]
	s_cbranch_execz .LBB31_987
; %bb.970:
	v_mov_b32_e32 v3, s25
	v_add_co_u32_e32 v2, vcc, s24, v0
	v_mov_b32_e32 v0, 0xff
	v_addc_co_u32_e32 v3, vcc, 0, v3, vcc
	v_and_b32_e32 v6, s75, v0
	s_waitcnt vmcnt(0)
	v_and_b32_e32 v1, 0xffff8000, v7
	v_cmp_gt_i16_e32 vcc, 11, v6
	v_or_b32_e32 v1, v1, v5
	s_cbranch_vccnz .LBB31_990
; %bb.971:
	v_cmp_lt_i16_e32 vcc, 25, v6
	s_mov_b64 s[12:13], -1
	s_mov_b64 s[0:1], s[52:53]
	s_cbranch_vccz .LBB31_1008
; %bb.972:
	v_cmp_lt_i16_e32 vcc, 28, v6
	s_mov_b64 s[10:11], -1
	s_mov_b64 s[0:1], s[52:53]
	s_cbranch_vccz .LBB31_992
; %bb.973:
	v_cmp_lt_i16_e32 vcc, 43, v6
	s_mov_b64 s[0:1], s[52:53]
	s_cbranch_vccz .LBB31_984
; %bb.974:
	v_cmp_lt_i16_e32 vcc, 45, v6
	s_mov_b64 s[0:1], s[52:53]
	s_cbranch_vccz .LBB31_978
; %bb.975:
	v_cmp_eq_u16_e32 vcc, 46, v6
	s_mov_b64 s[0:1], -1
	s_cbranch_vccz .LBB31_977
; %bb.976:
	v_and_b32_e32 v0, 0xffff, v1
	global_store_dword v[2:3], v0, off
	s_mov_b64 s[0:1], 0
.LBB31_977:
	s_mov_b64 s[10:11], 0
.LBB31_978:
	s_and_b64 vcc, exec, s[10:11]
	s_cbranch_vccz .LBB31_983
; %bb.979:
	v_cmp_eq_u16_e32 vcc, 44, v6
	s_mov_b64 s[0:1], -1
	s_cbranch_vccz .LBB31_983
; %bb.980:
	v_and_b32_e32 v5, 0xffff, v1
	v_bfe_u32 v0, v5, 7, 8
	s_movk_i32 s0, 0xff
	v_cmp_ne_u32_e32 vcc, s0, v0
	v_mov_b32_e32 v7, 0xff
	s_and_saveexec_b64 s[10:11], vcc
; %bb.981:
	v_lshlrev_b32_e32 v8, 16, v5
	s_mov_b32 s0, 0x3f0000
	v_lshrrev_b32_e32 v7, 7, v5
	v_and_b32_e32 v5, 64, v5
	v_and_or_b32 v0, v8, s0, v0
	v_cmp_ne_u32_e32 vcc, 0, v5
	v_cmp_ne_u32_e64 s[0:1], 0, v0
	s_and_b64 s[0:1], vcc, s[0:1]
	v_cndmask_b32_e64 v0, 0, 1, s[0:1]
	v_add_u32_e32 v7, v7, v0
; %bb.982:
	s_or_b64 exec, exec, s[10:11]
	s_mov_b64 s[0:1], 0
	global_store_byte v[2:3], v7, off
.LBB31_983:
	s_mov_b64 s[10:11], 0
.LBB31_984:
	s_and_b64 vcc, exec, s[10:11]
	s_cbranch_vccz .LBB31_991
; %bb.985:
	v_cmp_eq_u16_e32 vcc, 29, v6
	s_mov_b64 s[0:1], -1
	s_cbranch_vccz .LBB31_991
; %bb.986:
	v_lshlrev_b32_e32 v0, 16, v1
	v_trunc_f32_e32 v0, v0
	v_mul_f32_e32 v5, 0x2f800000, v0
	v_floor_f32_e32 v5, v5
	v_fmac_f32_e32 v0, 0xcf800000, v5
	v_cvt_u32_f32_e32 v9, v5
	v_cvt_u32_f32_e32 v8, v0
	s_mov_b64 s[0:1], 0
	s_mov_b64 s[10:11], 0
	global_store_dwordx2 v[2:3], v[8:9], off
	s_branch .LBB31_992
.LBB31_987:
	s_or_b64 exec, exec, s[8:9]
	s_and_saveexec_b64 s[0:1], s[52:53]
	s_cbranch_execnz .LBB31_1050
.LBB31_988:
	s_or_b64 exec, exec, s[0:1]
	s_and_saveexec_b64 s[0:1], s[12:13]
	s_xor_b64 s[0:1], exec, s[0:1]
	s_cbranch_execz .LBB31_1051
.LBB31_989:
	global_store_byte v[2:3], v4, off
	s_or_b64 exec, exec, s[0:1]
	s_and_saveexec_b64 s[0:1], s[10:11]
	s_xor_b64 s[0:1], exec, s[0:1]
	s_cbranch_execz .LBB31_1089
	s_branch .LBB31_1052
.LBB31_990:
	s_mov_b64 s[10:11], -1
	s_mov_b64 s[0:1], s[52:53]
	s_branch .LBB31_1049
.LBB31_991:
	s_mov_b64 s[10:11], 0
.LBB31_992:
	s_and_b64 vcc, exec, s[10:11]
	s_cbranch_vccz .LBB31_1007
; %bb.993:
	v_cmp_gt_i16_e32 vcc, 27, v6
	s_mov_b64 s[10:11], -1
	s_cbranch_vccnz .LBB31_999
; %bb.994:
	v_cmp_lt_i16_e32 vcc, 27, v6
	s_cbranch_vccz .LBB31_996
; %bb.995:
	v_lshlrev_b32_e32 v0, 16, v1
	v_cvt_u32_f32_e32 v0, v0
	s_mov_b64 s[10:11], 0
	global_store_dword v[2:3], v0, off
.LBB31_996:
	s_andn2_b64 vcc, exec, s[10:11]
	s_cbranch_vccnz .LBB31_998
; %bb.997:
	v_lshlrev_b32_e32 v0, 16, v1
	v_cvt_u32_f32_e32 v0, v0
	global_store_short v[2:3], v0, off
.LBB31_998:
	s_mov_b64 s[10:11], 0
.LBB31_999:
	s_andn2_b64 vcc, exec, s[10:11]
	s_cbranch_vccnz .LBB31_1007
; %bb.1000:
	v_lshlrev_b32_e32 v7, 16, v1
	v_and_b32_e32 v5, 0x7fffffff, v7
	s_mov_b32 s10, 0x43800000
	v_cmp_gt_u32_e32 vcc, s10, v5
	v_mov_b32_e32 v8, 0x80
	s_and_saveexec_b64 s[10:11], vcc
	s_cbranch_execz .LBB31_1006
; %bb.1001:
	s_mov_b32 s12, 0x3bffffff
	v_and_b32_e32 v0, 0xffff, v1
	v_cmp_lt_u32_e32 vcc, s12, v5
	s_mov_b64 s[12:13], 0
                                        ; implicit-def: $vgpr5
	s_and_saveexec_b64 s[14:15], vcc
	s_xor_b64 s[14:15], exec, s[14:15]
	s_cbranch_execz .LBB31_1160
; %bb.1002:
	v_bfe_u32 v5, v0, 4, 1
	s_mov_b32 s16, 0x487ffff
	v_add3_u32 v5, v7, v5, s16
	s_mov_b64 s[12:13], exec
	v_lshrrev_b32_e32 v5, 20, v5
                                        ; implicit-def: $vgpr7
	s_or_saveexec_b64 s[14:15], s[14:15]
                                        ; implicit-def: $sgpr16
	s_xor_b64 exec, exec, s[14:15]
	s_cbranch_execnz .LBB31_1161
.LBB31_1003:
	s_or_b64 exec, exec, s[14:15]
	v_mov_b32_e32 v8, s16
	s_and_saveexec_b64 s[14:15], s[12:13]
.LBB31_1004:
	v_lshrrev_b32_e32 v0, 8, v0
	s_movk_i32 s12, 0x80
	v_and_or_b32 v8, v0, s12, v5
.LBB31_1005:
	s_or_b64 exec, exec, s[14:15]
.LBB31_1006:
	s_or_b64 exec, exec, s[10:11]
	global_store_byte v[2:3], v8, off
.LBB31_1007:
	s_mov_b64 s[12:13], 0
.LBB31_1008:
	s_mov_b64 s[10:11], 0
	s_and_b64 vcc, exec, s[12:13]
	s_cbranch_vccz .LBB31_1048
; %bb.1009:
	v_cmp_lt_i16_e32 vcc, 22, v6
	s_mov_b64 s[12:13], -1
	s_cbranch_vccz .LBB31_1041
; %bb.1010:
	v_cmp_gt_i16_e32 vcc, 24, v6
	s_cbranch_vccnz .LBB31_1030
; %bb.1011:
	v_cmp_lt_i16_e32 vcc, 24, v6
	s_cbranch_vccz .LBB31_1019
; %bb.1012:
	v_lshlrev_b32_e32 v7, 16, v1
	v_and_b32_e32 v5, 0x7fffffff, v7
	s_mov_b32 s12, 0x47800000
	v_cmp_gt_u32_e32 vcc, s12, v5
	v_mov_b32_e32 v8, 0x80
	s_and_saveexec_b64 s[12:13], vcc
	s_cbranch_execz .LBB31_1018
; %bb.1013:
	s_mov_b32 s14, 0x37ffffff
	v_and_b32_e32 v0, 0xffff, v1
	v_cmp_lt_u32_e32 vcc, s14, v5
	s_mov_b64 s[14:15], 0
                                        ; implicit-def: $vgpr5
	s_and_saveexec_b64 s[16:17], vcc
	s_xor_b64 s[16:17], exec, s[16:17]
	s_cbranch_execz .LBB31_1284
; %bb.1014:
	v_bfe_u32 v5, v0, 5, 1
	s_mov_b32 s18, 0x88fffff
	v_add3_u32 v5, v7, v5, s18
	s_mov_b64 s[14:15], exec
	v_lshrrev_b32_e32 v5, 21, v5
                                        ; implicit-def: $vgpr7
	s_or_saveexec_b64 s[16:17], s[16:17]
                                        ; implicit-def: $sgpr18
	s_xor_b64 exec, exec, s[16:17]
	s_cbranch_execnz .LBB31_1285
.LBB31_1015:
	s_or_b64 exec, exec, s[16:17]
	v_mov_b32_e32 v8, s18
	s_and_saveexec_b64 s[16:17], s[14:15]
.LBB31_1016:
	v_lshrrev_b32_e32 v0, 8, v0
	s_movk_i32 s14, 0x80
	v_and_or_b32 v8, v0, s14, v5
.LBB31_1017:
	s_or_b64 exec, exec, s[16:17]
.LBB31_1018:
	s_or_b64 exec, exec, s[12:13]
	s_mov_b64 s[12:13], 0
	global_store_byte v[2:3], v8, off
.LBB31_1019:
	s_and_b64 vcc, exec, s[12:13]
	s_cbranch_vccz .LBB31_1029
; %bb.1020:
	v_lshlrev_b32_e32 v7, 16, v1
	v_and_b32_e32 v8, 0x7fffffff, v7
	s_mov_b32 s12, 0x43f00000
	v_and_b32_e32 v0, 0xffff, v1
	v_cmp_gt_u32_e32 vcc, s12, v8
                                        ; implicit-def: $vgpr5
	s_and_saveexec_b64 s[12:13], vcc
	s_xor_b64 s[12:13], exec, s[12:13]
	s_cbranch_execz .LBB31_1026
; %bb.1021:
	s_mov_b32 s14, 0x3c7fffff
	v_cmp_lt_u32_e32 vcc, s14, v8
                                        ; implicit-def: $vgpr5
	s_and_saveexec_b64 s[14:15], vcc
	s_xor_b64 s[14:15], exec, s[14:15]
; %bb.1022:
	v_bfe_u32 v5, v0, 4, 1
	s_mov_b32 s16, 0x407ffff
	v_add3_u32 v5, v7, v5, s16
	v_lshrrev_b32_e32 v7, 20, v5
	v_and_b32_e32 v5, 0xff00000, v5
	s_mov_b32 s16, 0x7f00000
	v_mov_b32_e32 v8, 0x7e
	v_cmp_ne_u32_e32 vcc, s16, v5
	v_cndmask_b32_e32 v5, v8, v7, vcc
                                        ; implicit-def: $vgpr7
; %bb.1023:
	s_andn2_saveexec_b64 s[14:15], s[14:15]
; %bb.1024:
	s_mov_b32 s16, 0x46800000
	v_add_f32_e64 v5, |v7|, s16
; %bb.1025:
	s_or_b64 exec, exec, s[14:15]
                                        ; implicit-def: $vgpr8
.LBB31_1026:
	s_andn2_saveexec_b64 s[12:13], s[12:13]
; %bb.1027:
	s_mov_b32 s14, 0x7f800000
	v_mov_b32_e32 v5, 0x7e
	v_mov_b32_e32 v7, 0x7f
	v_cmp_lt_u32_e32 vcc, s14, v8
	v_cndmask_b32_e32 v5, v5, v7, vcc
; %bb.1028:
	s_or_b64 exec, exec, s[12:13]
	v_lshrrev_b32_e32 v0, 8, v0
	s_movk_i32 s12, 0x80
	v_and_or_b32 v0, v0, s12, v5
	global_store_byte v[2:3], v0, off
.LBB31_1029:
	s_mov_b64 s[12:13], 0
.LBB31_1030:
	s_andn2_b64 vcc, exec, s[12:13]
	s_cbranch_vccnz .LBB31_1040
; %bb.1031:
	v_lshlrev_b32_e32 v7, 16, v1
	v_and_b32_e32 v8, 0x7fffffff, v7
	s_mov_b32 s12, 0x47800000
	v_and_b32_e32 v0, 0xffff, v1
	v_cmp_gt_u32_e32 vcc, s12, v8
                                        ; implicit-def: $vgpr5
	s_and_saveexec_b64 s[12:13], vcc
	s_xor_b64 s[12:13], exec, s[12:13]
	s_cbranch_execz .LBB31_1037
; %bb.1032:
	s_mov_b32 s14, 0x387fffff
	v_cmp_lt_u32_e32 vcc, s14, v8
                                        ; implicit-def: $vgpr5
	s_and_saveexec_b64 s[14:15], vcc
	s_xor_b64 s[14:15], exec, s[14:15]
; %bb.1033:
	v_bfe_u32 v5, v0, 5, 1
	s_mov_b32 s16, 0x80fffff
	v_add3_u32 v5, v7, v5, s16
	v_lshrrev_b32_e32 v5, 21, v5
                                        ; implicit-def: $vgpr7
; %bb.1034:
	s_andn2_saveexec_b64 s[14:15], s[14:15]
; %bb.1035:
	s_mov_b32 s16, 0x43000000
	v_add_f32_e64 v5, |v7|, s16
; %bb.1036:
	s_or_b64 exec, exec, s[14:15]
                                        ; implicit-def: $vgpr8
.LBB31_1037:
	s_andn2_saveexec_b64 s[12:13], s[12:13]
; %bb.1038:
	s_mov_b32 s14, 0x7f800000
	v_mov_b32_e32 v5, 0x7c
	v_mov_b32_e32 v7, 0x7f
	v_cmp_lt_u32_e32 vcc, s14, v8
	v_cndmask_b32_e32 v5, v5, v7, vcc
; %bb.1039:
	s_or_b64 exec, exec, s[12:13]
	v_lshrrev_b32_e32 v0, 8, v0
	s_movk_i32 s12, 0x80
	v_and_or_b32 v0, v0, s12, v5
	global_store_byte v[2:3], v0, off
.LBB31_1040:
	s_mov_b64 s[12:13], 0
.LBB31_1041:
	s_andn2_b64 vcc, exec, s[12:13]
	s_mov_b64 s[12:13], 0
	s_cbranch_vccnz .LBB31_1049
; %bb.1042:
	v_cmp_lt_i16_e32 vcc, 14, v6
	s_mov_b64 s[14:15], -1
	s_cbranch_vccz .LBB31_1046
; %bb.1043:
	v_cmp_eq_u16_e32 vcc, 15, v6
	s_mov_b64 s[0:1], -1
	s_cbranch_vccz .LBB31_1045
; %bb.1044:
	global_store_short v[2:3], v1, off
	s_mov_b64 s[0:1], 0
.LBB31_1045:
	s_mov_b64 s[14:15], 0
.LBB31_1046:
	s_and_b64 vcc, exec, s[14:15]
	s_cbranch_vccz .LBB31_1049
; %bb.1047:
	v_cmp_ne_u16_e32 vcc, 11, v6
	s_andn2_b64 s[0:1], s[0:1], exec
	s_and_b64 s[14:15], vcc, exec
	s_mov_b64 s[12:13], -1
	s_or_b64 s[0:1], s[0:1], s[14:15]
	s_branch .LBB31_1049
.LBB31_1048:
	s_mov_b64 s[12:13], 0
.LBB31_1049:
	s_andn2_b64 s[14:15], s[52:53], exec
	s_and_b64 s[0:1], s[0:1], exec
	s_and_b64 s[10:11], s[10:11], exec
	;; [unrolled: 1-line block ×3, first 2 shown]
	s_or_b64 s[52:53], s[14:15], s[0:1]
	s_or_b64 exec, exec, s[8:9]
	s_and_saveexec_b64 s[0:1], s[52:53]
	s_cbranch_execz .LBB31_988
.LBB31_1050:
	s_or_b64 s[2:3], s[2:3], exec
	s_andn2_b64 s[12:13], s[12:13], exec
	s_trap 2
	s_or_b64 exec, exec, s[0:1]
	s_and_saveexec_b64 s[0:1], s[12:13]
	s_xor_b64 s[0:1], exec, s[0:1]
	s_cbranch_execnz .LBB31_989
.LBB31_1051:
	s_or_b64 exec, exec, s[0:1]
	s_and_saveexec_b64 s[0:1], s[10:11]
	s_xor_b64 s[0:1], exec, s[0:1]
	s_cbranch_execz .LBB31_1089
.LBB31_1052:
	v_cmp_gt_i16_e32 vcc, 5, v6
	s_mov_b64 s[8:9], -1
	s_cbranch_vccnz .LBB31_1073
; %bb.1053:
	v_cmp_gt_i16_e32 vcc, 8, v6
	s_cbranch_vccnz .LBB31_1063
; %bb.1054:
	v_cmp_gt_i16_e32 vcc, 9, v6
	s_cbranch_vccnz .LBB31_1060
; %bb.1055:
	v_cmp_lt_i16_e32 vcc, 9, v6
	s_cbranch_vccz .LBB31_1057
; %bb.1056:
	s_waitcnt vmcnt(0)
	v_lshlrev_b32_e32 v0, 16, v1
	v_mov_b32_e32 v10, 0
	v_cvt_f64_f32_e32 v[8:9], v0
	v_mov_b32_e32 v11, v10
	s_mov_b64 s[8:9], 0
	global_store_dwordx4 v[2:3], v[8:11], off
.LBB31_1057:
	s_andn2_b64 vcc, exec, s[8:9]
	s_cbranch_vccnz .LBB31_1059
; %bb.1058:
	s_waitcnt vmcnt(0)
	v_lshlrev_b32_e32 v4, 16, v1
	v_mov_b32_e32 v5, 0
	global_store_dwordx2 v[2:3], v[4:5], off
.LBB31_1059:
	s_mov_b64 s[8:9], 0
.LBB31_1060:
	s_andn2_b64 vcc, exec, s[8:9]
	s_cbranch_vccnz .LBB31_1062
; %bb.1061:
	s_waitcnt vmcnt(0)
	v_lshlrev_b32_e32 v0, 16, v1
	v_cvt_f16_f32_e32 v0, v0
	global_store_dword v[2:3], v0, off
.LBB31_1062:
	s_mov_b64 s[8:9], 0
.LBB31_1063:
	s_andn2_b64 vcc, exec, s[8:9]
	s_cbranch_vccnz .LBB31_1072
; %bb.1064:
	v_cmp_gt_i16_e32 vcc, 6, v6
	s_mov_b64 s[8:9], -1
	s_cbranch_vccnz .LBB31_1070
; %bb.1065:
	v_cmp_lt_i16_e32 vcc, 6, v6
	s_cbranch_vccz .LBB31_1067
; %bb.1066:
	s_waitcnt vmcnt(0)
	v_lshlrev_b32_e32 v0, 16, v1
	v_cvt_f64_f32_e32 v[4:5], v0
	s_mov_b64 s[8:9], 0
	global_store_dwordx2 v[2:3], v[4:5], off
.LBB31_1067:
	s_andn2_b64 vcc, exec, s[8:9]
	s_cbranch_vccnz .LBB31_1069
; %bb.1068:
	s_waitcnt vmcnt(0)
	v_lshlrev_b32_e32 v0, 16, v1
	global_store_dword v[2:3], v0, off
.LBB31_1069:
	s_mov_b64 s[8:9], 0
.LBB31_1070:
	s_andn2_b64 vcc, exec, s[8:9]
	s_cbranch_vccnz .LBB31_1072
; %bb.1071:
	s_waitcnt vmcnt(0)
	v_lshlrev_b32_e32 v0, 16, v1
	v_cvt_f16_f32_e32 v0, v0
	global_store_short v[2:3], v0, off
.LBB31_1072:
	s_mov_b64 s[8:9], 0
.LBB31_1073:
	s_andn2_b64 vcc, exec, s[8:9]
	s_cbranch_vccnz .LBB31_1089
; %bb.1074:
	v_cmp_gt_i16_e32 vcc, 2, v6
	s_mov_b64 s[8:9], -1
	s_cbranch_vccnz .LBB31_1084
; %bb.1075:
	v_cmp_gt_i16_e32 vcc, 3, v6
	s_cbranch_vccnz .LBB31_1081
; %bb.1076:
	v_cmp_lt_i16_e32 vcc, 3, v6
	s_cbranch_vccz .LBB31_1078
; %bb.1077:
	s_waitcnt vmcnt(0)
	v_lshlrev_b32_e32 v0, 16, v1
	v_trunc_f32_e32 v0, v0
	s_mov_b32 s8, 0x2f800000
	v_mul_f32_e64 v4, |v0|, s8
	v_floor_f32_e32 v4, v4
	s_mov_b32 s8, 0xcf800000
	v_cvt_u32_f32_e32 v5, v4
	v_fma_f32 v4, v4, s8, |v0|
	v_cvt_u32_f32_e32 v4, v4
	v_ashrrev_i32_e32 v0, 31, v0
	v_xor_b32_e32 v5, v5, v0
	s_mov_b64 s[8:9], 0
	v_xor_b32_e32 v4, v4, v0
	v_sub_co_u32_e32 v4, vcc, v4, v0
	v_subb_co_u32_e32 v5, vcc, v5, v0, vcc
	global_store_dwordx2 v[2:3], v[4:5], off
.LBB31_1078:
	s_andn2_b64 vcc, exec, s[8:9]
	s_cbranch_vccnz .LBB31_1080
; %bb.1079:
	s_waitcnt vmcnt(0)
	v_lshlrev_b32_e32 v0, 16, v1
	v_cvt_i32_f32_e32 v0, v0
	global_store_dword v[2:3], v0, off
.LBB31_1080:
	s_mov_b64 s[8:9], 0
.LBB31_1081:
	s_andn2_b64 vcc, exec, s[8:9]
	s_cbranch_vccnz .LBB31_1083
; %bb.1082:
	s_waitcnt vmcnt(0)
	v_lshlrev_b32_e32 v0, 16, v1
	v_cvt_i32_f32_e32 v0, v0
	global_store_short v[2:3], v0, off
.LBB31_1083:
	s_mov_b64 s[8:9], 0
.LBB31_1084:
	s_andn2_b64 vcc, exec, s[8:9]
	s_cbranch_vccnz .LBB31_1089
; %bb.1085:
	v_cmp_lt_i16_e32 vcc, 0, v6
	s_mov_b64 s[8:9], -1
	s_cbranch_vccz .LBB31_1087
; %bb.1086:
	s_waitcnt vmcnt(0)
	v_lshlrev_b32_e32 v0, 16, v1
	v_cvt_i32_f32_e32 v0, v0
	s_mov_b64 s[8:9], 0
	global_store_byte v[2:3], v0, off
.LBB31_1087:
	s_andn2_b64 vcc, exec, s[8:9]
	s_cbranch_vccnz .LBB31_1089
; %bb.1088:
	s_waitcnt vmcnt(0)
	v_lshlrev_b32_e32 v0, 16, v1
	v_trunc_f32_e32 v0, v0
	s_mov_b32 s8, 0x2f800000
	v_mul_f32_e64 v1, |v0|, s8
	v_floor_f32_e32 v1, v1
	s_mov_b32 s8, 0xcf800000
	v_fma_f32 v1, v1, s8, |v0|
	v_cvt_u32_f32_e32 v1, v1
	v_ashrrev_i32_e32 v0, 31, v0
	v_xor_b32_e32 v1, v1, v0
	v_sub_u32_e32 v0, v1, v0
	global_store_byte v[2:3], v0, off
.LBB31_1089:
	s_or_b64 exec, exec, s[0:1]
	s_and_b64 s[28:29], s[2:3], exec
                                        ; implicit-def: $vgpr16
                                        ; implicit-def: $vgpr8
.LBB31_1090:
	s_or_saveexec_b64 s[30:31], s[42:43]
	s_mov_b64 s[0:1], 0
                                        ; implicit-def: $vgpr0_vgpr1
                                        ; implicit-def: $sgpr16
                                        ; implicit-def: $vgpr2
                                        ; implicit-def: $vgpr9
	s_xor_b64 exec, exec, s[30:31]
	s_cbranch_execz .LBB31_1668
; %bb.1091:
	v_cndmask_b32_e64 v0, 0, 1, s[40:41]
	v_cmp_ne_u32_e64 s[0:1], 1, v0
	s_andn2_b64 vcc, exec, s[40:41]
	s_cbranch_vccnz .LBB31_1098
; %bb.1092:
	s_mov_b32 s2, 0
	s_cmp_lg_u32 s33, 0
	v_mov_b32_e32 v14, 0
	v_mov_b32_e32 v6, 0
	s_cbranch_scc0 .LBB31_1097
; %bb.1093:
	s_min_u32 s38, s74, 15
	s_add_i32 s38, s38, 1
	s_cmp_eq_u32 s74, 2
	s_cbranch_scc1 .LBB31_1099
; %bb.1094:
	s_add_u32 s6, s34, 0xc4
	s_addc_u32 s7, s35, 0
	s_and_b32 s2, s38, 28
	s_mov_b32 s3, 0
	v_mov_b32_e32 v6, 0
	s_mov_b64 s[36:37], s[34:35]
	v_mov_b32_e32 v0, v8
	v_mov_b32_e32 v14, 0
.LBB31_1095:                            ; =>This Inner Loop Header: Depth=1
	s_load_dwordx8 s[16:23], s[36:37], 0x4
	s_load_dwordx4 s[24:27], s[36:37], 0x24
	s_load_dwordx8 s[8:15], s[6:7], 0x0
	s_add_u32 s36, s36, 48
	s_addc_u32 s37, s37, 0
	s_waitcnt vmcnt(0) lgkmcnt(0)
	v_mul_hi_u32 v1, s17, v0
	v_add_u32_e32 v1, v0, v1
	v_lshrrev_b32_e32 v1, s18, v1
	v_mul_lo_u32 v2, v1, s16
	v_mul_hi_u32 v3, s20, v1
	v_sub_u32_e32 v0, v0, v2
	v_add_u32_e32 v2, v1, v3
	v_lshrrev_b32_e32 v2, s21, v2
	v_mul_lo_u32 v4, v2, s19
	v_mul_hi_u32 v5, s23, v2
	v_sub_u32_e32 v1, v1, v4
	v_add_u32_e32 v4, v2, v5
	v_mul_lo_u32 v3, v0, s9
	v_mul_lo_u32 v0, v0, s8
	;; [unrolled: 1-line block ×4, first 2 shown]
	v_lshrrev_b32_e32 v4, s24, v4
	v_add3_u32 v1, v0, v6, v1
	v_add3_u32 v3, v3, v14, v5
	v_mul_lo_u32 v0, v4, s22
	v_mul_hi_u32 v5, s26, v4
	v_sub_u32_e32 v0, v2, v0
	v_add_u32_e32 v2, v4, v5
	v_mul_lo_u32 v5, v0, s12
	v_mul_lo_u32 v6, v0, s13
	v_lshrrev_b32_e32 v0, s27, v2
	s_add_i32 s3, s3, 4
	v_mul_lo_u32 v2, v0, s25
	s_add_u32 s6, s6, 32
	v_sub_u32_e32 v2, v4, v2
	s_addc_u32 s7, s7, 0
	v_mul_lo_u32 v4, v2, s14
	v_mul_lo_u32 v2, v2, s15
	s_cmp_lg_u32 s2, s3
	v_add3_u32 v14, v6, v3, v2
	v_add3_u32 v6, v5, v1, v4
	s_cbranch_scc1 .LBB31_1095
; %bb.1096:
	v_mov_b32_e32 v7, v14
	s_and_b32 s8, s38, 3
	s_cmp_eq_u32 s8, 0
	s_cbranch_scc0 .LBB31_1100
.LBB31_1097:
	s_cbranch_execz .LBB31_1103
	s_branch .LBB31_1105
.LBB31_1098:
                                        ; implicit-def: $vgpr14
                                        ; implicit-def: $vgpr6
	s_branch .LBB31_1103
.LBB31_1099:
	s_mov_b32 s3, s2
	s_waitcnt vmcnt(0)
	v_pk_mov_b32 v[6:7], s[2:3], s[2:3] op_sel:[0,1]
                                        ; implicit-def: $vgpr14
	v_mov_b32_e32 v0, v8
	s_and_b32 s8, s38, 3
	s_cmp_eq_u32 s8, 0
	s_cbranch_scc1 .LBB31_1097
.LBB31_1100:
	s_lshl_b32 s3, s2, 3
	s_add_u32 s3, s3, s34
	s_addc_u32 s7, 0, s35
	s_add_u32 s6, s3, 0xc4
	s_addc_u32 s7, s7, 0
	s_mul_i32 s2, s2, 12
	s_add_u32 s2, s34, s2
	s_addc_u32 s3, 0, s35
.LBB31_1101:                            ; =>This Inner Loop Header: Depth=1
	s_load_dwordx2 s[10:11], s[2:3], 0x4
	s_load_dword s9, s[2:3], 0xc
	s_load_dwordx2 s[12:13], s[6:7], 0x0
	s_add_u32 s2, s2, 12
	s_addc_u32 s3, s3, 0
	s_waitcnt lgkmcnt(0)
	v_mul_hi_u32 v1, s11, v0
	v_add_u32_e32 v1, v0, v1
	v_lshrrev_b32_e32 v1, s9, v1
	v_mul_lo_u32 v3, v1, s10
	v_mov_b32_e32 v2, v7
	s_add_u32 s6, s6, 8
	v_sub_u32_e32 v4, v0, v3
	s_addc_u32 s7, s7, 0
	s_add_i32 s8, s8, -1
	v_mad_u64_u32 v[2:3], s[10:11], v4, s13, v[2:3]
	v_mad_u64_u32 v[6:7], s[10:11], v4, s12, v[6:7]
	s_cmp_lg_u32 s8, 0
	v_mov_b32_e32 v0, v1
	v_mov_b32_e32 v7, v2
	s_cbranch_scc1 .LBB31_1101
; %bb.1102:
	v_mov_b32_e32 v14, v7
	s_cbranch_execnz .LBB31_1105
.LBB31_1103:
	s_load_dwordx4 s[8:11], s[34:35], 0x4
	s_load_dwordx2 s[2:3], s[34:35], 0xc4
	s_cmp_lt_u32 s33, 2
	s_waitcnt lgkmcnt(0)
	v_mul_hi_u32 v0, s9, v8
	v_add_u32_e32 v0, v8, v0
	v_lshrrev_b32_e32 v0, s10, v0
	s_waitcnt vmcnt(0)
	v_mul_lo_u32 v1, v0, s8
	v_sub_u32_e32 v1, v8, v1
	v_mul_lo_u32 v14, v1, s3
	v_mul_lo_u32 v6, v1, s2
	s_cbranch_scc1 .LBB31_1105
; %bb.1104:
	s_load_dwordx4 s[8:11], s[34:35], 0x10
	s_load_dwordx2 s[2:3], s[34:35], 0xcc
	s_waitcnt lgkmcnt(0)
	v_mul_hi_u32 v1, s9, v0
	v_add_u32_e32 v1, v0, v1
	v_lshrrev_b32_e32 v1, s10, v1
	v_mul_lo_u32 v1, v1, s8
	v_sub_u32_e32 v0, v0, v1
	v_mad_u64_u32 v[6:7], s[6:7], v0, s2, v[6:7]
	v_mad_u64_u32 v[14:15], s[2:3], v0, s3, v[14:15]
.LBB31_1105:
	s_and_b64 vcc, exec, s[0:1]
	v_add_u32_e32 v0, 0x80, v8
	s_cbranch_vccnz .LBB31_1112
; %bb.1106:
	s_mov_b32 s2, 0
	s_cmp_lg_u32 s33, 0
	v_mov_b32_e32 v12, 0
	v_mov_b32_e32 v4, 0
	s_cbranch_scc0 .LBB31_1111
; %bb.1107:
	s_min_u32 s38, s74, 15
	s_add_i32 s38, s38, 1
	s_cmp_eq_u32 s74, 2
	s_cbranch_scc1 .LBB31_1113
; %bb.1108:
	s_add_u32 s6, s34, 0xc4
	s_addc_u32 s7, s35, 0
	s_and_b32 s2, s38, 28
	s_mov_b32 s3, 0
	v_mov_b32_e32 v4, 0
	s_mov_b64 s[36:37], s[34:35]
	s_waitcnt vmcnt(0)
	v_mov_b32_e32 v1, v0
	v_mov_b32_e32 v12, 0
.LBB31_1109:                            ; =>This Inner Loop Header: Depth=1
	s_load_dwordx8 s[16:23], s[36:37], 0x4
	s_load_dwordx4 s[24:27], s[36:37], 0x24
	s_load_dwordx8 s[8:15], s[6:7], 0x0
	s_add_u32 s36, s36, 48
	s_addc_u32 s37, s37, 0
	s_waitcnt lgkmcnt(0)
	v_mul_hi_u32 v2, s17, v1
	v_add_u32_e32 v2, v1, v2
	v_lshrrev_b32_e32 v2, s18, v2
	v_mul_lo_u32 v3, v2, s16
	v_mul_hi_u32 v5, s20, v2
	v_sub_u32_e32 v1, v1, v3
	v_add_u32_e32 v3, v2, v5
	v_lshrrev_b32_e32 v3, s21, v3
	v_mul_lo_u32 v7, v3, s19
	v_mul_hi_u32 v9, s23, v3
	v_sub_u32_e32 v2, v2, v7
	v_add_u32_e32 v7, v3, v9
	v_mul_lo_u32 v5, v1, s9
	v_mul_lo_u32 v1, v1, s8
	;; [unrolled: 1-line block ×4, first 2 shown]
	v_lshrrev_b32_e32 v7, s24, v7
	v_add3_u32 v2, v1, v4, v2
	v_add3_u32 v4, v5, v12, v9
	v_mul_lo_u32 v1, v7, s22
	v_mul_hi_u32 v5, s26, v7
	v_sub_u32_e32 v1, v3, v1
	v_add_u32_e32 v3, v7, v5
	v_mul_lo_u32 v5, v1, s12
	v_mul_lo_u32 v9, v1, s13
	v_lshrrev_b32_e32 v1, s27, v3
	s_add_i32 s3, s3, 4
	v_mul_lo_u32 v3, v1, s25
	s_add_u32 s6, s6, 32
	v_sub_u32_e32 v3, v7, v3
	s_addc_u32 s7, s7, 0
	v_mul_lo_u32 v7, v3, s14
	v_mul_lo_u32 v3, v3, s15
	s_cmp_lg_u32 s2, s3
	v_add3_u32 v12, v9, v4, v3
	v_add3_u32 v4, v5, v2, v7
	s_cbranch_scc1 .LBB31_1109
; %bb.1110:
	v_mov_b32_e32 v5, v12
	s_and_b32 s8, s38, 3
	s_cmp_eq_u32 s8, 0
	s_cbranch_scc0 .LBB31_1114
.LBB31_1111:
	s_cbranch_execz .LBB31_1117
	s_branch .LBB31_1119
.LBB31_1112:
                                        ; implicit-def: $vgpr12
                                        ; implicit-def: $vgpr4
	s_branch .LBB31_1117
.LBB31_1113:
	s_mov_b32 s3, s2
	v_pk_mov_b32 v[4:5], s[2:3], s[2:3] op_sel:[0,1]
                                        ; implicit-def: $vgpr12
	s_waitcnt vmcnt(0)
	v_mov_b32_e32 v1, v0
	s_and_b32 s8, s38, 3
	s_cmp_eq_u32 s8, 0
	s_cbranch_scc1 .LBB31_1111
.LBB31_1114:
	s_lshl_b32 s3, s2, 3
	s_add_u32 s3, s3, s34
	s_addc_u32 s7, 0, s35
	s_add_u32 s6, s3, 0xc4
	s_addc_u32 s7, s7, 0
	s_mul_i32 s2, s2, 12
	s_add_u32 s2, s34, s2
	s_addc_u32 s3, 0, s35
.LBB31_1115:                            ; =>This Inner Loop Header: Depth=1
	s_load_dwordx2 s[10:11], s[2:3], 0x4
	s_load_dword s9, s[2:3], 0xc
	s_load_dwordx2 s[12:13], s[6:7], 0x0
	s_add_u32 s2, s2, 12
	v_mov_b32_e32 v2, v5
	s_waitcnt lgkmcnt(0)
	v_mul_hi_u32 v3, s11, v1
	v_add_u32_e32 v3, v1, v3
	v_lshrrev_b32_e32 v3, s9, v3
	s_addc_u32 s3, s3, 0
	v_mul_lo_u32 v5, v3, s10
	s_add_u32 s6, s6, 8
	v_sub_u32_e32 v5, v1, v5
	s_addc_u32 s7, s7, 0
	s_add_i32 s8, s8, -1
	v_mov_b32_e32 v1, v3
	v_mad_u64_u32 v[2:3], s[10:11], v5, s13, v[2:3]
	v_mad_u64_u32 v[4:5], s[10:11], v5, s12, v[4:5]
	s_cmp_lg_u32 s8, 0
	v_mov_b32_e32 v5, v2
	s_cbranch_scc1 .LBB31_1115
; %bb.1116:
	v_mov_b32_e32 v12, v5
	s_cbranch_execnz .LBB31_1119
.LBB31_1117:
	s_load_dwordx4 s[8:11], s[34:35], 0x4
	s_load_dwordx2 s[2:3], s[34:35], 0xc4
	s_cmp_lt_u32 s33, 2
	s_waitcnt vmcnt(0) lgkmcnt(0)
	v_mul_hi_u32 v1, s9, v0
	v_add_u32_e32 v1, v0, v1
	v_lshrrev_b32_e32 v1, s10, v1
	v_mul_lo_u32 v2, v1, s8
	v_sub_u32_e32 v0, v0, v2
	v_mul_lo_u32 v12, v0, s3
	v_mul_lo_u32 v4, v0, s2
	s_cbranch_scc1 .LBB31_1119
; %bb.1118:
	s_load_dwordx4 s[8:11], s[34:35], 0x10
	s_load_dwordx2 s[2:3], s[34:35], 0xcc
	s_waitcnt lgkmcnt(0)
	v_mul_hi_u32 v0, s9, v1
	v_add_u32_e32 v0, v1, v0
	v_lshrrev_b32_e32 v0, s10, v0
	v_mul_lo_u32 v0, v0, s8
	v_sub_u32_e32 v0, v1, v0
	v_mad_u64_u32 v[4:5], s[6:7], v0, s2, v[4:5]
	v_mad_u64_u32 v[12:13], s[2:3], v0, s3, v[12:13]
.LBB31_1119:
	s_and_b64 vcc, exec, s[0:1]
	v_add_u32_e32 v0, 0x100, v8
	s_cbranch_vccnz .LBB31_1126
; %bb.1120:
	s_mov_b32 s2, 0
	s_cmp_lg_u32 s33, 0
	v_mov_b32_e32 v10, 0
	v_mov_b32_e32 v2, 0
	s_cbranch_scc0 .LBB31_1125
; %bb.1121:
	s_min_u32 s38, s74, 15
	s_add_i32 s38, s38, 1
	s_cmp_eq_u32 s74, 2
	s_cbranch_scc1 .LBB31_1127
; %bb.1122:
	s_add_u32 s6, s34, 0xc4
	s_addc_u32 s7, s35, 0
	s_and_b32 s2, s38, 28
	s_mov_b32 s3, 0
	v_mov_b32_e32 v2, 0
	s_mov_b64 s[36:37], s[34:35]
	s_waitcnt vmcnt(0)
	v_mov_b32_e32 v1, v0
	v_mov_b32_e32 v10, 0
.LBB31_1123:                            ; =>This Inner Loop Header: Depth=1
	s_load_dwordx8 s[16:23], s[36:37], 0x4
	s_load_dwordx4 s[24:27], s[36:37], 0x24
	s_load_dwordx8 s[8:15], s[6:7], 0x0
	s_add_u32 s36, s36, 48
	s_addc_u32 s37, s37, 0
	s_waitcnt lgkmcnt(0)
	v_mul_hi_u32 v3, s17, v1
	v_add_u32_e32 v3, v1, v3
	v_lshrrev_b32_e32 v3, s18, v3
	v_mul_lo_u32 v5, v3, s16
	v_mul_hi_u32 v7, s20, v3
	v_sub_u32_e32 v1, v1, v5
	v_add_u32_e32 v5, v3, v7
	v_lshrrev_b32_e32 v5, s21, v5
	v_mul_lo_u32 v8, v5, s19
	v_mul_hi_u32 v9, s23, v5
	v_sub_u32_e32 v3, v3, v8
	v_add_u32_e32 v8, v5, v9
	v_mul_lo_u32 v7, v1, s9
	v_mul_lo_u32 v1, v1, s8
	;; [unrolled: 1-line block ×4, first 2 shown]
	v_lshrrev_b32_e32 v8, s24, v8
	v_add3_u32 v2, v1, v2, v3
	v_add3_u32 v3, v7, v10, v9
	v_mul_lo_u32 v1, v8, s22
	v_mul_hi_u32 v7, s26, v8
	v_sub_u32_e32 v1, v5, v1
	v_add_u32_e32 v5, v8, v7
	v_mul_lo_u32 v7, v1, s12
	v_mul_lo_u32 v9, v1, s13
	v_lshrrev_b32_e32 v1, s27, v5
	s_add_i32 s3, s3, 4
	v_mul_lo_u32 v5, v1, s25
	s_add_u32 s6, s6, 32
	v_sub_u32_e32 v5, v8, v5
	s_addc_u32 s7, s7, 0
	v_mul_lo_u32 v8, v5, s14
	v_mul_lo_u32 v5, v5, s15
	s_cmp_lg_u32 s2, s3
	v_add3_u32 v10, v9, v3, v5
	v_add3_u32 v2, v7, v2, v8
	s_cbranch_scc1 .LBB31_1123
; %bb.1124:
	v_mov_b32_e32 v3, v10
	s_and_b32 s8, s38, 3
	s_cmp_eq_u32 s8, 0
	s_cbranch_scc0 .LBB31_1128
.LBB31_1125:
	s_cbranch_execz .LBB31_1131
	s_branch .LBB31_1133
.LBB31_1126:
                                        ; implicit-def: $vgpr10
                                        ; implicit-def: $vgpr2
	s_branch .LBB31_1131
.LBB31_1127:
	s_mov_b32 s3, s2
	v_pk_mov_b32 v[2:3], s[2:3], s[2:3] op_sel:[0,1]
                                        ; implicit-def: $vgpr10
	s_waitcnt vmcnt(0)
	v_mov_b32_e32 v1, v0
	s_and_b32 s8, s38, 3
	s_cmp_eq_u32 s8, 0
	s_cbranch_scc1 .LBB31_1125
.LBB31_1128:
	s_lshl_b32 s3, s2, 3
	s_add_u32 s3, s3, s34
	s_addc_u32 s7, 0, s35
	s_add_u32 s6, s3, 0xc4
	s_addc_u32 s7, s7, 0
	s_mul_i32 s2, s2, 12
	s_add_u32 s2, s34, s2
	s_addc_u32 s3, 0, s35
.LBB31_1129:                            ; =>This Inner Loop Header: Depth=1
	s_load_dwordx2 s[10:11], s[2:3], 0x4
	s_load_dword s9, s[2:3], 0xc
	s_load_dwordx2 s[12:13], s[6:7], 0x0
	v_mov_b32_e32 v8, v3
	s_add_u32 s2, s2, 12
	s_waitcnt lgkmcnt(0)
	v_mul_hi_u32 v3, s11, v1
	v_add_u32_e32 v3, v1, v3
	v_lshrrev_b32_e32 v3, s9, v3
	s_addc_u32 s3, s3, 0
	v_mul_lo_u32 v5, v3, s10
	s_add_u32 s6, s6, 8
	v_sub_u32_e32 v5, v1, v5
	s_addc_u32 s7, s7, 0
	s_add_i32 s8, s8, -1
	v_mov_b32_e32 v1, v3
	v_mad_u64_u32 v[8:9], s[10:11], v5, s13, v[8:9]
	v_mad_u64_u32 v[2:3], s[10:11], v5, s12, v[2:3]
	s_cmp_lg_u32 s8, 0
	v_mov_b32_e32 v3, v8
	s_cbranch_scc1 .LBB31_1129
; %bb.1130:
	v_mov_b32_e32 v10, v3
	s_cbranch_execnz .LBB31_1133
.LBB31_1131:
	s_load_dwordx4 s[8:11], s[34:35], 0x4
	s_load_dwordx2 s[2:3], s[34:35], 0xc4
	s_cmp_lt_u32 s33, 2
	s_waitcnt vmcnt(0) lgkmcnt(0)
	v_mul_hi_u32 v1, s9, v0
	v_add_u32_e32 v1, v0, v1
	v_lshrrev_b32_e32 v1, s10, v1
	v_mul_lo_u32 v2, v1, s8
	v_sub_u32_e32 v0, v0, v2
	v_mul_lo_u32 v10, v0, s3
	v_mul_lo_u32 v2, v0, s2
	s_cbranch_scc1 .LBB31_1133
; %bb.1132:
	s_load_dwordx4 s[8:11], s[34:35], 0x10
	s_load_dwordx2 s[2:3], s[34:35], 0xcc
	s_waitcnt lgkmcnt(0)
	v_mul_hi_u32 v0, s9, v1
	v_add_u32_e32 v0, v1, v0
	v_lshrrev_b32_e32 v0, s10, v0
	v_mul_lo_u32 v0, v0, s8
	v_sub_u32_e32 v0, v1, v0
	v_mad_u64_u32 v[2:3], s[6:7], v0, s2, v[2:3]
	v_mad_u64_u32 v[10:11], s[2:3], v0, s3, v[10:11]
.LBB31_1133:
	s_and_b64 vcc, exec, s[0:1]
	s_cbranch_vccnz .LBB31_1140
; %bb.1134:
	s_mov_b32 s6, 0
	s_cmp_lg_u32 s33, 0
	v_mov_b32_e32 v8, 0
	v_mov_b32_e32 v0, 0
	s_cbranch_scc0 .LBB31_1139
; %bb.1135:
	s_min_u32 s36, s74, 15
	s_add_i32 s36, s36, 1
	s_cmp_eq_u32 s74, 2
	s_cbranch_scc1 .LBB31_1141
; %bb.1136:
	s_add_u32 s24, s34, 0xc4
	s_addc_u32 s25, s35, 0
	s_and_b32 s6, s36, 28
	s_mov_b32 s7, 0
	v_mov_b32_e32 v0, 0
	s_mov_b64 s[26:27], s[34:35]
	v_mov_b32_e32 v3, v16
	v_mov_b32_e32 v8, 0
.LBB31_1137:                            ; =>This Inner Loop Header: Depth=1
	s_load_dwordx8 s[16:23], s[26:27], 0x4
	s_load_dwordx4 s[0:3], s[26:27], 0x24
	s_load_dwordx8 s[8:15], s[24:25], 0x0
	s_add_u32 s26, s26, 48
	s_addc_u32 s27, s27, 0
	s_waitcnt vmcnt(0) lgkmcnt(0)
	v_mul_hi_u32 v1, s17, v3
	v_add_u32_e32 v1, v3, v1
	v_lshrrev_b32_e32 v1, s18, v1
	v_mul_lo_u32 v5, v1, s16
	v_mul_hi_u32 v7, s20, v1
	v_sub_u32_e32 v3, v3, v5
	v_add_u32_e32 v5, v1, v7
	v_lshrrev_b32_e32 v5, s21, v5
	v_mul_lo_u32 v9, v5, s19
	v_mul_hi_u32 v11, s23, v5
	v_sub_u32_e32 v1, v1, v9
	v_add_u32_e32 v9, v5, v11
	v_mul_lo_u32 v7, v3, s9
	v_mul_lo_u32 v3, v3, s8
	;; [unrolled: 1-line block ×4, first 2 shown]
	v_lshrrev_b32_e32 v9, s0, v9
	v_add3_u32 v0, v3, v0, v1
	v_add3_u32 v1, v7, v8, v11
	v_mul_lo_u32 v3, v9, s22
	v_mul_hi_u32 v7, s2, v9
	v_sub_u32_e32 v3, v5, v3
	v_add_u32_e32 v5, v9, v7
	v_mul_lo_u32 v7, v3, s12
	v_mul_lo_u32 v8, v3, s13
	v_lshrrev_b32_e32 v3, s3, v5
	s_add_i32 s7, s7, 4
	v_mul_lo_u32 v5, v3, s1
	s_add_u32 s24, s24, 32
	v_sub_u32_e32 v5, v9, v5
	s_addc_u32 s25, s25, 0
	v_mul_lo_u32 v9, v5, s14
	v_mul_lo_u32 v5, v5, s15
	s_cmp_lg_u32 s6, s7
	v_add3_u32 v8, v8, v1, v5
	v_add3_u32 v0, v7, v0, v9
	s_cbranch_scc1 .LBB31_1137
; %bb.1138:
	v_mov_b32_e32 v1, v8
	s_and_b32 s7, s36, 3
	s_cmp_eq_u32 s7, 0
	s_cbranch_scc0 .LBB31_1142
.LBB31_1139:
	s_cbranch_execz .LBB31_1145
	s_branch .LBB31_1147
.LBB31_1140:
                                        ; implicit-def: $vgpr8
                                        ; implicit-def: $vgpr0
	s_branch .LBB31_1145
.LBB31_1141:
	s_mov_b32 s7, s6
	s_waitcnt vmcnt(0)
	v_pk_mov_b32 v[0:1], s[6:7], s[6:7] op_sel:[0,1]
                                        ; implicit-def: $vgpr8
	v_mov_b32_e32 v3, v16
	s_and_b32 s7, s36, 3
	s_cmp_eq_u32 s7, 0
	s_cbranch_scc1 .LBB31_1139
.LBB31_1142:
	s_lshl_b32 s0, s6, 3
	s_add_u32 s0, s0, s34
	s_addc_u32 s1, 0, s35
	s_add_u32 s0, s0, 0xc4
	s_addc_u32 s1, s1, 0
	s_mul_i32 s2, s6, 12
	s_add_u32 s2, s34, s2
	s_addc_u32 s3, 0, s35
.LBB31_1143:                            ; =>This Inner Loop Header: Depth=1
	s_load_dwordx2 s[8:9], s[2:3], 0x4
	s_load_dword s6, s[2:3], 0xc
	s_load_dwordx2 s[10:11], s[0:1], 0x0
	v_mov_b32_e32 v8, v1
	s_add_u32 s2, s2, 12
	s_waitcnt lgkmcnt(0)
	v_mul_hi_u32 v1, s9, v3
	v_add_u32_e32 v1, v3, v1
	v_lshrrev_b32_e32 v1, s6, v1
	s_addc_u32 s3, s3, 0
	v_mul_lo_u32 v5, v1, s8
	s_add_u32 s0, s0, 8
	v_sub_u32_e32 v5, v3, v5
	s_addc_u32 s1, s1, 0
	s_add_i32 s7, s7, -1
	v_mov_b32_e32 v3, v1
	v_mad_u64_u32 v[8:9], s[8:9], v5, s11, v[8:9]
	v_mad_u64_u32 v[0:1], s[8:9], v5, s10, v[0:1]
	s_cmp_lg_u32 s7, 0
	v_mov_b32_e32 v1, v8
	s_cbranch_scc1 .LBB31_1143
; %bb.1144:
	v_mov_b32_e32 v8, v1
	s_cbranch_execnz .LBB31_1147
.LBB31_1145:
	s_load_dwordx4 s[0:3], s[34:35], 0x4
	s_load_dwordx2 s[6:7], s[34:35], 0xc4
	s_cmp_lt_u32 s33, 2
	s_waitcnt lgkmcnt(0)
	v_mul_hi_u32 v0, s1, v16
	v_add_u32_e32 v0, v16, v0
	s_waitcnt vmcnt(0)
	v_lshrrev_b32_e32 v1, s2, v0
	v_mul_lo_u32 v0, v1, s0
	v_sub_u32_e32 v0, v16, v0
	v_mul_lo_u32 v8, v0, s7
	v_mul_lo_u32 v0, v0, s6
	s_cbranch_scc1 .LBB31_1147
; %bb.1146:
	s_load_dwordx4 s[0:3], s[34:35], 0x10
	s_load_dwordx2 s[6:7], s[34:35], 0xcc
	s_waitcnt lgkmcnt(0)
	v_mul_hi_u32 v3, s1, v1
	v_add_u32_e32 v3, v1, v3
	v_lshrrev_b32_e32 v3, s2, v3
	v_mul_lo_u32 v3, v3, s0
	v_sub_u32_e32 v3, v1, v3
	v_mad_u64_u32 v[0:1], s[0:1], v3, s6, v[0:1]
	v_mad_u64_u32 v[8:9], s[0:1], v3, s7, v[8:9]
.LBB31_1147:
	s_load_dword s0, s[4:5], 0x164
	s_load_dwordx4 s[8:11], s[34:35], 0x148
	s_waitcnt lgkmcnt(0)
	s_lshr_b32 s18, s0, 8
	s_waitcnt vmcnt(0)
	v_mov_b32_e32 v1, s11
	v_add_co_u32_e32 v14, vcc, s10, v14
	v_addc_co_u32_e32 v15, vcc, 0, v1, vcc
	v_mov_b32_e32 v1, 11
	v_cmp_lt_i16_sdwa s[0:1], s18, v1 src0_sel:BYTE_0 src1_sel:DWORD
	s_and_b64 vcc, exec, s[0:1]
	s_cbranch_vccnz .LBB31_1154
; %bb.1148:
	v_mov_b32_e32 v1, 25
	v_cmp_gt_i16_sdwa s[0:1], s18, v1 src0_sel:BYTE_0 src1_sel:DWORD
	s_mov_b64 s[6:7], 0
	s_and_b64 vcc, exec, s[0:1]
	s_cbranch_vccz .LBB31_1156
; %bb.1149:
	v_mov_b32_e32 v1, 28
	v_cmp_gt_i16_sdwa s[0:1], s18, v1 src0_sel:BYTE_0 src1_sel:DWORD
	s_and_b64 vcc, exec, s[0:1]
	s_cbranch_vccz .LBB31_1157
; %bb.1150:
	v_mov_b32_e32 v1, 43
	v_cmp_gt_i16_sdwa s[0:1], s18, v1 src0_sel:BYTE_0 src1_sel:DWORD
	;; [unrolled: 5-line block ×3, first 2 shown]
	s_and_b64 vcc, exec, s[0:1]
	s_cbranch_vccz .LBB31_1159
; %bb.1152:
	v_mov_b32_e32 v1, 46
	v_cmp_eq_u16_sdwa s[0:1], s18, v1 src0_sel:BYTE_0 src1_sel:DWORD
	s_mov_b64 s[2:3], 0
	s_and_b64 vcc, exec, s[0:1]
	s_cbranch_vccz .LBB31_1162
; %bb.1153:
	global_load_dword v1, v[14:15], off
	s_mov_b64 s[0:1], 0
	s_mov_b64 s[12:13], -1
	s_branch .LBB31_1163
.LBB31_1154:
	s_mov_b64 s[12:13], 0
                                        ; implicit-def: $vgpr1
	s_mov_b64 s[2:3], s[28:29]
	s_cbranch_execnz .LBB31_1225
.LBB31_1155:
	s_andn2_b64 vcc, exec, s[12:13]
	s_cbranch_vccz .LBB31_1270
	s_branch .LBB31_1665
.LBB31_1156:
	s_mov_b64 s[12:13], 0
	s_mov_b64 s[0:1], 0
                                        ; implicit-def: $vgpr1
	s_cbranch_execnz .LBB31_1190
	s_branch .LBB31_1221
.LBB31_1157:
	s_mov_b64 s[12:13], 0
	s_mov_b64 s[0:1], 0
                                        ; implicit-def: $vgpr1
	s_cbranch_execz .LBB31_1189
	s_branch .LBB31_1172
.LBB31_1158:
	s_mov_b64 s[12:13], 0
	s_mov_b64 s[0:1], 0
                                        ; implicit-def: $vgpr1
	s_cbranch_execnz .LBB31_1168
	s_branch .LBB31_1171
.LBB31_1159:
	s_mov_b64 s[2:3], -1
	s_mov_b64 s[12:13], 0
	s_mov_b64 s[0:1], 0
                                        ; implicit-def: $vgpr1
	s_branch .LBB31_1163
.LBB31_1160:
	s_or_saveexec_b64 s[14:15], s[14:15]
                                        ; implicit-def: $sgpr16
	s_xor_b64 exec, exec, s[14:15]
	s_cbranch_execz .LBB31_1003
.LBB31_1161:
	s_mov_b32 s16, 0x46000000
	v_add_f32_e64 v5, |v7|, s16
	v_and_b32_e32 v5, 0xff, v5
	v_cmp_ne_u32_e32 vcc, 0, v5
	s_andn2_b64 s[12:13], s[12:13], exec
	s_and_b64 s[18:19], vcc, exec
	s_mov_b32 s16, 0
	s_or_b64 s[12:13], s[12:13], s[18:19]
	s_or_b64 exec, exec, s[14:15]
	v_mov_b32_e32 v8, s16
	s_and_saveexec_b64 s[14:15], s[12:13]
	s_cbranch_execnz .LBB31_1004
	s_branch .LBB31_1005
.LBB31_1162:
	s_mov_b64 s[0:1], -1
                                        ; implicit-def: $vgpr1
	s_mov_b64 s[12:13], 0
.LBB31_1163:
	s_and_b64 vcc, exec, s[2:3]
	s_cbranch_vccz .LBB31_1166
; %bb.1164:
	s_waitcnt vmcnt(0)
	v_mov_b32_e32 v1, 44
	v_cmp_eq_u16_sdwa s[0:1], s18, v1 src0_sel:BYTE_0 src1_sel:DWORD
	s_and_b64 vcc, exec, s[0:1]
	s_cbranch_vccz .LBB31_1167
; %bb.1165:
	global_load_ubyte v1, v[14:15], off
	s_movk_i32 s2, 0xff
	v_mov_b32_e32 v3, 0x7f800001
	v_mov_b32_e32 v5, 0x400000
	;; [unrolled: 1-line block ×3, first 2 shown]
	s_mov_b64 s[0:1], 0
	s_mov_b64 s[12:13], -1
	s_waitcnt vmcnt(0)
	v_lshlrev_b32_e32 v9, 23, v1
	v_cmp_ne_u32_e32 vcc, s2, v1
	v_cndmask_b32_e32 v3, v3, v9, vcc
	v_cmp_ne_u32_e32 vcc, 0, v1
	v_cndmask_b32_e32 v1, v5, v3, vcc
	v_add_u32_e32 v3, 0x7fff, v1
	v_lshrrev_b32_e32 v3, 16, v3
	v_cmp_o_f32_e32 vcc, v1, v1
	v_cndmask_b32_e32 v1, v7, v3, vcc
.LBB31_1166:
	s_branch .LBB31_1171
.LBB31_1167:
	s_mov_b64 s[0:1], -1
                                        ; implicit-def: $vgpr1
	s_branch .LBB31_1171
.LBB31_1168:
	s_waitcnt vmcnt(0)
	v_mov_b32_e32 v1, 29
	v_cmp_eq_u16_sdwa s[0:1], s18, v1 src0_sel:BYTE_0 src1_sel:DWORD
	s_and_b64 vcc, exec, s[0:1]
	s_cbranch_vccz .LBB31_1170
; %bb.1169:
	global_load_dwordx2 v[16:17], v[14:15], off
	s_movk_i32 s2, 0x7fff
	s_mov_b64 s[0:1], 0
	s_mov_b64 s[12:13], -1
	s_waitcnt vmcnt(0)
	v_ffbh_u32_e32 v1, v17
	v_min_u32_e32 v1, 32, v1
	v_lshlrev_b64 v[16:17], v1, v[16:17]
	v_min_u32_e32 v3, 1, v16
	v_or_b32_e32 v3, v17, v3
	v_cvt_f32_u32_e32 v3, v3
	v_sub_u32_e32 v1, 32, v1
	v_ldexp_f32 v1, v3, v1
	v_bfe_u32 v3, v1, 16, 1
	v_add3_u32 v1, v1, v3, s2
	v_lshrrev_b32_e32 v1, 16, v1
	s_branch .LBB31_1171
.LBB31_1170:
	s_mov_b64 s[0:1], -1
                                        ; implicit-def: $vgpr1
.LBB31_1171:
	s_branch .LBB31_1189
.LBB31_1172:
	s_waitcnt vmcnt(0)
	v_mov_b32_e32 v1, 27
	v_cmp_lt_i16_sdwa s[2:3], s18, v1 src0_sel:BYTE_0 src1_sel:DWORD
	s_and_b64 vcc, exec, s[2:3]
	s_cbranch_vccnz .LBB31_1175
; %bb.1173:
	v_cmp_gt_i16_sdwa s[2:3], s18, v1 src0_sel:BYTE_0 src1_sel:DWORD
	s_and_b64 vcc, exec, s[2:3]
	s_cbranch_vccz .LBB31_1176
; %bb.1174:
	global_load_dword v1, v[14:15], off
	s_movk_i32 s2, 0x7fff
	s_waitcnt vmcnt(0)
	v_cvt_f32_u32_e32 v1, v1
	v_bfe_u32 v3, v1, 16, 1
	v_add3_u32 v1, v1, v3, s2
	v_lshrrev_b32_e32 v1, 16, v1
	s_mov_b64 s[2:3], 0
	s_branch .LBB31_1177
.LBB31_1175:
	s_mov_b64 s[2:3], -1
                                        ; implicit-def: $vgpr1
	s_branch .LBB31_1180
.LBB31_1176:
	s_mov_b64 s[2:3], -1
                                        ; implicit-def: $vgpr1
.LBB31_1177:
	s_andn2_b64 vcc, exec, s[2:3]
	s_cbranch_vccnz .LBB31_1179
; %bb.1178:
	global_load_ushort v1, v[14:15], off
	s_movk_i32 s2, 0x7fff
	s_waitcnt vmcnt(0)
	v_cvt_f32_u32_e32 v1, v1
	v_bfe_u32 v3, v1, 16, 1
	v_add3_u32 v1, v1, v3, s2
	v_lshrrev_b32_e32 v1, 16, v1
.LBB31_1179:
	s_mov_b64 s[2:3], 0
.LBB31_1180:
	s_andn2_b64 vcc, exec, s[2:3]
	s_cbranch_vccnz .LBB31_1188
; %bb.1181:
	global_load_ubyte v1, v[14:15], off
	s_movk_i32 s2, 0x7f
                                        ; implicit-def: $sgpr16
	s_waitcnt vmcnt(0)
	v_cmp_lt_i16_e32 vcc, s2, v1
	s_mov_b64 s[2:3], 0
	s_and_saveexec_b64 s[12:13], vcc
	s_xor_b64 s[12:13], exec, s[12:13]
	s_cbranch_execz .LBB31_1201
; %bb.1182:
	s_movk_i32 s2, 0x80
	v_cmp_eq_u16_e32 vcc, s2, v1
	s_mov_b64 s[2:3], -1
                                        ; implicit-def: $sgpr16
	s_and_saveexec_b64 s[14:15], vcc
; %bb.1183:
	s_mov_b32 s16, 0x7f800001
	s_xor_b64 s[2:3], exec, -1
; %bb.1184:
	s_or_b64 exec, exec, s[14:15]
	s_and_b64 s[2:3], s[2:3], exec
	s_or_saveexec_b64 s[12:13], s[12:13]
	v_mov_b32_e32 v3, s16
	s_xor_b64 exec, exec, s[12:13]
	s_cbranch_execnz .LBB31_1202
.LBB31_1185:
	s_or_b64 exec, exec, s[12:13]
	s_and_saveexec_b64 s[12:13], s[2:3]
	s_cbranch_execz .LBB31_1187
.LBB31_1186:
	v_lshlrev_b32_e32 v3, 24, v1
	v_and_b32_e32 v1, 0xffff, v1
	v_and_b32_e32 v5, 7, v1
	v_ffbh_u32_e32 v9, v5
	v_min_u32_e32 v9, 32, v9
	v_subrev_u32_e32 v11, 28, v9
	v_bfe_u32 v7, v1, 3, 4
	v_lshlrev_b32_e32 v1, v11, v1
	v_sub_u32_e32 v9, 29, v9
	v_and_b32_e32 v1, 7, v1
	v_cmp_eq_u32_e32 vcc, 0, v7
	v_cndmask_b32_e32 v7, v7, v9, vcc
	v_cndmask_b32_e32 v1, v5, v1, vcc
	v_mov_b32_e32 v5, 0x3b800000
	v_lshlrev_b32_e32 v1, 20, v1
	v_and_b32_e32 v3, 0x80000000, v3
	v_lshl_add_u32 v5, v7, 23, v5
	v_or3_b32 v3, v3, v5, v1
.LBB31_1187:
	s_or_b64 exec, exec, s[12:13]
	v_bfe_u32 v1, v3, 16, 1
	s_movk_i32 s2, 0x7fff
	v_add3_u32 v1, v3, v1, s2
	v_lshrrev_b32_e32 v1, 16, v1
	v_mov_b32_e32 v5, 0x7fc0
	v_cmp_o_f32_e32 vcc, v3, v3
	v_cndmask_b32_e32 v1, v5, v1, vcc
.LBB31_1188:
	s_mov_b64 s[12:13], -1
.LBB31_1189:
	s_branch .LBB31_1221
.LBB31_1190:
	s_waitcnt vmcnt(0)
	v_mov_b32_e32 v1, 22
	v_cmp_gt_i16_sdwa s[2:3], s18, v1 src0_sel:BYTE_0 src1_sel:DWORD
	s_and_b64 vcc, exec, s[2:3]
	s_cbranch_vccz .LBB31_1200
; %bb.1191:
	v_mov_b32_e32 v1, 24
	v_cmp_lt_i16_sdwa s[2:3], s18, v1 src0_sel:BYTE_0 src1_sel:DWORD
	s_and_b64 vcc, exec, s[2:3]
	s_cbranch_vccnz .LBB31_1203
; %bb.1192:
	v_cmp_gt_i16_sdwa s[2:3], s18, v1 src0_sel:BYTE_0 src1_sel:DWORD
	s_and_b64 vcc, exec, s[2:3]
	s_cbranch_vccz .LBB31_1204
; %bb.1193:
	global_load_ubyte v1, v[14:15], off
	s_movk_i32 s2, 0x7f
                                        ; implicit-def: $sgpr14
	s_waitcnt vmcnt(0)
	v_cmp_lt_i16_e32 vcc, s2, v1
	s_mov_b64 s[2:3], 0
	s_and_saveexec_b64 s[6:7], vcc
	s_xor_b64 s[6:7], exec, s[6:7]
	s_cbranch_execz .LBB31_1215
; %bb.1194:
	s_movk_i32 s2, 0x80
	v_cmp_eq_u16_e32 vcc, s2, v1
	s_mov_b64 s[2:3], -1
                                        ; implicit-def: $sgpr14
	s_and_saveexec_b64 s[12:13], vcc
; %bb.1195:
	s_mov_b32 s14, 0x7f800001
	s_xor_b64 s[2:3], exec, -1
; %bb.1196:
	s_or_b64 exec, exec, s[12:13]
	s_and_b64 s[2:3], s[2:3], exec
	s_or_saveexec_b64 s[6:7], s[6:7]
	v_mov_b32_e32 v3, s14
	s_xor_b64 exec, exec, s[6:7]
	s_cbranch_execnz .LBB31_1216
.LBB31_1197:
	s_or_b64 exec, exec, s[6:7]
	s_and_saveexec_b64 s[6:7], s[2:3]
	s_cbranch_execz .LBB31_1199
.LBB31_1198:
	v_lshlrev_b32_e32 v3, 24, v1
	v_and_b32_e32 v1, 0xffff, v1
	v_and_b32_e32 v5, 3, v1
	v_ffbh_u32_e32 v9, v5
	v_min_u32_e32 v9, 32, v9
	v_subrev_u32_e32 v11, 29, v9
	v_bfe_u32 v7, v1, 2, 5
	v_lshlrev_b32_e32 v1, v11, v1
	v_sub_u32_e32 v9, 30, v9
	v_and_b32_e32 v1, 3, v1
	v_cmp_eq_u32_e32 vcc, 0, v7
	v_cndmask_b32_e32 v7, v7, v9, vcc
	v_cndmask_b32_e32 v1, v5, v1, vcc
	v_mov_b32_e32 v5, 0x37800000
	v_lshlrev_b32_e32 v1, 21, v1
	v_and_b32_e32 v3, 0x80000000, v3
	v_lshl_add_u32 v5, v7, 23, v5
	v_or3_b32 v3, v3, v5, v1
.LBB31_1199:
	s_or_b64 exec, exec, s[6:7]
	v_bfe_u32 v1, v3, 16, 1
	s_movk_i32 s2, 0x7fff
	v_add3_u32 v1, v3, v1, s2
	v_lshrrev_b32_e32 v1, 16, v1
	v_mov_b32_e32 v5, 0x7fc0
	v_cmp_o_f32_e32 vcc, v3, v3
	v_cndmask_b32_e32 v1, v5, v1, vcc
	s_mov_b64 s[2:3], 0
	s_branch .LBB31_1205
.LBB31_1200:
                                        ; implicit-def: $vgpr1
	s_mov_b64 s[6:7], 0
	s_branch .LBB31_1211
.LBB31_1201:
	s_or_saveexec_b64 s[12:13], s[12:13]
	v_mov_b32_e32 v3, s16
	s_xor_b64 exec, exec, s[12:13]
	s_cbranch_execz .LBB31_1185
.LBB31_1202:
	v_cmp_ne_u16_e32 vcc, 0, v1
	s_andn2_b64 s[2:3], s[2:3], exec
	s_and_b64 s[14:15], vcc, exec
	v_mov_b32_e32 v3, 0
	s_or_b64 s[2:3], s[2:3], s[14:15]
	s_or_b64 exec, exec, s[12:13]
	s_and_saveexec_b64 s[12:13], s[2:3]
	s_cbranch_execnz .LBB31_1186
	s_branch .LBB31_1187
.LBB31_1203:
	s_mov_b64 s[2:3], -1
                                        ; implicit-def: $vgpr1
	s_branch .LBB31_1208
.LBB31_1204:
	s_mov_b64 s[2:3], -1
                                        ; implicit-def: $vgpr1
.LBB31_1205:
	s_and_b64 vcc, exec, s[2:3]
	s_cbranch_vccz .LBB31_1207
; %bb.1206:
	global_load_ubyte v1, v[14:15], off
	s_mov_b32 s2, 0x7f800000
	s_brev_b32 s3, 1
	s_movk_i32 s6, 0x7fff
	v_mov_b32_e32 v3, 0x7fc0
	s_waitcnt vmcnt(0)
	v_lshlrev_b32_e32 v1, 24, v1
	v_and_b32_e32 v5, 0x7f000000, v1
	v_ffbh_u32_e32 v7, v5
	v_min_u32_e32 v7, 32, v7
	v_sub_u32_e64 v7, v7, 4 clamp
	v_lshlrev_b32_e32 v11, v7, v5
	v_lshlrev_b32_e32 v7, 23, v7
	v_lshrrev_b32_e32 v11, 4, v11
	v_add_u32_e32 v9, 0x1000000, v5
	v_sub_u32_e32 v7, v11, v7
	v_ashrrev_i32_e32 v9, 8, v9
	v_add_u32_e32 v7, 0x3c000000, v7
	v_and_or_b32 v7, v9, s2, v7
	v_cmp_ne_u32_e32 vcc, 0, v5
	v_cndmask_b32_e32 v5, 0, v7, vcc
	v_and_or_b32 v1, v1, s3, v5
	v_bfe_u32 v5, v5, 16, 1
	v_add3_u32 v5, v1, v5, s6
	v_lshrrev_b32_e32 v5, 16, v5
	v_cmp_o_f32_e32 vcc, v1, v1
	v_cndmask_b32_e32 v1, v3, v5, vcc
.LBB31_1207:
	s_mov_b64 s[2:3], 0
.LBB31_1208:
	s_andn2_b64 vcc, exec, s[2:3]
	s_cbranch_vccnz .LBB31_1210
; %bb.1209:
	global_load_ubyte v1, v[14:15], off
	s_movk_i32 s2, 0x7f00
	s_brev_b32 s3, 16
	s_brev_b32 s6, 1
	s_movk_i32 s7, 0x7fff
	v_mov_b32_e32 v3, 0x7fc0
	s_waitcnt vmcnt(0)
	v_lshlrev_b16_e32 v5, 8, v1
	v_lshlrev_b32_e32 v1, 25, v1
	v_lshrrev_b32_e32 v7, 4, v1
	v_and_or_b32 v9, v5, s2, 0.5
	v_or_b32_e32 v7, 0x70000000, v7
	v_add_f32_e32 v9, -0.5, v9
	v_mul_f32_e32 v7, 0x7800000, v7
	v_cmp_gt_u32_e32 vcc, s3, v1
	v_bfe_i32 v5, v5, 0, 16
	v_cndmask_b32_e32 v1, v7, v9, vcc
	v_and_or_b32 v5, v5, s6, v1
	v_bfe_u32 v1, v1, 16, 1
	v_add3_u32 v1, v5, v1, s7
	v_lshrrev_b32_e32 v1, 16, v1
	v_cmp_o_f32_e32 vcc, v5, v5
	v_cndmask_b32_e32 v1, v3, v1, vcc
.LBB31_1210:
	s_mov_b64 s[12:13], -1
	s_mov_b64 s[6:7], 0
	s_cbranch_execnz .LBB31_1221
.LBB31_1211:
	v_mov_b32_e32 v1, 14
	v_cmp_gt_i16_sdwa s[2:3], s18, v1 src0_sel:BYTE_0 src1_sel:DWORD
	s_and_b64 vcc, exec, s[2:3]
	s_cbranch_vccz .LBB31_1214
; %bb.1212:
	v_mov_b32_e32 v1, 15
	v_cmp_eq_u16_sdwa s[0:1], s18, v1 src0_sel:BYTE_0 src1_sel:DWORD
	s_and_b64 vcc, exec, s[0:1]
	s_cbranch_vccz .LBB31_1217
; %bb.1213:
	global_load_ushort v1, v[14:15], off
	s_mov_b64 s[0:1], 0
	s_mov_b64 s[12:13], -1
	s_branch .LBB31_1218
.LBB31_1214:
	s_mov_b64 s[2:3], -1
                                        ; implicit-def: $vgpr1
	s_branch .LBB31_1219
.LBB31_1215:
	s_or_saveexec_b64 s[6:7], s[6:7]
	v_mov_b32_e32 v3, s14
	s_xor_b64 exec, exec, s[6:7]
	s_cbranch_execz .LBB31_1197
.LBB31_1216:
	v_cmp_ne_u16_e32 vcc, 0, v1
	s_andn2_b64 s[2:3], s[2:3], exec
	s_and_b64 s[12:13], vcc, exec
	v_mov_b32_e32 v3, 0
	s_or_b64 s[2:3], s[2:3], s[12:13]
	s_or_b64 exec, exec, s[6:7]
	s_and_saveexec_b64 s[6:7], s[2:3]
	s_cbranch_execnz .LBB31_1198
	s_branch .LBB31_1199
.LBB31_1217:
	s_mov_b64 s[0:1], -1
                                        ; implicit-def: $vgpr1
.LBB31_1218:
	s_mov_b64 s[2:3], 0
.LBB31_1219:
	s_and_b64 vcc, exec, s[2:3]
	s_cbranch_vccz .LBB31_1221
; %bb.1220:
	s_waitcnt vmcnt(0)
	v_mov_b32_e32 v1, 11
	v_cmp_ne_u16_sdwa s[0:1], s18, v1 src0_sel:BYTE_0 src1_sel:DWORD
	s_mov_b64 s[6:7], -1
                                        ; implicit-def: $vgpr1
.LBB31_1221:
	s_and_b64 vcc, exec, s[0:1]
	s_mov_b64 s[2:3], s[28:29]
	s_cbranch_vccnz .LBB31_1282
; %bb.1222:
	s_andn2_b64 vcc, exec, s[6:7]
	s_cbranch_vccnz .LBB31_1224
.LBB31_1223:
	global_load_ubyte v1, v[14:15], off
	s_mov_b64 s[12:13], -1
	s_waitcnt vmcnt(0)
	v_cmp_ne_u16_e32 vcc, 0, v1
	v_cndmask_b32_e64 v1, 0, 1.0, vcc
	v_lshrrev_b32_e32 v1, 16, v1
.LBB31_1224:
	s_branch .LBB31_1155
.LBB31_1225:
	s_waitcnt vmcnt(0)
	v_mov_b32_e32 v1, 5
	v_cmp_lt_i16_sdwa s[0:1], s18, v1 src0_sel:BYTE_0 src1_sel:DWORD
	s_and_b64 vcc, exec, s[0:1]
	s_cbranch_vccnz .LBB31_1230
; %bb.1226:
	v_mov_b32_e32 v1, 8
	v_cmp_lt_i16_sdwa s[0:1], s18, v1 src0_sel:BYTE_0 src1_sel:DWORD
	s_and_b64 vcc, exec, s[0:1]
	s_cbranch_vccnz .LBB31_1231
; %bb.1227:
	;; [unrolled: 5-line block ×3, first 2 shown]
	v_cmp_gt_i16_sdwa s[0:1], s18, v1 src0_sel:BYTE_0 src1_sel:DWORD
	s_and_b64 vcc, exec, s[0:1]
	s_cbranch_vccz .LBB31_1233
; %bb.1229:
	global_load_dwordx2 v[16:17], v[14:15], off
	s_movk_i32 s0, 0x7fff
	v_mov_b32_e32 v1, 0x7fc0
	s_waitcnt vmcnt(0)
	v_cvt_f32_f64_e32 v3, v[16:17]
	v_bfe_u32 v5, v3, 16, 1
	v_add3_u32 v5, v3, v5, s0
	v_lshrrev_b32_e32 v5, 16, v5
	v_cmp_o_f32_e32 vcc, v3, v3
	v_cndmask_b32_e32 v1, v1, v5, vcc
	s_mov_b64 s[0:1], 0
	s_branch .LBB31_1234
.LBB31_1230:
                                        ; implicit-def: $vgpr1
	s_branch .LBB31_1251
.LBB31_1231:
                                        ; implicit-def: $vgpr1
	s_branch .LBB31_1240
.LBB31_1232:
	s_mov_b64 s[0:1], -1
                                        ; implicit-def: $vgpr1
	s_branch .LBB31_1237
.LBB31_1233:
	s_mov_b64 s[0:1], -1
                                        ; implicit-def: $vgpr1
.LBB31_1234:
	s_andn2_b64 vcc, exec, s[0:1]
	s_cbranch_vccnz .LBB31_1236
; %bb.1235:
	global_load_dword v1, v[14:15], off
	s_movk_i32 s0, 0x7fff
	v_mov_b32_e32 v3, 0x7fc0
	s_waitcnt vmcnt(0)
	v_bfe_u32 v5, v1, 16, 1
	v_add3_u32 v5, v1, v5, s0
	v_lshrrev_b32_e32 v5, 16, v5
	v_cmp_o_f32_e32 vcc, v1, v1
	v_cndmask_b32_e32 v1, v3, v5, vcc
.LBB31_1236:
	s_mov_b64 s[0:1], 0
.LBB31_1237:
	s_andn2_b64 vcc, exec, s[0:1]
	s_cbranch_vccnz .LBB31_1239
; %bb.1238:
	global_load_dword v1, v[14:15], off
	s_movk_i32 s0, 0x7fff
	v_mov_b32_e32 v5, 0x7fc0
	s_waitcnt vmcnt(0)
	v_cvt_f32_f16_e32 v3, v1
	v_cmp_o_f16_e32 vcc, v1, v1
	v_bfe_u32 v7, v3, 16, 1
	v_add3_u32 v3, v3, v7, s0
	v_lshrrev_b32_e32 v3, 16, v3
	v_cndmask_b32_e32 v1, v5, v3, vcc
.LBB31_1239:
	s_cbranch_execnz .LBB31_1250
.LBB31_1240:
	v_mov_b32_e32 v1, 6
	v_cmp_lt_i16_sdwa s[0:1], s18, v1 src0_sel:BYTE_0 src1_sel:DWORD
	s_and_b64 vcc, exec, s[0:1]
	s_cbranch_vccnz .LBB31_1243
; %bb.1241:
	v_cmp_gt_i16_sdwa s[0:1], s18, v1 src0_sel:BYTE_0 src1_sel:DWORD
	s_and_b64 vcc, exec, s[0:1]
	s_cbranch_vccz .LBB31_1244
; %bb.1242:
	global_load_dwordx2 v[16:17], v[14:15], off
	s_movk_i32 s0, 0x7fff
	v_mov_b32_e32 v1, 0x7fc0
	s_waitcnt vmcnt(0)
	v_cvt_f32_f64_e32 v3, v[16:17]
	v_bfe_u32 v5, v3, 16, 1
	v_add3_u32 v5, v3, v5, s0
	v_lshrrev_b32_e32 v5, 16, v5
	v_cmp_o_f32_e32 vcc, v3, v3
	v_cndmask_b32_e32 v1, v1, v5, vcc
	s_mov_b64 s[0:1], 0
	s_branch .LBB31_1245
.LBB31_1243:
	s_mov_b64 s[0:1], -1
                                        ; implicit-def: $vgpr1
	s_branch .LBB31_1248
.LBB31_1244:
	s_mov_b64 s[0:1], -1
                                        ; implicit-def: $vgpr1
.LBB31_1245:
	s_andn2_b64 vcc, exec, s[0:1]
	s_cbranch_vccnz .LBB31_1247
; %bb.1246:
	global_load_dword v1, v[14:15], off
	s_movk_i32 s0, 0x7fff
	v_mov_b32_e32 v3, 0x7fc0
	s_waitcnt vmcnt(0)
	v_bfe_u32 v5, v1, 16, 1
	v_add3_u32 v5, v1, v5, s0
	v_lshrrev_b32_e32 v5, 16, v5
	v_cmp_o_f32_e32 vcc, v1, v1
	v_cndmask_b32_e32 v1, v3, v5, vcc
.LBB31_1247:
	s_mov_b64 s[0:1], 0
.LBB31_1248:
	s_andn2_b64 vcc, exec, s[0:1]
	s_cbranch_vccnz .LBB31_1250
; %bb.1249:
	global_load_ushort v1, v[14:15], off
	s_movk_i32 s0, 0x7fff
	v_mov_b32_e32 v5, 0x7fc0
	s_waitcnt vmcnt(0)
	v_cvt_f32_f16_e32 v3, v1
	v_cmp_o_f16_e32 vcc, v1, v1
	v_bfe_u32 v7, v3, 16, 1
	v_add3_u32 v3, v3, v7, s0
	v_lshrrev_b32_e32 v3, 16, v3
	v_cndmask_b32_e32 v1, v5, v3, vcc
.LBB31_1250:
	s_cbranch_execnz .LBB31_1269
.LBB31_1251:
	v_mov_b32_e32 v1, 2
	v_cmp_lt_i16_sdwa s[0:1], s18, v1 src0_sel:BYTE_0 src1_sel:DWORD
	s_and_b64 vcc, exec, s[0:1]
	s_cbranch_vccnz .LBB31_1255
; %bb.1252:
	v_mov_b32_e32 v1, 3
	v_cmp_lt_i16_sdwa s[0:1], s18, v1 src0_sel:BYTE_0 src1_sel:DWORD
	s_and_b64 vcc, exec, s[0:1]
	s_cbranch_vccnz .LBB31_1256
; %bb.1253:
	v_cmp_gt_i16_sdwa s[0:1], s18, v1 src0_sel:BYTE_0 src1_sel:DWORD
	s_and_b64 vcc, exec, s[0:1]
	s_cbranch_vccz .LBB31_1257
; %bb.1254:
	global_load_dwordx2 v[16:17], v[14:15], off
	s_movk_i32 s0, 0x7fff
	s_waitcnt vmcnt(0)
	v_xor_b32_e32 v3, v16, v17
	v_ffbh_i32_e32 v1, v17
	v_ashrrev_i32_e32 v3, 31, v3
	v_add_u32_e32 v1, -1, v1
	v_add_u32_e32 v3, 32, v3
	v_min_u32_e32 v1, v1, v3
	v_lshlrev_b64 v[16:17], v1, v[16:17]
	v_min_u32_e32 v3, 1, v16
	v_or_b32_e32 v3, v17, v3
	v_cvt_f32_i32_e32 v3, v3
	v_sub_u32_e32 v1, 32, v1
	v_ldexp_f32 v1, v3, v1
	v_bfe_u32 v3, v1, 16, 1
	v_add3_u32 v1, v1, v3, s0
	v_lshrrev_b32_e32 v1, 16, v1
	s_mov_b64 s[0:1], 0
	s_branch .LBB31_1258
.LBB31_1255:
                                        ; implicit-def: $vgpr1
	s_branch .LBB31_1264
.LBB31_1256:
	s_mov_b64 s[0:1], -1
                                        ; implicit-def: $vgpr1
	s_branch .LBB31_1261
.LBB31_1257:
	s_mov_b64 s[0:1], -1
                                        ; implicit-def: $vgpr1
.LBB31_1258:
	s_andn2_b64 vcc, exec, s[0:1]
	s_cbranch_vccnz .LBB31_1260
; %bb.1259:
	global_load_dword v1, v[14:15], off
	s_movk_i32 s0, 0x7fff
	s_waitcnt vmcnt(0)
	v_cvt_f32_i32_e32 v1, v1
	v_bfe_u32 v3, v1, 16, 1
	v_add3_u32 v1, v1, v3, s0
	v_lshrrev_b32_e32 v1, 16, v1
.LBB31_1260:
	s_mov_b64 s[0:1], 0
.LBB31_1261:
	s_andn2_b64 vcc, exec, s[0:1]
	s_cbranch_vccnz .LBB31_1263
; %bb.1262:
	global_load_sshort v1, v[14:15], off
	s_movk_i32 s0, 0x7fff
	s_waitcnt vmcnt(0)
	v_cvt_f32_i32_e32 v1, v1
	v_bfe_u32 v3, v1, 16, 1
	v_add3_u32 v1, v1, v3, s0
	v_lshrrev_b32_e32 v1, 16, v1
.LBB31_1263:
	s_cbranch_execnz .LBB31_1269
.LBB31_1264:
	v_mov_b32_e32 v1, 0
	v_cmp_gt_i16_sdwa s[0:1], s18, v1 src0_sel:BYTE_0 src1_sel:DWORD
	s_and_b64 vcc, exec, s[0:1]
	s_cbranch_vccz .LBB31_1266
; %bb.1265:
	global_load_sbyte v1, v[14:15], off
	s_movk_i32 s0, 0x7fff
	s_waitcnt vmcnt(0)
	v_cvt_f32_i32_e32 v1, v1
	v_bfe_u32 v3, v1, 16, 1
	v_add3_u32 v1, v1, v3, s0
	v_lshrrev_b32_e32 v1, 16, v1
	s_mov_b64 s[0:1], 0
	s_branch .LBB31_1267
.LBB31_1266:
	s_mov_b64 s[0:1], -1
                                        ; implicit-def: $vgpr1
.LBB31_1267:
	s_andn2_b64 vcc, exec, s[0:1]
	s_cbranch_vccnz .LBB31_1269
; %bb.1268:
	global_load_ubyte v1, v[14:15], off
	s_movk_i32 s0, 0x7fff
	s_waitcnt vmcnt(0)
	v_cvt_f32_ubyte0_e32 v1, v1
	v_bfe_u32 v3, v1, 16, 1
	v_add3_u32 v1, v1, v3, s0
	v_lshrrev_b32_e32 v1, 16, v1
.LBB31_1269:
.LBB31_1270:
	v_mov_b32_e32 v3, s11
	v_add_co_u32_e32 v12, vcc, s10, v12
	v_addc_co_u32_e32 v13, vcc, 0, v3, vcc
	v_mov_b32_e32 v3, 11
	v_cmp_lt_i16_sdwa s[0:1], s18, v3 src0_sel:BYTE_0 src1_sel:DWORD
	s_and_b64 vcc, exec, s[0:1]
	s_cbranch_vccnz .LBB31_1277
; %bb.1271:
	v_mov_b32_e32 v3, 25
	v_cmp_gt_i16_sdwa s[0:1], s18, v3 src0_sel:BYTE_0 src1_sel:DWORD
	s_mov_b64 s[6:7], 0
	s_and_b64 vcc, exec, s[0:1]
	s_cbranch_vccz .LBB31_1279
; %bb.1272:
	v_mov_b32_e32 v3, 28
	v_cmp_gt_i16_sdwa s[0:1], s18, v3 src0_sel:BYTE_0 src1_sel:DWORD
	s_and_b64 vcc, exec, s[0:1]
	s_cbranch_vccz .LBB31_1280
; %bb.1273:
	v_mov_b32_e32 v3, 43
	v_cmp_gt_i16_sdwa s[0:1], s18, v3 src0_sel:BYTE_0 src1_sel:DWORD
	;; [unrolled: 5-line block ×3, first 2 shown]
	s_and_b64 vcc, exec, s[0:1]
	s_cbranch_vccz .LBB31_1283
; %bb.1275:
	v_mov_b32_e32 v3, 46
	v_cmp_eq_u16_sdwa s[0:1], s18, v3 src0_sel:BYTE_0 src1_sel:DWORD
	s_mov_b64 s[14:15], 0
	s_and_b64 vcc, exec, s[0:1]
	s_cbranch_vccz .LBB31_1286
; %bb.1276:
	global_load_dword v3, v[12:13], off
	s_mov_b64 s[0:1], 0
	s_mov_b64 s[12:13], -1
	s_branch .LBB31_1287
.LBB31_1277:
	s_mov_b64 s[12:13], 0
                                        ; implicit-def: $vgpr3
	s_cbranch_execnz .LBB31_1352
.LBB31_1278:
	s_andn2_b64 vcc, exec, s[12:13]
	s_cbranch_vccnz .LBB31_1665
	s_branch .LBB31_1399
.LBB31_1279:
	s_mov_b64 s[12:13], 0
	s_mov_b64 s[0:1], 0
                                        ; implicit-def: $vgpr3
	s_cbranch_execnz .LBB31_1316
	s_branch .LBB31_1348
.LBB31_1280:
	s_mov_b64 s[14:15], -1
	s_mov_b64 s[12:13], 0
	s_mov_b64 s[0:1], 0
                                        ; implicit-def: $vgpr3
	s_branch .LBB31_1297
.LBB31_1281:
	s_mov_b64 s[14:15], -1
	s_mov_b64 s[12:13], 0
	s_mov_b64 s[0:1], 0
                                        ; implicit-def: $vgpr3
	s_branch .LBB31_1292
.LBB31_1282:
	s_or_b64 s[2:3], s[28:29], exec
	s_trap 2
                                        ; implicit-def: $vgpr1
	s_cbranch_execz .LBB31_1223
	s_branch .LBB31_1224
.LBB31_1283:
	s_mov_b64 s[14:15], -1
	s_mov_b64 s[12:13], 0
	s_mov_b64 s[0:1], 0
                                        ; implicit-def: $vgpr3
	s_branch .LBB31_1287
.LBB31_1284:
	s_or_saveexec_b64 s[16:17], s[16:17]
                                        ; implicit-def: $sgpr18
	s_xor_b64 exec, exec, s[16:17]
	s_cbranch_execz .LBB31_1015
.LBB31_1285:
	s_mov_b32 s18, 0x42800000
	v_add_f32_e64 v5, |v7|, s18
	v_and_b32_e32 v5, 0xff, v5
	v_cmp_ne_u32_e32 vcc, 0, v5
	s_andn2_b64 s[14:15], s[14:15], exec
	s_and_b64 s[20:21], vcc, exec
	s_mov_b32 s18, 0
	s_or_b64 s[14:15], s[14:15], s[20:21]
	s_or_b64 exec, exec, s[16:17]
	v_mov_b32_e32 v8, s18
	s_and_saveexec_b64 s[16:17], s[14:15]
	s_cbranch_execnz .LBB31_1016
	s_branch .LBB31_1017
.LBB31_1286:
	s_mov_b64 s[0:1], -1
                                        ; implicit-def: $vgpr3
	s_mov_b64 s[12:13], 0
.LBB31_1287:
	s_and_b64 vcc, exec, s[14:15]
	s_cbranch_vccz .LBB31_1291
; %bb.1288:
	s_waitcnt vmcnt(0)
	v_mov_b32_e32 v3, 44
	v_cmp_eq_u16_sdwa s[0:1], s18, v3 src0_sel:BYTE_0 src1_sel:DWORD
	s_and_b64 vcc, exec, s[0:1]
	s_cbranch_vccz .LBB31_1290
; %bb.1289:
	global_load_ubyte v3, v[12:13], off
	s_movk_i32 s12, 0xff
	v_mov_b32_e32 v5, 0x7f800001
	v_mov_b32_e32 v7, 0x400000
	;; [unrolled: 1-line block ×3, first 2 shown]
	s_mov_b64 s[0:1], 0
	s_waitcnt vmcnt(0)
	v_lshlrev_b32_e32 v11, 23, v3
	v_cmp_ne_u32_e32 vcc, s12, v3
	v_cndmask_b32_e32 v5, v5, v11, vcc
	v_cmp_ne_u32_e32 vcc, 0, v3
	v_cndmask_b32_e32 v3, v7, v5, vcc
	v_add_u32_e32 v5, 0x7fff, v3
	v_lshrrev_b32_e32 v5, 16, v5
	v_cmp_o_f32_e32 vcc, v3, v3
	v_cndmask_b32_e32 v3, v9, v5, vcc
	s_mov_b64 s[12:13], -1
	s_branch .LBB31_1291
.LBB31_1290:
	s_mov_b64 s[0:1], -1
                                        ; implicit-def: $vgpr3
.LBB31_1291:
	s_mov_b64 s[14:15], 0
.LBB31_1292:
	s_and_b64 vcc, exec, s[14:15]
	s_cbranch_vccz .LBB31_1296
; %bb.1293:
	s_waitcnt vmcnt(0)
	v_mov_b32_e32 v3, 29
	v_cmp_eq_u16_sdwa s[0:1], s18, v3 src0_sel:BYTE_0 src1_sel:DWORD
	s_and_b64 vcc, exec, s[0:1]
	s_cbranch_vccz .LBB31_1295
; %bb.1294:
	global_load_dwordx2 v[14:15], v[12:13], off
	s_movk_i32 s12, 0x7fff
	s_mov_b64 s[0:1], 0
	s_mov_b64 s[14:15], 0
	s_waitcnt vmcnt(0)
	v_ffbh_u32_e32 v3, v15
	v_min_u32_e32 v3, 32, v3
	v_lshlrev_b64 v[14:15], v3, v[14:15]
	v_min_u32_e32 v5, 1, v14
	v_or_b32_e32 v5, v15, v5
	v_cvt_f32_u32_e32 v5, v5
	v_sub_u32_e32 v3, 32, v3
	v_ldexp_f32 v3, v5, v3
	v_bfe_u32 v5, v3, 16, 1
	v_add3_u32 v3, v3, v5, s12
	v_lshrrev_b32_e32 v3, 16, v3
	s_mov_b64 s[12:13], -1
	s_branch .LBB31_1297
.LBB31_1295:
	s_mov_b64 s[0:1], -1
                                        ; implicit-def: $vgpr3
.LBB31_1296:
	s_mov_b64 s[14:15], 0
.LBB31_1297:
	s_and_b64 vcc, exec, s[14:15]
	s_cbranch_vccz .LBB31_1315
; %bb.1298:
	s_waitcnt vmcnt(0)
	v_mov_b32_e32 v3, 27
	v_cmp_lt_i16_sdwa s[12:13], s18, v3 src0_sel:BYTE_0 src1_sel:DWORD
	s_and_b64 vcc, exec, s[12:13]
	s_cbranch_vccnz .LBB31_1301
; %bb.1299:
	v_cmp_gt_i16_sdwa s[12:13], s18, v3 src0_sel:BYTE_0 src1_sel:DWORD
	s_and_b64 vcc, exec, s[12:13]
	s_cbranch_vccz .LBB31_1302
; %bb.1300:
	global_load_dword v3, v[12:13], off
	s_movk_i32 s12, 0x7fff
	s_waitcnt vmcnt(0)
	v_cvt_f32_u32_e32 v3, v3
	v_bfe_u32 v5, v3, 16, 1
	v_add3_u32 v3, v3, v5, s12
	v_lshrrev_b32_e32 v3, 16, v3
	s_mov_b64 s[12:13], 0
	s_branch .LBB31_1303
.LBB31_1301:
	s_mov_b64 s[12:13], -1
                                        ; implicit-def: $vgpr3
	s_branch .LBB31_1306
.LBB31_1302:
	s_mov_b64 s[12:13], -1
                                        ; implicit-def: $vgpr3
.LBB31_1303:
	s_andn2_b64 vcc, exec, s[12:13]
	s_cbranch_vccnz .LBB31_1305
; %bb.1304:
	global_load_ushort v3, v[12:13], off
	s_movk_i32 s12, 0x7fff
	s_waitcnt vmcnt(0)
	v_cvt_f32_u32_e32 v3, v3
	v_bfe_u32 v5, v3, 16, 1
	v_add3_u32 v3, v3, v5, s12
	v_lshrrev_b32_e32 v3, 16, v3
.LBB31_1305:
	s_mov_b64 s[12:13], 0
.LBB31_1306:
	s_andn2_b64 vcc, exec, s[12:13]
	s_cbranch_vccnz .LBB31_1314
; %bb.1307:
	global_load_ubyte v3, v[12:13], off
	s_movk_i32 s12, 0x7f
                                        ; implicit-def: $sgpr19
	s_waitcnt vmcnt(0)
	v_cmp_lt_i16_e32 vcc, s12, v3
	s_mov_b64 s[12:13], 0
	s_and_saveexec_b64 s[14:15], vcc
	s_xor_b64 s[14:15], exec, s[14:15]
	s_cbranch_execz .LBB31_1327
; %bb.1308:
	s_movk_i32 s12, 0x80
	v_cmp_eq_u16_e32 vcc, s12, v3
	s_mov_b64 s[12:13], -1
                                        ; implicit-def: $sgpr19
	s_and_saveexec_b64 s[16:17], vcc
; %bb.1309:
	s_mov_b32 s19, 0x7f800001
	s_xor_b64 s[12:13], exec, -1
; %bb.1310:
	s_or_b64 exec, exec, s[16:17]
	s_and_b64 s[12:13], s[12:13], exec
	s_or_saveexec_b64 s[14:15], s[14:15]
	v_mov_b32_e32 v5, s19
	s_xor_b64 exec, exec, s[14:15]
	s_cbranch_execnz .LBB31_1328
.LBB31_1311:
	s_or_b64 exec, exec, s[14:15]
	s_and_saveexec_b64 s[14:15], s[12:13]
	s_cbranch_execz .LBB31_1313
.LBB31_1312:
	v_lshlrev_b32_e32 v5, 24, v3
	v_and_b32_e32 v3, 0xffff, v3
	v_and_b32_e32 v7, 7, v3
	v_ffbh_u32_e32 v11, v7
	v_min_u32_e32 v11, 32, v11
	v_subrev_u32_e32 v14, 28, v11
	v_bfe_u32 v9, v3, 3, 4
	v_lshlrev_b32_e32 v3, v14, v3
	v_sub_u32_e32 v11, 29, v11
	v_and_b32_e32 v3, 7, v3
	v_cmp_eq_u32_e32 vcc, 0, v9
	v_cndmask_b32_e32 v9, v9, v11, vcc
	v_cndmask_b32_e32 v3, v7, v3, vcc
	v_mov_b32_e32 v7, 0x3b800000
	v_lshlrev_b32_e32 v3, 20, v3
	v_and_b32_e32 v5, 0x80000000, v5
	v_lshl_add_u32 v7, v9, 23, v7
	v_or3_b32 v5, v5, v7, v3
.LBB31_1313:
	s_or_b64 exec, exec, s[14:15]
	v_bfe_u32 v3, v5, 16, 1
	s_movk_i32 s12, 0x7fff
	v_add3_u32 v3, v5, v3, s12
	v_lshrrev_b32_e32 v3, 16, v3
	v_mov_b32_e32 v7, 0x7fc0
	v_cmp_o_f32_e32 vcc, v5, v5
	v_cndmask_b32_e32 v3, v7, v3, vcc
.LBB31_1314:
	s_mov_b64 s[12:13], -1
.LBB31_1315:
	s_branch .LBB31_1348
.LBB31_1316:
	s_waitcnt vmcnt(0)
	v_mov_b32_e32 v3, 22
	v_cmp_gt_i16_sdwa s[6:7], s18, v3 src0_sel:BYTE_0 src1_sel:DWORD
	s_and_b64 vcc, exec, s[6:7]
	s_cbranch_vccz .LBB31_1326
; %bb.1317:
	v_mov_b32_e32 v3, 24
	v_cmp_lt_i16_sdwa s[6:7], s18, v3 src0_sel:BYTE_0 src1_sel:DWORD
	s_and_b64 vcc, exec, s[6:7]
	s_cbranch_vccnz .LBB31_1329
; %bb.1318:
	v_cmp_gt_i16_sdwa s[6:7], s18, v3 src0_sel:BYTE_0 src1_sel:DWORD
	s_and_b64 vcc, exec, s[6:7]
	s_cbranch_vccz .LBB31_1330
; %bb.1319:
	global_load_ubyte v3, v[12:13], off
	s_movk_i32 s6, 0x7f
                                        ; implicit-def: $sgpr16
	s_waitcnt vmcnt(0)
	v_cmp_lt_i16_e32 vcc, s6, v3
	s_mov_b64 s[6:7], 0
	s_and_saveexec_b64 s[12:13], vcc
	s_xor_b64 s[12:13], exec, s[12:13]
	s_cbranch_execz .LBB31_1342
; %bb.1320:
	s_movk_i32 s6, 0x80
	v_cmp_eq_u16_e32 vcc, s6, v3
	s_mov_b64 s[6:7], -1
                                        ; implicit-def: $sgpr16
	s_and_saveexec_b64 s[14:15], vcc
; %bb.1321:
	s_mov_b32 s16, 0x7f800001
	s_xor_b64 s[6:7], exec, -1
; %bb.1322:
	s_or_b64 exec, exec, s[14:15]
	s_and_b64 s[6:7], s[6:7], exec
	s_or_saveexec_b64 s[12:13], s[12:13]
	v_mov_b32_e32 v5, s16
	s_xor_b64 exec, exec, s[12:13]
	s_cbranch_execnz .LBB31_1343
.LBB31_1323:
	s_or_b64 exec, exec, s[12:13]
	s_and_saveexec_b64 s[12:13], s[6:7]
	s_cbranch_execz .LBB31_1325
.LBB31_1324:
	v_lshlrev_b32_e32 v5, 24, v3
	v_and_b32_e32 v3, 0xffff, v3
	v_and_b32_e32 v7, 3, v3
	v_ffbh_u32_e32 v11, v7
	v_min_u32_e32 v11, 32, v11
	v_subrev_u32_e32 v14, 29, v11
	v_bfe_u32 v9, v3, 2, 5
	v_lshlrev_b32_e32 v3, v14, v3
	v_sub_u32_e32 v11, 30, v11
	v_and_b32_e32 v3, 3, v3
	v_cmp_eq_u32_e32 vcc, 0, v9
	v_cndmask_b32_e32 v9, v9, v11, vcc
	v_cndmask_b32_e32 v3, v7, v3, vcc
	v_mov_b32_e32 v7, 0x37800000
	v_lshlrev_b32_e32 v3, 21, v3
	v_and_b32_e32 v5, 0x80000000, v5
	v_lshl_add_u32 v7, v9, 23, v7
	v_or3_b32 v5, v5, v7, v3
.LBB31_1325:
	s_or_b64 exec, exec, s[12:13]
	v_bfe_u32 v3, v5, 16, 1
	s_movk_i32 s6, 0x7fff
	v_add3_u32 v3, v5, v3, s6
	v_lshrrev_b32_e32 v3, 16, v3
	v_mov_b32_e32 v7, 0x7fc0
	v_cmp_o_f32_e32 vcc, v5, v5
	v_cndmask_b32_e32 v3, v7, v3, vcc
	s_mov_b64 s[6:7], 0
	s_branch .LBB31_1331
.LBB31_1326:
	s_mov_b64 s[6:7], -1
                                        ; implicit-def: $vgpr3
	s_branch .LBB31_1337
.LBB31_1327:
	s_or_saveexec_b64 s[14:15], s[14:15]
	v_mov_b32_e32 v5, s19
	s_xor_b64 exec, exec, s[14:15]
	s_cbranch_execz .LBB31_1311
.LBB31_1328:
	v_cmp_ne_u16_e32 vcc, 0, v3
	s_andn2_b64 s[12:13], s[12:13], exec
	s_and_b64 s[16:17], vcc, exec
	v_mov_b32_e32 v5, 0
	s_or_b64 s[12:13], s[12:13], s[16:17]
	s_or_b64 exec, exec, s[14:15]
	s_and_saveexec_b64 s[14:15], s[12:13]
	s_cbranch_execnz .LBB31_1312
	s_branch .LBB31_1313
.LBB31_1329:
	s_mov_b64 s[6:7], -1
                                        ; implicit-def: $vgpr3
	s_branch .LBB31_1334
.LBB31_1330:
	s_mov_b64 s[6:7], -1
                                        ; implicit-def: $vgpr3
.LBB31_1331:
	s_and_b64 vcc, exec, s[6:7]
	s_cbranch_vccz .LBB31_1333
; %bb.1332:
	global_load_ubyte v3, v[12:13], off
	s_mov_b32 s6, 0x7f800000
	s_brev_b32 s7, 1
	s_movk_i32 s12, 0x7fff
	v_mov_b32_e32 v5, 0x7fc0
	s_waitcnt vmcnt(0)
	v_lshlrev_b32_e32 v3, 24, v3
	v_and_b32_e32 v7, 0x7f000000, v3
	v_ffbh_u32_e32 v9, v7
	v_min_u32_e32 v9, 32, v9
	v_sub_u32_e64 v9, v9, 4 clamp
	v_lshlrev_b32_e32 v14, v9, v7
	v_lshlrev_b32_e32 v9, 23, v9
	v_lshrrev_b32_e32 v14, 4, v14
	v_add_u32_e32 v11, 0x1000000, v7
	v_sub_u32_e32 v9, v14, v9
	v_ashrrev_i32_e32 v11, 8, v11
	v_add_u32_e32 v9, 0x3c000000, v9
	v_and_or_b32 v9, v11, s6, v9
	v_cmp_ne_u32_e32 vcc, 0, v7
	v_cndmask_b32_e32 v7, 0, v9, vcc
	v_and_or_b32 v3, v3, s7, v7
	v_bfe_u32 v7, v7, 16, 1
	v_add3_u32 v7, v3, v7, s12
	v_lshrrev_b32_e32 v7, 16, v7
	v_cmp_o_f32_e32 vcc, v3, v3
	v_cndmask_b32_e32 v3, v5, v7, vcc
.LBB31_1333:
	s_mov_b64 s[6:7], 0
.LBB31_1334:
	s_andn2_b64 vcc, exec, s[6:7]
	s_cbranch_vccnz .LBB31_1336
; %bb.1335:
	global_load_ubyte v3, v[12:13], off
	s_movk_i32 s6, 0x7f00
	s_brev_b32 s7, 16
	s_brev_b32 s12, 1
	s_movk_i32 s13, 0x7fff
	v_mov_b32_e32 v5, 0x7fc0
	s_waitcnt vmcnt(0)
	v_lshlrev_b16_e32 v7, 8, v3
	v_lshlrev_b32_e32 v3, 25, v3
	v_lshrrev_b32_e32 v9, 4, v3
	v_and_or_b32 v11, v7, s6, 0.5
	v_or_b32_e32 v9, 0x70000000, v9
	v_add_f32_e32 v11, -0.5, v11
	v_mul_f32_e32 v9, 0x7800000, v9
	v_cmp_gt_u32_e32 vcc, s7, v3
	v_bfe_i32 v7, v7, 0, 16
	v_cndmask_b32_e32 v3, v9, v11, vcc
	v_and_or_b32 v7, v7, s12, v3
	v_bfe_u32 v3, v3, 16, 1
	v_add3_u32 v3, v7, v3, s13
	v_lshrrev_b32_e32 v3, 16, v3
	v_cmp_o_f32_e32 vcc, v7, v7
	v_cndmask_b32_e32 v3, v5, v3, vcc
.LBB31_1336:
	s_mov_b64 s[6:7], 0
	s_mov_b64 s[12:13], -1
.LBB31_1337:
	s_andn2_b64 vcc, exec, s[6:7]
	s_mov_b64 s[6:7], 0
	s_cbranch_vccnz .LBB31_1348
; %bb.1338:
	v_mov_b32_e32 v3, 14
	v_cmp_gt_i16_sdwa s[6:7], s18, v3 src0_sel:BYTE_0 src1_sel:DWORD
	s_and_b64 vcc, exec, s[6:7]
	s_cbranch_vccz .LBB31_1341
; %bb.1339:
	v_mov_b32_e32 v3, 15
	v_cmp_eq_u16_sdwa s[0:1], s18, v3 src0_sel:BYTE_0 src1_sel:DWORD
	s_and_b64 vcc, exec, s[0:1]
	s_cbranch_vccz .LBB31_1344
; %bb.1340:
	global_load_ushort v3, v[12:13], off
	s_mov_b64 s[0:1], 0
	s_mov_b64 s[12:13], -1
	s_branch .LBB31_1345
.LBB31_1341:
	s_mov_b64 s[14:15], -1
                                        ; implicit-def: $vgpr3
	s_branch .LBB31_1346
.LBB31_1342:
	s_or_saveexec_b64 s[12:13], s[12:13]
	v_mov_b32_e32 v5, s16
	s_xor_b64 exec, exec, s[12:13]
	s_cbranch_execz .LBB31_1323
.LBB31_1343:
	v_cmp_ne_u16_e32 vcc, 0, v3
	s_andn2_b64 s[6:7], s[6:7], exec
	s_and_b64 s[14:15], vcc, exec
	v_mov_b32_e32 v5, 0
	s_or_b64 s[6:7], s[6:7], s[14:15]
	s_or_b64 exec, exec, s[12:13]
	s_and_saveexec_b64 s[12:13], s[6:7]
	s_cbranch_execnz .LBB31_1324
	s_branch .LBB31_1325
.LBB31_1344:
	s_mov_b64 s[0:1], -1
                                        ; implicit-def: $vgpr3
.LBB31_1345:
	s_mov_b64 s[14:15], 0
.LBB31_1346:
	s_mov_b64 s[6:7], 0
	s_and_b64 vcc, exec, s[14:15]
	s_cbranch_vccz .LBB31_1348
; %bb.1347:
	s_waitcnt vmcnt(0)
	v_mov_b32_e32 v3, 11
	v_cmp_ne_u16_sdwa s[0:1], s18, v3 src0_sel:BYTE_0 src1_sel:DWORD
	s_mov_b64 s[6:7], -1
                                        ; implicit-def: $vgpr3
.LBB31_1348:
	s_and_b64 vcc, exec, s[0:1]
	s_cbranch_vccnz .LBB31_1411
; %bb.1349:
	s_andn2_b64 vcc, exec, s[6:7]
	s_cbranch_vccnz .LBB31_1351
.LBB31_1350:
	global_load_ubyte v3, v[12:13], off
	s_mov_b64 s[12:13], -1
	s_waitcnt vmcnt(0)
	v_cmp_ne_u16_e32 vcc, 0, v3
	v_cndmask_b32_e64 v3, 0, 1.0, vcc
	v_lshrrev_b32_e32 v3, 16, v3
.LBB31_1351:
	s_branch .LBB31_1278
.LBB31_1352:
	s_waitcnt vmcnt(0)
	v_mov_b32_e32 v3, 5
	v_cmp_lt_i16_sdwa s[0:1], s18, v3 src0_sel:BYTE_0 src1_sel:DWORD
	s_and_b64 vcc, exec, s[0:1]
	s_cbranch_vccnz .LBB31_1357
; %bb.1353:
	v_mov_b32_e32 v3, 8
	v_cmp_lt_i16_sdwa s[0:1], s18, v3 src0_sel:BYTE_0 src1_sel:DWORD
	s_and_b64 vcc, exec, s[0:1]
	s_cbranch_vccnz .LBB31_1358
; %bb.1354:
	;; [unrolled: 5-line block ×3, first 2 shown]
	v_cmp_gt_i16_sdwa s[0:1], s18, v3 src0_sel:BYTE_0 src1_sel:DWORD
	s_and_b64 vcc, exec, s[0:1]
	s_cbranch_vccz .LBB31_1360
; %bb.1356:
	global_load_dwordx2 v[14:15], v[12:13], off
	s_movk_i32 s0, 0x7fff
	v_mov_b32_e32 v3, 0x7fc0
	s_waitcnt vmcnt(0)
	v_cvt_f32_f64_e32 v5, v[14:15]
	v_bfe_u32 v7, v5, 16, 1
	v_add3_u32 v7, v5, v7, s0
	v_lshrrev_b32_e32 v7, 16, v7
	v_cmp_o_f32_e32 vcc, v5, v5
	v_cndmask_b32_e32 v3, v3, v7, vcc
	s_mov_b64 s[0:1], 0
	s_branch .LBB31_1361
.LBB31_1357:
                                        ; implicit-def: $vgpr3
	s_branch .LBB31_1379
.LBB31_1358:
	s_mov_b64 s[0:1], -1
                                        ; implicit-def: $vgpr3
	s_branch .LBB31_1367
.LBB31_1359:
	s_mov_b64 s[0:1], -1
                                        ; implicit-def: $vgpr3
	s_branch .LBB31_1364
.LBB31_1360:
	s_mov_b64 s[0:1], -1
                                        ; implicit-def: $vgpr3
.LBB31_1361:
	s_andn2_b64 vcc, exec, s[0:1]
	s_cbranch_vccnz .LBB31_1363
; %bb.1362:
	global_load_dword v3, v[12:13], off
	s_movk_i32 s0, 0x7fff
	v_mov_b32_e32 v5, 0x7fc0
	s_waitcnt vmcnt(0)
	v_bfe_u32 v7, v3, 16, 1
	v_add3_u32 v7, v3, v7, s0
	v_lshrrev_b32_e32 v7, 16, v7
	v_cmp_o_f32_e32 vcc, v3, v3
	v_cndmask_b32_e32 v3, v5, v7, vcc
.LBB31_1363:
	s_mov_b64 s[0:1], 0
.LBB31_1364:
	s_andn2_b64 vcc, exec, s[0:1]
	s_cbranch_vccnz .LBB31_1366
; %bb.1365:
	global_load_dword v3, v[12:13], off
	s_movk_i32 s0, 0x7fff
	v_mov_b32_e32 v7, 0x7fc0
	s_waitcnt vmcnt(0)
	v_cvt_f32_f16_e32 v5, v3
	v_cmp_o_f16_e32 vcc, v3, v3
	v_bfe_u32 v9, v5, 16, 1
	v_add3_u32 v5, v5, v9, s0
	v_lshrrev_b32_e32 v5, 16, v5
	v_cndmask_b32_e32 v3, v7, v5, vcc
.LBB31_1366:
	s_mov_b64 s[0:1], 0
.LBB31_1367:
	s_andn2_b64 vcc, exec, s[0:1]
	s_cbranch_vccnz .LBB31_1378
; %bb.1368:
	v_mov_b32_e32 v3, 6
	v_cmp_lt_i16_sdwa s[0:1], s18, v3 src0_sel:BYTE_0 src1_sel:DWORD
	s_and_b64 vcc, exec, s[0:1]
	s_cbranch_vccnz .LBB31_1371
; %bb.1369:
	v_cmp_gt_i16_sdwa s[0:1], s18, v3 src0_sel:BYTE_0 src1_sel:DWORD
	s_and_b64 vcc, exec, s[0:1]
	s_cbranch_vccz .LBB31_1372
; %bb.1370:
	global_load_dwordx2 v[14:15], v[12:13], off
	s_movk_i32 s0, 0x7fff
	v_mov_b32_e32 v3, 0x7fc0
	s_waitcnt vmcnt(0)
	v_cvt_f32_f64_e32 v5, v[14:15]
	v_bfe_u32 v7, v5, 16, 1
	v_add3_u32 v7, v5, v7, s0
	v_lshrrev_b32_e32 v7, 16, v7
	v_cmp_o_f32_e32 vcc, v5, v5
	v_cndmask_b32_e32 v3, v3, v7, vcc
	s_mov_b64 s[0:1], 0
	s_branch .LBB31_1373
.LBB31_1371:
	s_mov_b64 s[0:1], -1
                                        ; implicit-def: $vgpr3
	s_branch .LBB31_1376
.LBB31_1372:
	s_mov_b64 s[0:1], -1
                                        ; implicit-def: $vgpr3
.LBB31_1373:
	s_andn2_b64 vcc, exec, s[0:1]
	s_cbranch_vccnz .LBB31_1375
; %bb.1374:
	global_load_dword v3, v[12:13], off
	s_movk_i32 s0, 0x7fff
	v_mov_b32_e32 v5, 0x7fc0
	s_waitcnt vmcnt(0)
	v_bfe_u32 v7, v3, 16, 1
	v_add3_u32 v7, v3, v7, s0
	v_lshrrev_b32_e32 v7, 16, v7
	v_cmp_o_f32_e32 vcc, v3, v3
	v_cndmask_b32_e32 v3, v5, v7, vcc
.LBB31_1375:
	s_mov_b64 s[0:1], 0
.LBB31_1376:
	s_andn2_b64 vcc, exec, s[0:1]
	s_cbranch_vccnz .LBB31_1378
; %bb.1377:
	global_load_ushort v3, v[12:13], off
	s_movk_i32 s0, 0x7fff
	v_mov_b32_e32 v7, 0x7fc0
	s_waitcnt vmcnt(0)
	v_cvt_f32_f16_e32 v5, v3
	v_cmp_o_f16_e32 vcc, v3, v3
	v_bfe_u32 v9, v5, 16, 1
	v_add3_u32 v5, v5, v9, s0
	v_lshrrev_b32_e32 v5, 16, v5
	v_cndmask_b32_e32 v3, v7, v5, vcc
.LBB31_1378:
	s_cbranch_execnz .LBB31_1398
.LBB31_1379:
	v_mov_b32_e32 v3, 2
	v_cmp_lt_i16_sdwa s[0:1], s18, v3 src0_sel:BYTE_0 src1_sel:DWORD
	s_and_b64 vcc, exec, s[0:1]
	s_cbranch_vccnz .LBB31_1383
; %bb.1380:
	v_mov_b32_e32 v3, 3
	v_cmp_lt_i16_sdwa s[0:1], s18, v3 src0_sel:BYTE_0 src1_sel:DWORD
	s_and_b64 vcc, exec, s[0:1]
	s_cbranch_vccnz .LBB31_1384
; %bb.1381:
	v_cmp_gt_i16_sdwa s[0:1], s18, v3 src0_sel:BYTE_0 src1_sel:DWORD
	s_and_b64 vcc, exec, s[0:1]
	s_cbranch_vccz .LBB31_1385
; %bb.1382:
	global_load_dwordx2 v[14:15], v[12:13], off
	s_movk_i32 s0, 0x7fff
	s_waitcnt vmcnt(0)
	v_xor_b32_e32 v5, v14, v15
	v_ffbh_i32_e32 v3, v15
	v_ashrrev_i32_e32 v5, 31, v5
	v_add_u32_e32 v3, -1, v3
	v_add_u32_e32 v5, 32, v5
	v_min_u32_e32 v3, v3, v5
	v_lshlrev_b64 v[14:15], v3, v[14:15]
	v_min_u32_e32 v5, 1, v14
	v_or_b32_e32 v5, v15, v5
	v_cvt_f32_i32_e32 v5, v5
	v_sub_u32_e32 v3, 32, v3
	v_ldexp_f32 v3, v5, v3
	v_bfe_u32 v5, v3, 16, 1
	v_add3_u32 v3, v3, v5, s0
	v_lshrrev_b32_e32 v3, 16, v3
	s_mov_b64 s[0:1], 0
	s_branch .LBB31_1386
.LBB31_1383:
	s_mov_b64 s[0:1], -1
                                        ; implicit-def: $vgpr3
	s_branch .LBB31_1392
.LBB31_1384:
	s_mov_b64 s[0:1], -1
                                        ; implicit-def: $vgpr3
	s_branch .LBB31_1389
.LBB31_1385:
	s_mov_b64 s[0:1], -1
                                        ; implicit-def: $vgpr3
.LBB31_1386:
	s_andn2_b64 vcc, exec, s[0:1]
	s_cbranch_vccnz .LBB31_1388
; %bb.1387:
	global_load_dword v3, v[12:13], off
	s_movk_i32 s0, 0x7fff
	s_waitcnt vmcnt(0)
	v_cvt_f32_i32_e32 v3, v3
	v_bfe_u32 v5, v3, 16, 1
	v_add3_u32 v3, v3, v5, s0
	v_lshrrev_b32_e32 v3, 16, v3
.LBB31_1388:
	s_mov_b64 s[0:1], 0
.LBB31_1389:
	s_andn2_b64 vcc, exec, s[0:1]
	s_cbranch_vccnz .LBB31_1391
; %bb.1390:
	global_load_sshort v3, v[12:13], off
	s_movk_i32 s0, 0x7fff
	s_waitcnt vmcnt(0)
	v_cvt_f32_i32_e32 v3, v3
	v_bfe_u32 v5, v3, 16, 1
	v_add3_u32 v3, v3, v5, s0
	v_lshrrev_b32_e32 v3, 16, v3
.LBB31_1391:
	s_mov_b64 s[0:1], 0
.LBB31_1392:
	s_andn2_b64 vcc, exec, s[0:1]
	s_cbranch_vccnz .LBB31_1398
; %bb.1393:
	v_mov_b32_e32 v3, 0
	v_cmp_gt_i16_sdwa s[0:1], s18, v3 src0_sel:BYTE_0 src1_sel:DWORD
	s_and_b64 vcc, exec, s[0:1]
	s_cbranch_vccz .LBB31_1395
; %bb.1394:
	global_load_sbyte v3, v[12:13], off
	s_movk_i32 s0, 0x7fff
	s_waitcnt vmcnt(0)
	v_cvt_f32_i32_e32 v3, v3
	v_bfe_u32 v5, v3, 16, 1
	v_add3_u32 v3, v3, v5, s0
	v_lshrrev_b32_e32 v3, 16, v3
	s_mov_b64 s[0:1], 0
	s_branch .LBB31_1396
.LBB31_1395:
	s_mov_b64 s[0:1], -1
                                        ; implicit-def: $vgpr3
.LBB31_1396:
	s_andn2_b64 vcc, exec, s[0:1]
	s_cbranch_vccnz .LBB31_1398
; %bb.1397:
	global_load_ubyte v3, v[12:13], off
	s_movk_i32 s0, 0x7fff
	s_waitcnt vmcnt(0)
	v_cvt_f32_ubyte0_e32 v3, v3
	v_bfe_u32 v5, v3, 16, 1
	v_add3_u32 v3, v3, v5, s0
	v_lshrrev_b32_e32 v3, 16, v3
.LBB31_1398:
.LBB31_1399:
	v_mov_b32_e32 v5, s11
	v_add_co_u32_e32 v10, vcc, s10, v10
	v_addc_co_u32_e32 v11, vcc, 0, v5, vcc
	v_mov_b32_e32 v5, 11
	v_cmp_lt_i16_sdwa s[0:1], s18, v5 src0_sel:BYTE_0 src1_sel:DWORD
	s_and_b64 vcc, exec, s[0:1]
	s_cbranch_vccnz .LBB31_1406
; %bb.1400:
	v_mov_b32_e32 v5, 25
	v_cmp_gt_i16_sdwa s[0:1], s18, v5 src0_sel:BYTE_0 src1_sel:DWORD
	s_mov_b64 s[6:7], 0
	s_and_b64 vcc, exec, s[0:1]
	s_cbranch_vccz .LBB31_1408
; %bb.1401:
	v_mov_b32_e32 v5, 28
	v_cmp_gt_i16_sdwa s[0:1], s18, v5 src0_sel:BYTE_0 src1_sel:DWORD
	s_and_b64 vcc, exec, s[0:1]
	s_cbranch_vccz .LBB31_1409
; %bb.1402:
	v_mov_b32_e32 v5, 43
	v_cmp_gt_i16_sdwa s[0:1], s18, v5 src0_sel:BYTE_0 src1_sel:DWORD
	;; [unrolled: 5-line block ×3, first 2 shown]
	s_and_b64 vcc, exec, s[0:1]
	s_cbranch_vccz .LBB31_1412
; %bb.1404:
	v_mov_b32_e32 v5, 46
	v_cmp_eq_u16_sdwa s[0:1], s18, v5 src0_sel:BYTE_0 src1_sel:DWORD
	s_mov_b64 s[14:15], 0
	s_and_b64 vcc, exec, s[0:1]
	s_cbranch_vccz .LBB31_1413
; %bb.1405:
	global_load_dword v12, v[10:11], off
	s_mov_b64 s[0:1], 0
	s_mov_b64 s[12:13], -1
	s_branch .LBB31_1414
.LBB31_1406:
	s_mov_b64 s[12:13], 0
                                        ; implicit-def: $vgpr12
	s_cbranch_execnz .LBB31_1480
.LBB31_1407:
	s_andn2_b64 vcc, exec, s[12:13]
	s_cbranch_vccnz .LBB31_1665
	s_branch .LBB31_1528
.LBB31_1408:
	s_mov_b64 s[14:15], -1
	s_mov_b64 s[12:13], 0
	s_mov_b64 s[0:1], 0
                                        ; implicit-def: $vgpr12
	s_branch .LBB31_1443
.LBB31_1409:
	s_mov_b64 s[14:15], -1
	s_mov_b64 s[12:13], 0
	s_mov_b64 s[0:1], 0
                                        ; implicit-def: $vgpr12
	s_branch .LBB31_1424
.LBB31_1410:
	s_mov_b64 s[14:15], -1
	s_mov_b64 s[12:13], 0
	s_mov_b64 s[0:1], 0
                                        ; implicit-def: $vgpr12
	s_branch .LBB31_1419
.LBB31_1411:
	s_trap 2
	s_or_b64 s[2:3], s[2:3], exec
                                        ; implicit-def: $vgpr3
	s_cbranch_execz .LBB31_1350
	s_branch .LBB31_1351
.LBB31_1412:
	s_mov_b64 s[14:15], -1
	s_mov_b64 s[12:13], 0
	s_mov_b64 s[0:1], 0
                                        ; implicit-def: $vgpr12
	s_branch .LBB31_1414
.LBB31_1413:
	s_mov_b64 s[0:1], -1
                                        ; implicit-def: $vgpr12
	s_mov_b64 s[12:13], 0
.LBB31_1414:
	s_and_b64 vcc, exec, s[14:15]
	s_cbranch_vccz .LBB31_1418
; %bb.1415:
	v_mov_b32_e32 v5, 44
	v_cmp_eq_u16_sdwa s[0:1], s18, v5 src0_sel:BYTE_0 src1_sel:DWORD
	s_and_b64 vcc, exec, s[0:1]
	s_cbranch_vccz .LBB31_1417
; %bb.1416:
	global_load_ubyte v5, v[10:11], off
	s_movk_i32 s12, 0xff
	v_mov_b32_e32 v7, 0x7f800001
	v_mov_b32_e32 v9, 0x400000
	s_waitcnt vmcnt(1)
	v_mov_b32_e32 v12, 0x7fc0
	s_mov_b64 s[0:1], 0
	s_waitcnt vmcnt(0)
	v_lshlrev_b32_e32 v13, 23, v5
	v_cmp_ne_u32_e32 vcc, s12, v5
	v_cndmask_b32_e32 v7, v7, v13, vcc
	v_cmp_ne_u32_e32 vcc, 0, v5
	v_cndmask_b32_e32 v5, v9, v7, vcc
	v_add_u32_e32 v7, 0x7fff, v5
	v_lshrrev_b32_e32 v7, 16, v7
	v_cmp_o_f32_e32 vcc, v5, v5
	v_cndmask_b32_e32 v12, v12, v7, vcc
	s_mov_b64 s[12:13], -1
	s_branch .LBB31_1418
.LBB31_1417:
	s_mov_b64 s[0:1], -1
                                        ; implicit-def: $vgpr12
.LBB31_1418:
	s_mov_b64 s[14:15], 0
.LBB31_1419:
	s_and_b64 vcc, exec, s[14:15]
	s_cbranch_vccz .LBB31_1423
; %bb.1420:
	v_mov_b32_e32 v5, 29
	v_cmp_eq_u16_sdwa s[0:1], s18, v5 src0_sel:BYTE_0 src1_sel:DWORD
	s_and_b64 vcc, exec, s[0:1]
	s_cbranch_vccz .LBB31_1422
; %bb.1421:
	global_load_dwordx2 v[12:13], v[10:11], off
	s_movk_i32 s12, 0x7fff
	s_mov_b64 s[0:1], 0
	s_mov_b64 s[14:15], 0
	s_waitcnt vmcnt(0)
	v_ffbh_u32_e32 v5, v13
	v_min_u32_e32 v5, 32, v5
	v_lshlrev_b64 v[12:13], v5, v[12:13]
	v_min_u32_e32 v7, 1, v12
	v_or_b32_e32 v7, v13, v7
	v_cvt_f32_u32_e32 v7, v7
	v_sub_u32_e32 v5, 32, v5
	v_ldexp_f32 v5, v7, v5
	v_bfe_u32 v7, v5, 16, 1
	v_add3_u32 v5, v5, v7, s12
	v_lshrrev_b32_e32 v12, 16, v5
	s_mov_b64 s[12:13], -1
	s_branch .LBB31_1424
.LBB31_1422:
	s_mov_b64 s[0:1], -1
                                        ; implicit-def: $vgpr12
.LBB31_1423:
	s_mov_b64 s[14:15], 0
.LBB31_1424:
	s_and_b64 vcc, exec, s[14:15]
	s_cbranch_vccz .LBB31_1442
; %bb.1425:
	v_mov_b32_e32 v5, 27
	v_cmp_lt_i16_sdwa s[12:13], s18, v5 src0_sel:BYTE_0 src1_sel:DWORD
	s_and_b64 vcc, exec, s[12:13]
	s_cbranch_vccnz .LBB31_1428
; %bb.1426:
	v_cmp_gt_i16_sdwa s[12:13], s18, v5 src0_sel:BYTE_0 src1_sel:DWORD
	s_and_b64 vcc, exec, s[12:13]
	s_cbranch_vccz .LBB31_1429
; %bb.1427:
	global_load_dword v5, v[10:11], off
	s_movk_i32 s12, 0x7fff
	s_waitcnt vmcnt(0)
	v_cvt_f32_u32_e32 v5, v5
	v_bfe_u32 v7, v5, 16, 1
	v_add3_u32 v5, v5, v7, s12
	v_lshrrev_b32_e32 v12, 16, v5
	s_mov_b64 s[12:13], 0
	s_branch .LBB31_1430
.LBB31_1428:
	s_mov_b64 s[12:13], -1
                                        ; implicit-def: $vgpr12
	s_branch .LBB31_1433
.LBB31_1429:
	s_mov_b64 s[12:13], -1
                                        ; implicit-def: $vgpr12
.LBB31_1430:
	s_andn2_b64 vcc, exec, s[12:13]
	s_cbranch_vccnz .LBB31_1432
; %bb.1431:
	global_load_ushort v5, v[10:11], off
	s_movk_i32 s12, 0x7fff
	s_waitcnt vmcnt(0)
	v_cvt_f32_u32_e32 v5, v5
	v_bfe_u32 v7, v5, 16, 1
	v_add3_u32 v5, v5, v7, s12
	v_lshrrev_b32_e32 v12, 16, v5
.LBB31_1432:
	s_mov_b64 s[12:13], 0
.LBB31_1433:
	s_andn2_b64 vcc, exec, s[12:13]
	s_cbranch_vccnz .LBB31_1441
; %bb.1434:
	global_load_ubyte v5, v[10:11], off
	s_movk_i32 s12, 0x7f
                                        ; implicit-def: $sgpr19
	s_waitcnt vmcnt(0)
	v_cmp_lt_i16_e32 vcc, s12, v5
	s_mov_b64 s[12:13], 0
	s_and_saveexec_b64 s[14:15], vcc
	s_xor_b64 s[14:15], exec, s[14:15]
	s_cbranch_execz .LBB31_1455
; %bb.1435:
	s_movk_i32 s12, 0x80
	v_cmp_eq_u16_e32 vcc, s12, v5
	s_mov_b64 s[12:13], -1
                                        ; implicit-def: $sgpr19
	s_and_saveexec_b64 s[16:17], vcc
; %bb.1436:
	s_mov_b32 s19, 0x7f800001
	s_xor_b64 s[12:13], exec, -1
; %bb.1437:
	s_or_b64 exec, exec, s[16:17]
	s_and_b64 s[12:13], s[12:13], exec
	s_or_saveexec_b64 s[14:15], s[14:15]
	v_mov_b32_e32 v7, s19
	s_xor_b64 exec, exec, s[14:15]
	s_cbranch_execnz .LBB31_1456
.LBB31_1438:
	s_or_b64 exec, exec, s[14:15]
	s_and_saveexec_b64 s[14:15], s[12:13]
	s_cbranch_execz .LBB31_1440
.LBB31_1439:
	v_lshlrev_b32_e32 v7, 24, v5
	v_and_b32_e32 v5, 0xffff, v5
	v_and_b32_e32 v9, 7, v5
	v_ffbh_u32_e32 v13, v9
	v_min_u32_e32 v13, 32, v13
	v_subrev_u32_e32 v14, 28, v13
	v_bfe_u32 v12, v5, 3, 4
	v_lshlrev_b32_e32 v5, v14, v5
	v_sub_u32_e32 v13, 29, v13
	v_and_b32_e32 v5, 7, v5
	v_cmp_eq_u32_e32 vcc, 0, v12
	v_cndmask_b32_e32 v12, v12, v13, vcc
	v_cndmask_b32_e32 v5, v9, v5, vcc
	v_mov_b32_e32 v9, 0x3b800000
	v_lshlrev_b32_e32 v5, 20, v5
	v_and_b32_e32 v7, 0x80000000, v7
	v_lshl_add_u32 v9, v12, 23, v9
	v_or3_b32 v7, v7, v9, v5
.LBB31_1440:
	s_or_b64 exec, exec, s[14:15]
	v_bfe_u32 v5, v7, 16, 1
	s_movk_i32 s12, 0x7fff
	v_add3_u32 v5, v7, v5, s12
	v_lshrrev_b32_e32 v5, 16, v5
	v_mov_b32_e32 v9, 0x7fc0
	v_cmp_o_f32_e32 vcc, v7, v7
	v_cndmask_b32_e32 v12, v9, v5, vcc
.LBB31_1441:
	s_mov_b64 s[12:13], -1
.LBB31_1442:
	s_mov_b64 s[14:15], 0
.LBB31_1443:
	s_and_b64 vcc, exec, s[14:15]
	s_cbranch_vccz .LBB31_1476
; %bb.1444:
	v_mov_b32_e32 v5, 22
	v_cmp_gt_i16_sdwa s[6:7], s18, v5 src0_sel:BYTE_0 src1_sel:DWORD
	s_and_b64 vcc, exec, s[6:7]
	s_cbranch_vccz .LBB31_1454
; %bb.1445:
	v_mov_b32_e32 v5, 24
	v_cmp_lt_i16_sdwa s[6:7], s18, v5 src0_sel:BYTE_0 src1_sel:DWORD
	s_and_b64 vcc, exec, s[6:7]
	s_cbranch_vccnz .LBB31_1457
; %bb.1446:
	v_cmp_gt_i16_sdwa s[6:7], s18, v5 src0_sel:BYTE_0 src1_sel:DWORD
	s_and_b64 vcc, exec, s[6:7]
	s_cbranch_vccz .LBB31_1458
; %bb.1447:
	global_load_ubyte v5, v[10:11], off
	s_movk_i32 s6, 0x7f
                                        ; implicit-def: $sgpr16
	s_waitcnt vmcnt(0)
	v_cmp_lt_i16_e32 vcc, s6, v5
	s_mov_b64 s[6:7], 0
	s_and_saveexec_b64 s[12:13], vcc
	s_xor_b64 s[12:13], exec, s[12:13]
	s_cbranch_execz .LBB31_1470
; %bb.1448:
	s_movk_i32 s6, 0x80
	v_cmp_eq_u16_e32 vcc, s6, v5
	s_mov_b64 s[6:7], -1
                                        ; implicit-def: $sgpr16
	s_and_saveexec_b64 s[14:15], vcc
; %bb.1449:
	s_mov_b32 s16, 0x7f800001
	s_xor_b64 s[6:7], exec, -1
; %bb.1450:
	s_or_b64 exec, exec, s[14:15]
	s_and_b64 s[6:7], s[6:7], exec
	s_or_saveexec_b64 s[12:13], s[12:13]
	v_mov_b32_e32 v7, s16
	s_xor_b64 exec, exec, s[12:13]
	s_cbranch_execnz .LBB31_1471
.LBB31_1451:
	s_or_b64 exec, exec, s[12:13]
	s_and_saveexec_b64 s[12:13], s[6:7]
	s_cbranch_execz .LBB31_1453
.LBB31_1452:
	v_lshlrev_b32_e32 v7, 24, v5
	v_and_b32_e32 v5, 0xffff, v5
	v_and_b32_e32 v9, 3, v5
	v_ffbh_u32_e32 v13, v9
	v_min_u32_e32 v13, 32, v13
	v_subrev_u32_e32 v14, 29, v13
	v_bfe_u32 v12, v5, 2, 5
	v_lshlrev_b32_e32 v5, v14, v5
	v_sub_u32_e32 v13, 30, v13
	v_and_b32_e32 v5, 3, v5
	v_cmp_eq_u32_e32 vcc, 0, v12
	v_cndmask_b32_e32 v12, v12, v13, vcc
	v_cndmask_b32_e32 v5, v9, v5, vcc
	v_mov_b32_e32 v9, 0x37800000
	v_lshlrev_b32_e32 v5, 21, v5
	v_and_b32_e32 v7, 0x80000000, v7
	v_lshl_add_u32 v9, v12, 23, v9
	v_or3_b32 v7, v7, v9, v5
.LBB31_1453:
	s_or_b64 exec, exec, s[12:13]
	v_bfe_u32 v5, v7, 16, 1
	s_movk_i32 s6, 0x7fff
	v_add3_u32 v5, v7, v5, s6
	v_lshrrev_b32_e32 v5, 16, v5
	v_mov_b32_e32 v9, 0x7fc0
	v_cmp_o_f32_e32 vcc, v7, v7
	v_cndmask_b32_e32 v12, v9, v5, vcc
	s_mov_b64 s[6:7], 0
	s_branch .LBB31_1459
.LBB31_1454:
	s_mov_b64 s[6:7], -1
                                        ; implicit-def: $vgpr12
	s_branch .LBB31_1465
.LBB31_1455:
	s_or_saveexec_b64 s[14:15], s[14:15]
	v_mov_b32_e32 v7, s19
	s_xor_b64 exec, exec, s[14:15]
	s_cbranch_execz .LBB31_1438
.LBB31_1456:
	v_cmp_ne_u16_e32 vcc, 0, v5
	s_andn2_b64 s[12:13], s[12:13], exec
	s_and_b64 s[16:17], vcc, exec
	v_mov_b32_e32 v7, 0
	s_or_b64 s[12:13], s[12:13], s[16:17]
	s_or_b64 exec, exec, s[14:15]
	s_and_saveexec_b64 s[14:15], s[12:13]
	s_cbranch_execnz .LBB31_1439
	s_branch .LBB31_1440
.LBB31_1457:
	s_mov_b64 s[6:7], -1
                                        ; implicit-def: $vgpr12
	s_branch .LBB31_1462
.LBB31_1458:
	s_mov_b64 s[6:7], -1
                                        ; implicit-def: $vgpr12
.LBB31_1459:
	s_and_b64 vcc, exec, s[6:7]
	s_cbranch_vccz .LBB31_1461
; %bb.1460:
	global_load_ubyte v5, v[10:11], off
	s_mov_b32 s6, 0x7f800000
	s_brev_b32 s7, 1
	s_movk_i32 s12, 0x7fff
	v_mov_b32_e32 v7, 0x7fc0
	s_waitcnt vmcnt(0)
	v_lshlrev_b32_e32 v5, 24, v5
	v_and_b32_e32 v9, 0x7f000000, v5
	v_ffbh_u32_e32 v12, v9
	v_min_u32_e32 v12, 32, v12
	v_sub_u32_e64 v12, v12, 4 clamp
	v_lshlrev_b32_e32 v14, v12, v9
	v_lshlrev_b32_e32 v12, 23, v12
	v_lshrrev_b32_e32 v14, 4, v14
	v_add_u32_e32 v13, 0x1000000, v9
	v_sub_u32_e32 v12, v14, v12
	v_ashrrev_i32_e32 v13, 8, v13
	v_add_u32_e32 v12, 0x3c000000, v12
	v_and_or_b32 v12, v13, s6, v12
	v_cmp_ne_u32_e32 vcc, 0, v9
	v_cndmask_b32_e32 v9, 0, v12, vcc
	v_and_or_b32 v5, v5, s7, v9
	v_bfe_u32 v9, v9, 16, 1
	v_add3_u32 v9, v5, v9, s12
	v_lshrrev_b32_e32 v9, 16, v9
	v_cmp_o_f32_e32 vcc, v5, v5
	v_cndmask_b32_e32 v12, v7, v9, vcc
.LBB31_1461:
	s_mov_b64 s[6:7], 0
.LBB31_1462:
	s_andn2_b64 vcc, exec, s[6:7]
	s_cbranch_vccnz .LBB31_1464
; %bb.1463:
	global_load_ubyte v5, v[10:11], off
	s_movk_i32 s6, 0x7f00
	s_brev_b32 s7, 16
	s_brev_b32 s12, 1
	s_movk_i32 s13, 0x7fff
	v_mov_b32_e32 v7, 0x7fc0
	s_waitcnt vmcnt(0)
	v_lshlrev_b16_e32 v9, 8, v5
	v_lshlrev_b32_e32 v5, 25, v5
	v_lshrrev_b32_e32 v12, 4, v5
	v_and_or_b32 v13, v9, s6, 0.5
	v_or_b32_e32 v12, 0x70000000, v12
	v_add_f32_e32 v13, -0.5, v13
	v_mul_f32_e32 v12, 0x7800000, v12
	v_cmp_gt_u32_e32 vcc, s7, v5
	v_bfe_i32 v9, v9, 0, 16
	v_cndmask_b32_e32 v5, v12, v13, vcc
	v_and_or_b32 v9, v9, s12, v5
	v_bfe_u32 v5, v5, 16, 1
	v_add3_u32 v5, v9, v5, s13
	v_lshrrev_b32_e32 v5, 16, v5
	v_cmp_o_f32_e32 vcc, v9, v9
	v_cndmask_b32_e32 v12, v7, v5, vcc
.LBB31_1464:
	s_mov_b64 s[6:7], 0
	s_mov_b64 s[12:13], -1
.LBB31_1465:
	s_andn2_b64 vcc, exec, s[6:7]
	s_mov_b64 s[6:7], 0
	s_cbranch_vccnz .LBB31_1476
; %bb.1466:
	v_mov_b32_e32 v5, 14
	v_cmp_gt_i16_sdwa s[6:7], s18, v5 src0_sel:BYTE_0 src1_sel:DWORD
	s_and_b64 vcc, exec, s[6:7]
	s_cbranch_vccz .LBB31_1469
; %bb.1467:
	v_mov_b32_e32 v5, 15
	v_cmp_eq_u16_sdwa s[0:1], s18, v5 src0_sel:BYTE_0 src1_sel:DWORD
	s_and_b64 vcc, exec, s[0:1]
	s_cbranch_vccz .LBB31_1472
; %bb.1468:
	global_load_ushort v12, v[10:11], off
	s_mov_b64 s[0:1], 0
	s_mov_b64 s[12:13], -1
	s_branch .LBB31_1473
.LBB31_1469:
	s_mov_b64 s[14:15], -1
                                        ; implicit-def: $vgpr12
	s_branch .LBB31_1474
.LBB31_1470:
	s_or_saveexec_b64 s[12:13], s[12:13]
	v_mov_b32_e32 v7, s16
	s_xor_b64 exec, exec, s[12:13]
	s_cbranch_execz .LBB31_1451
.LBB31_1471:
	v_cmp_ne_u16_e32 vcc, 0, v5
	s_andn2_b64 s[6:7], s[6:7], exec
	s_and_b64 s[14:15], vcc, exec
	v_mov_b32_e32 v7, 0
	s_or_b64 s[6:7], s[6:7], s[14:15]
	s_or_b64 exec, exec, s[12:13]
	s_and_saveexec_b64 s[12:13], s[6:7]
	s_cbranch_execnz .LBB31_1452
	s_branch .LBB31_1453
.LBB31_1472:
	s_mov_b64 s[0:1], -1
                                        ; implicit-def: $vgpr12
.LBB31_1473:
	s_mov_b64 s[14:15], 0
.LBB31_1474:
	s_mov_b64 s[6:7], 0
	s_and_b64 vcc, exec, s[14:15]
	s_cbranch_vccz .LBB31_1476
; %bb.1475:
	v_mov_b32_e32 v5, 11
	v_cmp_ne_u16_sdwa s[0:1], s18, v5 src0_sel:BYTE_0 src1_sel:DWORD
	s_mov_b64 s[6:7], -1
                                        ; implicit-def: $vgpr12
.LBB31_1476:
	s_and_b64 vcc, exec, s[0:1]
	s_cbranch_vccnz .LBB31_1539
; %bb.1477:
	s_andn2_b64 vcc, exec, s[6:7]
	s_cbranch_vccnz .LBB31_1479
.LBB31_1478:
	global_load_ubyte v5, v[10:11], off
	s_mov_b64 s[12:13], -1
	s_waitcnt vmcnt(0)
	v_cmp_ne_u16_e32 vcc, 0, v5
	v_cndmask_b32_e64 v5, 0, 1.0, vcc
	v_lshrrev_b32_e32 v12, 16, v5
.LBB31_1479:
	s_branch .LBB31_1407
.LBB31_1480:
	v_mov_b32_e32 v5, 5
	v_cmp_lt_i16_sdwa s[0:1], s18, v5 src0_sel:BYTE_0 src1_sel:DWORD
	s_and_b64 vcc, exec, s[0:1]
	s_cbranch_vccnz .LBB31_1485
; %bb.1481:
	v_mov_b32_e32 v5, 8
	v_cmp_lt_i16_sdwa s[0:1], s18, v5 src0_sel:BYTE_0 src1_sel:DWORD
	s_and_b64 vcc, exec, s[0:1]
	s_cbranch_vccnz .LBB31_1486
; %bb.1482:
	;; [unrolled: 5-line block ×3, first 2 shown]
	v_cmp_gt_i16_sdwa s[0:1], s18, v5 src0_sel:BYTE_0 src1_sel:DWORD
	s_and_b64 vcc, exec, s[0:1]
	s_cbranch_vccz .LBB31_1488
; %bb.1484:
	global_load_dwordx2 v[12:13], v[10:11], off
	s_movk_i32 s0, 0x7fff
	v_mov_b32_e32 v5, 0x7fc0
	s_waitcnt vmcnt(0)
	v_cvt_f32_f64_e32 v7, v[12:13]
	v_bfe_u32 v9, v7, 16, 1
	v_add3_u32 v9, v7, v9, s0
	v_lshrrev_b32_e32 v9, 16, v9
	v_cmp_o_f32_e32 vcc, v7, v7
	v_cndmask_b32_e32 v12, v5, v9, vcc
	s_mov_b64 s[0:1], 0
	s_branch .LBB31_1489
.LBB31_1485:
	s_mov_b64 s[0:1], -1
                                        ; implicit-def: $vgpr12
	s_branch .LBB31_1507
.LBB31_1486:
	s_mov_b64 s[0:1], -1
                                        ; implicit-def: $vgpr12
	s_branch .LBB31_1495
.LBB31_1487:
	s_mov_b64 s[0:1], -1
                                        ; implicit-def: $vgpr12
	s_branch .LBB31_1492
.LBB31_1488:
	s_mov_b64 s[0:1], -1
                                        ; implicit-def: $vgpr12
.LBB31_1489:
	s_andn2_b64 vcc, exec, s[0:1]
	s_cbranch_vccnz .LBB31_1491
; %bb.1490:
	global_load_dword v5, v[10:11], off
	s_movk_i32 s0, 0x7fff
	v_mov_b32_e32 v7, 0x7fc0
	s_waitcnt vmcnt(0)
	v_bfe_u32 v9, v5, 16, 1
	v_add3_u32 v9, v5, v9, s0
	v_lshrrev_b32_e32 v9, 16, v9
	v_cmp_o_f32_e32 vcc, v5, v5
	v_cndmask_b32_e32 v12, v7, v9, vcc
.LBB31_1491:
	s_mov_b64 s[0:1], 0
.LBB31_1492:
	s_andn2_b64 vcc, exec, s[0:1]
	s_cbranch_vccnz .LBB31_1494
; %bb.1493:
	global_load_dword v5, v[10:11], off
	s_movk_i32 s0, 0x7fff
	v_mov_b32_e32 v9, 0x7fc0
	s_waitcnt vmcnt(0)
	v_cvt_f32_f16_e32 v7, v5
	v_cmp_o_f16_e32 vcc, v5, v5
	v_bfe_u32 v12, v7, 16, 1
	v_add3_u32 v7, v7, v12, s0
	v_lshrrev_b32_e32 v7, 16, v7
	v_cndmask_b32_e32 v12, v9, v7, vcc
.LBB31_1494:
	s_mov_b64 s[0:1], 0
.LBB31_1495:
	s_andn2_b64 vcc, exec, s[0:1]
	s_cbranch_vccnz .LBB31_1506
; %bb.1496:
	v_mov_b32_e32 v5, 6
	v_cmp_lt_i16_sdwa s[0:1], s18, v5 src0_sel:BYTE_0 src1_sel:DWORD
	s_and_b64 vcc, exec, s[0:1]
	s_cbranch_vccnz .LBB31_1499
; %bb.1497:
	v_cmp_gt_i16_sdwa s[0:1], s18, v5 src0_sel:BYTE_0 src1_sel:DWORD
	s_and_b64 vcc, exec, s[0:1]
	s_cbranch_vccz .LBB31_1500
; %bb.1498:
	global_load_dwordx2 v[12:13], v[10:11], off
	s_movk_i32 s0, 0x7fff
	v_mov_b32_e32 v5, 0x7fc0
	s_waitcnt vmcnt(0)
	v_cvt_f32_f64_e32 v7, v[12:13]
	v_bfe_u32 v9, v7, 16, 1
	v_add3_u32 v9, v7, v9, s0
	v_lshrrev_b32_e32 v9, 16, v9
	v_cmp_o_f32_e32 vcc, v7, v7
	v_cndmask_b32_e32 v12, v5, v9, vcc
	s_mov_b64 s[0:1], 0
	s_branch .LBB31_1501
.LBB31_1499:
	s_mov_b64 s[0:1], -1
                                        ; implicit-def: $vgpr12
	s_branch .LBB31_1504
.LBB31_1500:
	s_mov_b64 s[0:1], -1
                                        ; implicit-def: $vgpr12
.LBB31_1501:
	s_andn2_b64 vcc, exec, s[0:1]
	s_cbranch_vccnz .LBB31_1503
; %bb.1502:
	global_load_dword v5, v[10:11], off
	s_movk_i32 s0, 0x7fff
	v_mov_b32_e32 v7, 0x7fc0
	s_waitcnt vmcnt(0)
	v_bfe_u32 v9, v5, 16, 1
	v_add3_u32 v9, v5, v9, s0
	v_lshrrev_b32_e32 v9, 16, v9
	v_cmp_o_f32_e32 vcc, v5, v5
	v_cndmask_b32_e32 v12, v7, v9, vcc
.LBB31_1503:
	s_mov_b64 s[0:1], 0
.LBB31_1504:
	s_andn2_b64 vcc, exec, s[0:1]
	s_cbranch_vccnz .LBB31_1506
; %bb.1505:
	global_load_ushort v5, v[10:11], off
	s_movk_i32 s0, 0x7fff
	v_mov_b32_e32 v9, 0x7fc0
	s_waitcnt vmcnt(0)
	v_cvt_f32_f16_e32 v7, v5
	v_cmp_o_f16_e32 vcc, v5, v5
	v_bfe_u32 v12, v7, 16, 1
	v_add3_u32 v7, v7, v12, s0
	v_lshrrev_b32_e32 v7, 16, v7
	v_cndmask_b32_e32 v12, v9, v7, vcc
.LBB31_1506:
	s_mov_b64 s[0:1], 0
.LBB31_1507:
	s_andn2_b64 vcc, exec, s[0:1]
	s_cbranch_vccnz .LBB31_1527
; %bb.1508:
	v_mov_b32_e32 v5, 2
	v_cmp_lt_i16_sdwa s[0:1], s18, v5 src0_sel:BYTE_0 src1_sel:DWORD
	s_and_b64 vcc, exec, s[0:1]
	s_cbranch_vccnz .LBB31_1512
; %bb.1509:
	v_mov_b32_e32 v5, 3
	v_cmp_lt_i16_sdwa s[0:1], s18, v5 src0_sel:BYTE_0 src1_sel:DWORD
	s_and_b64 vcc, exec, s[0:1]
	s_cbranch_vccnz .LBB31_1513
; %bb.1510:
	v_cmp_gt_i16_sdwa s[0:1], s18, v5 src0_sel:BYTE_0 src1_sel:DWORD
	s_and_b64 vcc, exec, s[0:1]
	s_cbranch_vccz .LBB31_1514
; %bb.1511:
	global_load_dwordx2 v[12:13], v[10:11], off
	s_movk_i32 s0, 0x7fff
	s_waitcnt vmcnt(0)
	v_xor_b32_e32 v7, v12, v13
	v_ffbh_i32_e32 v5, v13
	v_ashrrev_i32_e32 v7, 31, v7
	v_add_u32_e32 v5, -1, v5
	v_add_u32_e32 v7, 32, v7
	v_min_u32_e32 v5, v5, v7
	v_lshlrev_b64 v[12:13], v5, v[12:13]
	v_min_u32_e32 v7, 1, v12
	v_or_b32_e32 v7, v13, v7
	v_cvt_f32_i32_e32 v7, v7
	v_sub_u32_e32 v5, 32, v5
	v_ldexp_f32 v5, v7, v5
	v_bfe_u32 v7, v5, 16, 1
	v_add3_u32 v5, v5, v7, s0
	v_lshrrev_b32_e32 v12, 16, v5
	s_mov_b64 s[0:1], 0
	s_branch .LBB31_1515
.LBB31_1512:
	s_mov_b64 s[0:1], -1
                                        ; implicit-def: $vgpr12
	s_branch .LBB31_1521
.LBB31_1513:
	s_mov_b64 s[0:1], -1
                                        ; implicit-def: $vgpr12
	s_branch .LBB31_1518
.LBB31_1514:
	s_mov_b64 s[0:1], -1
                                        ; implicit-def: $vgpr12
.LBB31_1515:
	s_andn2_b64 vcc, exec, s[0:1]
	s_cbranch_vccnz .LBB31_1517
; %bb.1516:
	global_load_dword v5, v[10:11], off
	s_movk_i32 s0, 0x7fff
	s_waitcnt vmcnt(0)
	v_cvt_f32_i32_e32 v5, v5
	v_bfe_u32 v7, v5, 16, 1
	v_add3_u32 v5, v5, v7, s0
	v_lshrrev_b32_e32 v12, 16, v5
.LBB31_1517:
	s_mov_b64 s[0:1], 0
.LBB31_1518:
	s_andn2_b64 vcc, exec, s[0:1]
	s_cbranch_vccnz .LBB31_1520
; %bb.1519:
	global_load_sshort v5, v[10:11], off
	s_movk_i32 s0, 0x7fff
	s_waitcnt vmcnt(0)
	v_cvt_f32_i32_e32 v5, v5
	v_bfe_u32 v7, v5, 16, 1
	v_add3_u32 v5, v5, v7, s0
	v_lshrrev_b32_e32 v12, 16, v5
.LBB31_1520:
	s_mov_b64 s[0:1], 0
.LBB31_1521:
	s_andn2_b64 vcc, exec, s[0:1]
	s_cbranch_vccnz .LBB31_1527
; %bb.1522:
	v_mov_b32_e32 v5, 0
	v_cmp_gt_i16_sdwa s[0:1], s18, v5 src0_sel:BYTE_0 src1_sel:DWORD
	s_and_b64 vcc, exec, s[0:1]
	s_cbranch_vccz .LBB31_1524
; %bb.1523:
	global_load_sbyte v5, v[10:11], off
	s_movk_i32 s0, 0x7fff
	s_waitcnt vmcnt(0)
	v_cvt_f32_i32_e32 v5, v5
	v_bfe_u32 v7, v5, 16, 1
	v_add3_u32 v5, v5, v7, s0
	v_lshrrev_b32_e32 v12, 16, v5
	s_mov_b64 s[0:1], 0
	s_branch .LBB31_1525
.LBB31_1524:
	s_mov_b64 s[0:1], -1
                                        ; implicit-def: $vgpr12
.LBB31_1525:
	s_andn2_b64 vcc, exec, s[0:1]
	s_cbranch_vccnz .LBB31_1527
; %bb.1526:
	global_load_ubyte v5, v[10:11], off
	s_movk_i32 s0, 0x7fff
	s_waitcnt vmcnt(0)
	v_cvt_f32_ubyte0_e32 v5, v5
	v_bfe_u32 v7, v5, 16, 1
	v_add3_u32 v5, v5, v7, s0
	v_lshrrev_b32_e32 v12, 16, v5
.LBB31_1527:
.LBB31_1528:
	v_mov_b32_e32 v5, s11
	v_add_co_u32_e32 v8, vcc, s10, v8
	v_addc_co_u32_e32 v9, vcc, 0, v5, vcc
	v_mov_b32_e32 v5, 11
	v_cmp_lt_i16_sdwa s[0:1], s18, v5 src0_sel:BYTE_0 src1_sel:DWORD
	s_and_b64 vcc, exec, s[0:1]
	s_cbranch_vccnz .LBB31_1535
; %bb.1529:
	v_mov_b32_e32 v5, 25
	v_cmp_gt_i16_sdwa s[0:1], s18, v5 src0_sel:BYTE_0 src1_sel:DWORD
	s_mov_b64 s[6:7], 0
	s_and_b64 vcc, exec, s[0:1]
	s_cbranch_vccz .LBB31_1536
; %bb.1530:
	v_mov_b32_e32 v5, 28
	v_cmp_gt_i16_sdwa s[0:1], s18, v5 src0_sel:BYTE_0 src1_sel:DWORD
	s_and_b64 vcc, exec, s[0:1]
	s_cbranch_vccz .LBB31_1537
; %bb.1531:
	v_mov_b32_e32 v5, 43
	v_cmp_gt_i16_sdwa s[0:1], s18, v5 src0_sel:BYTE_0 src1_sel:DWORD
	s_and_b64 vcc, exec, s[0:1]
	s_cbranch_vccz .LBB31_1538
; %bb.1532:
	v_mov_b32_e32 v5, 45
	v_cmp_gt_i16_sdwa s[0:1], s18, v5 src0_sel:BYTE_0 src1_sel:DWORD
	s_and_b64 vcc, exec, s[0:1]
	s_cbranch_vccz .LBB31_1540
; %bb.1533:
	v_mov_b32_e32 v5, 46
	v_cmp_eq_u16_sdwa s[0:1], s18, v5 src0_sel:BYTE_0 src1_sel:DWORD
	s_mov_b64 s[12:13], 0
	s_and_b64 vcc, exec, s[0:1]
	s_cbranch_vccz .LBB31_1541
; %bb.1534:
	global_load_dword v10, v[8:9], off
	s_mov_b64 s[0:1], 0
	s_mov_b64 s[10:11], -1
	s_branch .LBB31_1542
.LBB31_1535:
	s_mov_b64 s[0:1], -1
	s_mov_b64 s[10:11], 0
                                        ; implicit-def: $vgpr10
	s_branch .LBB31_1608
.LBB31_1536:
	s_mov_b64 s[12:13], -1
	s_mov_b64 s[10:11], 0
	s_mov_b64 s[0:1], 0
                                        ; implicit-def: $vgpr10
	s_branch .LBB31_1571
.LBB31_1537:
	s_mov_b64 s[12:13], -1
	s_mov_b64 s[10:11], 0
	s_mov_b64 s[0:1], 0
                                        ; implicit-def: $vgpr10
	s_branch .LBB31_1552
.LBB31_1538:
	s_mov_b64 s[12:13], -1
	s_mov_b64 s[10:11], 0
	s_mov_b64 s[0:1], 0
                                        ; implicit-def: $vgpr10
	s_branch .LBB31_1547
.LBB31_1539:
	s_trap 2
	s_or_b64 s[2:3], s[2:3], exec
                                        ; implicit-def: $vgpr12
	s_cbranch_execz .LBB31_1478
	s_branch .LBB31_1479
.LBB31_1540:
	s_mov_b64 s[12:13], -1
	s_mov_b64 s[10:11], 0
	s_mov_b64 s[0:1], 0
                                        ; implicit-def: $vgpr10
	s_branch .LBB31_1542
.LBB31_1541:
	s_mov_b64 s[0:1], -1
                                        ; implicit-def: $vgpr10
	s_mov_b64 s[10:11], 0
.LBB31_1542:
	s_and_b64 vcc, exec, s[12:13]
	s_cbranch_vccz .LBB31_1546
; %bb.1543:
	v_mov_b32_e32 v5, 44
	v_cmp_eq_u16_sdwa s[0:1], s18, v5 src0_sel:BYTE_0 src1_sel:DWORD
	s_and_b64 vcc, exec, s[0:1]
	s_cbranch_vccz .LBB31_1545
; %bb.1544:
	global_load_ubyte v5, v[8:9], off
	s_movk_i32 s10, 0xff
	v_mov_b32_e32 v7, 0x7f800001
	s_waitcnt vmcnt(1)
	v_mov_b32_e32 v10, 0x400000
	v_mov_b32_e32 v11, 0x7fc0
	s_mov_b64 s[0:1], 0
	s_waitcnt vmcnt(0)
	v_lshlrev_b32_e32 v13, 23, v5
	v_cmp_ne_u32_e32 vcc, s10, v5
	v_cndmask_b32_e32 v7, v7, v13, vcc
	v_cmp_ne_u32_e32 vcc, 0, v5
	v_cndmask_b32_e32 v5, v10, v7, vcc
	v_add_u32_e32 v7, 0x7fff, v5
	v_lshrrev_b32_e32 v7, 16, v7
	v_cmp_o_f32_e32 vcc, v5, v5
	v_cndmask_b32_e32 v10, v11, v7, vcc
	s_mov_b64 s[10:11], -1
	s_branch .LBB31_1546
.LBB31_1545:
	s_mov_b64 s[0:1], -1
                                        ; implicit-def: $vgpr10
.LBB31_1546:
	s_mov_b64 s[12:13], 0
.LBB31_1547:
	s_and_b64 vcc, exec, s[12:13]
	s_cbranch_vccz .LBB31_1551
; %bb.1548:
	v_mov_b32_e32 v5, 29
	v_cmp_eq_u16_sdwa s[0:1], s18, v5 src0_sel:BYTE_0 src1_sel:DWORD
	s_and_b64 vcc, exec, s[0:1]
	s_cbranch_vccz .LBB31_1550
; %bb.1549:
	global_load_dwordx2 v[10:11], v[8:9], off
	s_movk_i32 s10, 0x7fff
	s_mov_b64 s[0:1], 0
	s_mov_b64 s[12:13], 0
	s_waitcnt vmcnt(0)
	v_ffbh_u32_e32 v5, v11
	v_min_u32_e32 v5, 32, v5
	v_lshlrev_b64 v[10:11], v5, v[10:11]
	v_min_u32_e32 v7, 1, v10
	v_or_b32_e32 v7, v11, v7
	v_cvt_f32_u32_e32 v7, v7
	v_sub_u32_e32 v5, 32, v5
	v_ldexp_f32 v5, v7, v5
	v_bfe_u32 v7, v5, 16, 1
	v_add3_u32 v5, v5, v7, s10
	v_lshrrev_b32_e32 v10, 16, v5
	s_mov_b64 s[10:11], -1
	s_branch .LBB31_1552
.LBB31_1550:
	s_mov_b64 s[0:1], -1
                                        ; implicit-def: $vgpr10
.LBB31_1551:
	s_mov_b64 s[12:13], 0
.LBB31_1552:
	s_and_b64 vcc, exec, s[12:13]
	s_cbranch_vccz .LBB31_1570
; %bb.1553:
	v_mov_b32_e32 v5, 27
	v_cmp_lt_i16_sdwa s[10:11], s18, v5 src0_sel:BYTE_0 src1_sel:DWORD
	s_and_b64 vcc, exec, s[10:11]
	s_cbranch_vccnz .LBB31_1556
; %bb.1554:
	v_cmp_gt_i16_sdwa s[10:11], s18, v5 src0_sel:BYTE_0 src1_sel:DWORD
	s_and_b64 vcc, exec, s[10:11]
	s_cbranch_vccz .LBB31_1557
; %bb.1555:
	global_load_dword v5, v[8:9], off
	s_movk_i32 s10, 0x7fff
	s_waitcnt vmcnt(0)
	v_cvt_f32_u32_e32 v5, v5
	v_bfe_u32 v7, v5, 16, 1
	v_add3_u32 v5, v5, v7, s10
	v_lshrrev_b32_e32 v10, 16, v5
	s_mov_b64 s[10:11], 0
	s_branch .LBB31_1558
.LBB31_1556:
	s_mov_b64 s[10:11], -1
                                        ; implicit-def: $vgpr10
	s_branch .LBB31_1561
.LBB31_1557:
	s_mov_b64 s[10:11], -1
                                        ; implicit-def: $vgpr10
.LBB31_1558:
	s_andn2_b64 vcc, exec, s[10:11]
	s_cbranch_vccnz .LBB31_1560
; %bb.1559:
	global_load_ushort v5, v[8:9], off
	s_movk_i32 s10, 0x7fff
	s_waitcnt vmcnt(0)
	v_cvt_f32_u32_e32 v5, v5
	v_bfe_u32 v7, v5, 16, 1
	v_add3_u32 v5, v5, v7, s10
	v_lshrrev_b32_e32 v10, 16, v5
.LBB31_1560:
	s_mov_b64 s[10:11], 0
.LBB31_1561:
	s_andn2_b64 vcc, exec, s[10:11]
	s_cbranch_vccnz .LBB31_1569
; %bb.1562:
	global_load_ubyte v5, v[8:9], off
	s_movk_i32 s10, 0x7f
                                        ; implicit-def: $sgpr16
	s_waitcnt vmcnt(0)
	v_cmp_lt_i16_e32 vcc, s10, v5
	s_mov_b64 s[10:11], 0
	s_and_saveexec_b64 s[12:13], vcc
	s_xor_b64 s[12:13], exec, s[12:13]
	s_cbranch_execz .LBB31_1583
; %bb.1563:
	s_movk_i32 s10, 0x80
	v_cmp_eq_u16_e32 vcc, s10, v5
	s_mov_b64 s[10:11], -1
                                        ; implicit-def: $sgpr16
	s_and_saveexec_b64 s[14:15], vcc
; %bb.1564:
	s_mov_b32 s16, 0x7f800001
	s_xor_b64 s[10:11], exec, -1
; %bb.1565:
	s_or_b64 exec, exec, s[14:15]
	s_and_b64 s[10:11], s[10:11], exec
	s_or_saveexec_b64 s[12:13], s[12:13]
	v_mov_b32_e32 v7, s16
	s_xor_b64 exec, exec, s[12:13]
	s_cbranch_execnz .LBB31_1584
.LBB31_1566:
	s_or_b64 exec, exec, s[12:13]
	s_and_saveexec_b64 s[12:13], s[10:11]
	s_cbranch_execz .LBB31_1568
.LBB31_1567:
	v_lshlrev_b32_e32 v7, 24, v5
	v_and_b32_e32 v5, 0xffff, v5
	v_and_b32_e32 v10, 7, v5
	v_ffbh_u32_e32 v13, v10
	v_min_u32_e32 v13, 32, v13
	v_subrev_u32_e32 v14, 28, v13
	v_bfe_u32 v11, v5, 3, 4
	v_lshlrev_b32_e32 v5, v14, v5
	v_sub_u32_e32 v13, 29, v13
	v_and_b32_e32 v5, 7, v5
	v_cmp_eq_u32_e32 vcc, 0, v11
	v_cndmask_b32_e32 v11, v11, v13, vcc
	v_cndmask_b32_e32 v5, v10, v5, vcc
	v_mov_b32_e32 v10, 0x3b800000
	v_lshlrev_b32_e32 v5, 20, v5
	v_and_b32_e32 v7, 0x80000000, v7
	v_lshl_add_u32 v10, v11, 23, v10
	v_or3_b32 v7, v7, v10, v5
.LBB31_1568:
	s_or_b64 exec, exec, s[12:13]
	v_bfe_u32 v5, v7, 16, 1
	s_movk_i32 s10, 0x7fff
	v_add3_u32 v5, v7, v5, s10
	v_lshrrev_b32_e32 v5, 16, v5
	v_mov_b32_e32 v10, 0x7fc0
	v_cmp_o_f32_e32 vcc, v7, v7
	v_cndmask_b32_e32 v10, v10, v5, vcc
.LBB31_1569:
	s_mov_b64 s[10:11], -1
.LBB31_1570:
	s_mov_b64 s[12:13], 0
.LBB31_1571:
	s_and_b64 vcc, exec, s[12:13]
	s_cbranch_vccz .LBB31_1604
; %bb.1572:
	v_mov_b32_e32 v5, 22
	v_cmp_gt_i16_sdwa s[6:7], s18, v5 src0_sel:BYTE_0 src1_sel:DWORD
	s_and_b64 vcc, exec, s[6:7]
	s_cbranch_vccz .LBB31_1582
; %bb.1573:
	v_mov_b32_e32 v5, 24
	v_cmp_lt_i16_sdwa s[6:7], s18, v5 src0_sel:BYTE_0 src1_sel:DWORD
	s_and_b64 vcc, exec, s[6:7]
	s_cbranch_vccnz .LBB31_1585
; %bb.1574:
	v_cmp_gt_i16_sdwa s[6:7], s18, v5 src0_sel:BYTE_0 src1_sel:DWORD
	s_and_b64 vcc, exec, s[6:7]
	s_cbranch_vccz .LBB31_1586
; %bb.1575:
	global_load_ubyte v5, v[8:9], off
	s_movk_i32 s6, 0x7f
                                        ; implicit-def: $sgpr14
	s_waitcnt vmcnt(0)
	v_cmp_lt_i16_e32 vcc, s6, v5
	s_mov_b64 s[6:7], 0
	s_and_saveexec_b64 s[10:11], vcc
	s_xor_b64 s[10:11], exec, s[10:11]
	s_cbranch_execz .LBB31_1598
; %bb.1576:
	s_movk_i32 s6, 0x80
	v_cmp_eq_u16_e32 vcc, s6, v5
	s_mov_b64 s[6:7], -1
                                        ; implicit-def: $sgpr14
	s_and_saveexec_b64 s[12:13], vcc
; %bb.1577:
	s_mov_b32 s14, 0x7f800001
	s_xor_b64 s[6:7], exec, -1
; %bb.1578:
	s_or_b64 exec, exec, s[12:13]
	s_and_b64 s[6:7], s[6:7], exec
	s_or_saveexec_b64 s[10:11], s[10:11]
	v_mov_b32_e32 v7, s14
	s_xor_b64 exec, exec, s[10:11]
	s_cbranch_execnz .LBB31_1599
.LBB31_1579:
	s_or_b64 exec, exec, s[10:11]
	s_and_saveexec_b64 s[10:11], s[6:7]
	s_cbranch_execz .LBB31_1581
.LBB31_1580:
	v_lshlrev_b32_e32 v7, 24, v5
	v_and_b32_e32 v5, 0xffff, v5
	v_and_b32_e32 v10, 3, v5
	v_ffbh_u32_e32 v13, v10
	v_min_u32_e32 v13, 32, v13
	v_subrev_u32_e32 v14, 29, v13
	v_bfe_u32 v11, v5, 2, 5
	v_lshlrev_b32_e32 v5, v14, v5
	v_sub_u32_e32 v13, 30, v13
	v_and_b32_e32 v5, 3, v5
	v_cmp_eq_u32_e32 vcc, 0, v11
	v_cndmask_b32_e32 v11, v11, v13, vcc
	v_cndmask_b32_e32 v5, v10, v5, vcc
	v_mov_b32_e32 v10, 0x37800000
	v_lshlrev_b32_e32 v5, 21, v5
	v_and_b32_e32 v7, 0x80000000, v7
	v_lshl_add_u32 v10, v11, 23, v10
	v_or3_b32 v7, v7, v10, v5
.LBB31_1581:
	s_or_b64 exec, exec, s[10:11]
	v_bfe_u32 v5, v7, 16, 1
	s_movk_i32 s6, 0x7fff
	v_add3_u32 v5, v7, v5, s6
	v_lshrrev_b32_e32 v5, 16, v5
	v_mov_b32_e32 v10, 0x7fc0
	v_cmp_o_f32_e32 vcc, v7, v7
	v_cndmask_b32_e32 v10, v10, v5, vcc
	s_mov_b64 s[6:7], 0
	s_branch .LBB31_1587
.LBB31_1582:
	s_mov_b64 s[6:7], -1
                                        ; implicit-def: $vgpr10
	s_branch .LBB31_1593
.LBB31_1583:
	s_or_saveexec_b64 s[12:13], s[12:13]
	v_mov_b32_e32 v7, s16
	s_xor_b64 exec, exec, s[12:13]
	s_cbranch_execz .LBB31_1566
.LBB31_1584:
	v_cmp_ne_u16_e32 vcc, 0, v5
	s_andn2_b64 s[10:11], s[10:11], exec
	s_and_b64 s[14:15], vcc, exec
	v_mov_b32_e32 v7, 0
	s_or_b64 s[10:11], s[10:11], s[14:15]
	s_or_b64 exec, exec, s[12:13]
	s_and_saveexec_b64 s[12:13], s[10:11]
	s_cbranch_execnz .LBB31_1567
	s_branch .LBB31_1568
.LBB31_1585:
	s_mov_b64 s[6:7], -1
                                        ; implicit-def: $vgpr10
	s_branch .LBB31_1590
.LBB31_1586:
	s_mov_b64 s[6:7], -1
                                        ; implicit-def: $vgpr10
.LBB31_1587:
	s_and_b64 vcc, exec, s[6:7]
	s_cbranch_vccz .LBB31_1589
; %bb.1588:
	global_load_ubyte v5, v[8:9], off
	s_mov_b32 s6, 0x7f800000
	s_brev_b32 s7, 1
	s_movk_i32 s10, 0x7fff
	v_mov_b32_e32 v7, 0x7fc0
	s_waitcnt vmcnt(0)
	v_lshlrev_b32_e32 v5, 24, v5
	v_and_b32_e32 v10, 0x7f000000, v5
	v_ffbh_u32_e32 v11, v10
	v_min_u32_e32 v11, 32, v11
	v_sub_u32_e64 v11, v11, 4 clamp
	v_lshlrev_b32_e32 v14, v11, v10
	v_lshlrev_b32_e32 v11, 23, v11
	v_lshrrev_b32_e32 v14, 4, v14
	v_add_u32_e32 v13, 0x1000000, v10
	v_sub_u32_e32 v11, v14, v11
	v_ashrrev_i32_e32 v13, 8, v13
	v_add_u32_e32 v11, 0x3c000000, v11
	v_and_or_b32 v11, v13, s6, v11
	v_cmp_ne_u32_e32 vcc, 0, v10
	v_cndmask_b32_e32 v10, 0, v11, vcc
	v_and_or_b32 v5, v5, s7, v10
	v_bfe_u32 v10, v10, 16, 1
	v_add3_u32 v10, v5, v10, s10
	v_lshrrev_b32_e32 v10, 16, v10
	v_cmp_o_f32_e32 vcc, v5, v5
	v_cndmask_b32_e32 v10, v7, v10, vcc
.LBB31_1589:
	s_mov_b64 s[6:7], 0
.LBB31_1590:
	s_andn2_b64 vcc, exec, s[6:7]
	s_cbranch_vccnz .LBB31_1592
; %bb.1591:
	global_load_ubyte v5, v[8:9], off
	s_movk_i32 s6, 0x7f00
	s_brev_b32 s7, 16
	s_brev_b32 s10, 1
	s_movk_i32 s11, 0x7fff
	v_mov_b32_e32 v7, 0x7fc0
	s_waitcnt vmcnt(0)
	v_lshlrev_b16_e32 v10, 8, v5
	v_lshlrev_b32_e32 v5, 25, v5
	v_lshrrev_b32_e32 v11, 4, v5
	v_and_or_b32 v13, v10, s6, 0.5
	v_or_b32_e32 v11, 0x70000000, v11
	v_add_f32_e32 v13, -0.5, v13
	v_mul_f32_e32 v11, 0x7800000, v11
	v_cmp_gt_u32_e32 vcc, s7, v5
	v_bfe_i32 v10, v10, 0, 16
	v_cndmask_b32_e32 v5, v11, v13, vcc
	v_and_or_b32 v10, v10, s10, v5
	v_bfe_u32 v5, v5, 16, 1
	v_add3_u32 v5, v10, v5, s11
	v_lshrrev_b32_e32 v5, 16, v5
	v_cmp_o_f32_e32 vcc, v10, v10
	v_cndmask_b32_e32 v10, v7, v5, vcc
.LBB31_1592:
	s_mov_b64 s[6:7], 0
	s_mov_b64 s[10:11], -1
.LBB31_1593:
	s_andn2_b64 vcc, exec, s[6:7]
	s_mov_b64 s[6:7], 0
	s_cbranch_vccnz .LBB31_1604
; %bb.1594:
	v_mov_b32_e32 v5, 14
	v_cmp_gt_i16_sdwa s[6:7], s18, v5 src0_sel:BYTE_0 src1_sel:DWORD
	s_and_b64 vcc, exec, s[6:7]
	s_cbranch_vccz .LBB31_1597
; %bb.1595:
	v_mov_b32_e32 v5, 15
	v_cmp_eq_u16_sdwa s[0:1], s18, v5 src0_sel:BYTE_0 src1_sel:DWORD
	s_and_b64 vcc, exec, s[0:1]
	s_cbranch_vccz .LBB31_1600
; %bb.1596:
	global_load_ushort v10, v[8:9], off
	s_mov_b64 s[0:1], 0
	s_mov_b64 s[10:11], -1
	s_branch .LBB31_1601
.LBB31_1597:
	s_mov_b64 s[12:13], -1
                                        ; implicit-def: $vgpr10
	s_branch .LBB31_1602
.LBB31_1598:
	s_or_saveexec_b64 s[10:11], s[10:11]
	v_mov_b32_e32 v7, s14
	s_xor_b64 exec, exec, s[10:11]
	s_cbranch_execz .LBB31_1579
.LBB31_1599:
	v_cmp_ne_u16_e32 vcc, 0, v5
	s_andn2_b64 s[6:7], s[6:7], exec
	s_and_b64 s[12:13], vcc, exec
	v_mov_b32_e32 v7, 0
	s_or_b64 s[6:7], s[6:7], s[12:13]
	s_or_b64 exec, exec, s[10:11]
	s_and_saveexec_b64 s[10:11], s[6:7]
	s_cbranch_execnz .LBB31_1580
	s_branch .LBB31_1581
.LBB31_1600:
	s_mov_b64 s[0:1], -1
                                        ; implicit-def: $vgpr10
.LBB31_1601:
	s_mov_b64 s[12:13], 0
.LBB31_1602:
	s_mov_b64 s[6:7], 0
	s_and_b64 vcc, exec, s[12:13]
	s_cbranch_vccz .LBB31_1604
; %bb.1603:
	v_mov_b32_e32 v5, 11
	v_cmp_ne_u16_sdwa s[0:1], s18, v5 src0_sel:BYTE_0 src1_sel:DWORD
	s_mov_b64 s[6:7], -1
                                        ; implicit-def: $vgpr10
.LBB31_1604:
	s_and_b64 vcc, exec, s[0:1]
	s_cbranch_vccnz .LBB31_1714
; %bb.1605:
	s_andn2_b64 vcc, exec, s[6:7]
	s_cbranch_vccnz .LBB31_1607
.LBB31_1606:
	global_load_ubyte v5, v[8:9], off
	s_mov_b64 s[10:11], -1
	s_waitcnt vmcnt(0)
	v_cmp_ne_u16_e32 vcc, 0, v5
	v_cndmask_b32_e64 v5, 0, 1.0, vcc
	v_lshrrev_b32_e32 v10, 16, v5
.LBB31_1607:
	s_mov_b64 s[0:1], 0
.LBB31_1608:
	s_and_b64 vcc, exec, s[0:1]
	s_cbranch_vccz .LBB31_1657
; %bb.1609:
	v_mov_b32_e32 v5, 5
	v_cmp_lt_i16_sdwa s[0:1], s18, v5 src0_sel:BYTE_0 src1_sel:DWORD
	s_and_b64 vcc, exec, s[0:1]
	s_cbranch_vccnz .LBB31_1614
; %bb.1610:
	v_mov_b32_e32 v5, 8
	v_cmp_lt_i16_sdwa s[0:1], s18, v5 src0_sel:BYTE_0 src1_sel:DWORD
	s_and_b64 vcc, exec, s[0:1]
	s_cbranch_vccnz .LBB31_1615
	;; [unrolled: 5-line block ×3, first 2 shown]
; %bb.1612:
	v_cmp_gt_i16_sdwa s[0:1], s18, v5 src0_sel:BYTE_0 src1_sel:DWORD
	s_and_b64 vcc, exec, s[0:1]
	s_cbranch_vccz .LBB31_1617
; %bb.1613:
	global_load_dwordx2 v[10:11], v[8:9], off
	s_movk_i32 s0, 0x7fff
	v_mov_b32_e32 v5, 0x7fc0
	s_waitcnt vmcnt(0)
	v_cvt_f32_f64_e32 v7, v[10:11]
	v_bfe_u32 v10, v7, 16, 1
	v_add3_u32 v10, v7, v10, s0
	v_lshrrev_b32_e32 v10, 16, v10
	v_cmp_o_f32_e32 vcc, v7, v7
	v_cndmask_b32_e32 v10, v5, v10, vcc
	s_mov_b64 s[0:1], 0
	s_branch .LBB31_1618
.LBB31_1614:
	s_mov_b64 s[0:1], -1
                                        ; implicit-def: $vgpr10
	s_branch .LBB31_1636
.LBB31_1615:
	s_mov_b64 s[0:1], -1
                                        ; implicit-def: $vgpr10
	s_branch .LBB31_1624
.LBB31_1616:
	s_mov_b64 s[0:1], -1
                                        ; implicit-def: $vgpr10
	s_branch .LBB31_1621
.LBB31_1617:
	s_mov_b64 s[0:1], -1
                                        ; implicit-def: $vgpr10
.LBB31_1618:
	s_andn2_b64 vcc, exec, s[0:1]
	s_cbranch_vccnz .LBB31_1620
; %bb.1619:
	global_load_dword v5, v[8:9], off
	s_movk_i32 s0, 0x7fff
	v_mov_b32_e32 v7, 0x7fc0
	s_waitcnt vmcnt(0)
	v_bfe_u32 v10, v5, 16, 1
	v_add3_u32 v10, v5, v10, s0
	v_lshrrev_b32_e32 v10, 16, v10
	v_cmp_o_f32_e32 vcc, v5, v5
	v_cndmask_b32_e32 v10, v7, v10, vcc
.LBB31_1620:
	s_mov_b64 s[0:1], 0
.LBB31_1621:
	s_andn2_b64 vcc, exec, s[0:1]
	s_cbranch_vccnz .LBB31_1623
; %bb.1622:
	global_load_dword v5, v[8:9], off
	s_movk_i32 s0, 0x7fff
	s_waitcnt vmcnt(1)
	v_mov_b32_e32 v10, 0x7fc0
	s_waitcnt vmcnt(0)
	v_cvt_f32_f16_e32 v7, v5
	v_cmp_o_f16_e32 vcc, v5, v5
	v_bfe_u32 v11, v7, 16, 1
	v_add3_u32 v7, v7, v11, s0
	v_lshrrev_b32_e32 v7, 16, v7
	v_cndmask_b32_e32 v10, v10, v7, vcc
.LBB31_1623:
	s_mov_b64 s[0:1], 0
.LBB31_1624:
	s_andn2_b64 vcc, exec, s[0:1]
	s_cbranch_vccnz .LBB31_1635
; %bb.1625:
	v_mov_b32_e32 v5, 6
	v_cmp_lt_i16_sdwa s[0:1], s18, v5 src0_sel:BYTE_0 src1_sel:DWORD
	s_and_b64 vcc, exec, s[0:1]
	s_cbranch_vccnz .LBB31_1628
; %bb.1626:
	v_cmp_gt_i16_sdwa s[0:1], s18, v5 src0_sel:BYTE_0 src1_sel:DWORD
	s_and_b64 vcc, exec, s[0:1]
	s_cbranch_vccz .LBB31_1629
; %bb.1627:
	global_load_dwordx2 v[10:11], v[8:9], off
	s_movk_i32 s0, 0x7fff
	v_mov_b32_e32 v5, 0x7fc0
	s_waitcnt vmcnt(0)
	v_cvt_f32_f64_e32 v7, v[10:11]
	v_bfe_u32 v10, v7, 16, 1
	v_add3_u32 v10, v7, v10, s0
	v_lshrrev_b32_e32 v10, 16, v10
	v_cmp_o_f32_e32 vcc, v7, v7
	v_cndmask_b32_e32 v10, v5, v10, vcc
	s_mov_b64 s[0:1], 0
	s_branch .LBB31_1630
.LBB31_1628:
	s_mov_b64 s[0:1], -1
                                        ; implicit-def: $vgpr10
	s_branch .LBB31_1633
.LBB31_1629:
	s_mov_b64 s[0:1], -1
                                        ; implicit-def: $vgpr10
.LBB31_1630:
	s_andn2_b64 vcc, exec, s[0:1]
	s_cbranch_vccnz .LBB31_1632
; %bb.1631:
	global_load_dword v5, v[8:9], off
	s_movk_i32 s0, 0x7fff
	v_mov_b32_e32 v7, 0x7fc0
	s_waitcnt vmcnt(0)
	v_bfe_u32 v10, v5, 16, 1
	v_add3_u32 v10, v5, v10, s0
	v_lshrrev_b32_e32 v10, 16, v10
	v_cmp_o_f32_e32 vcc, v5, v5
	v_cndmask_b32_e32 v10, v7, v10, vcc
.LBB31_1632:
	s_mov_b64 s[0:1], 0
.LBB31_1633:
	s_andn2_b64 vcc, exec, s[0:1]
	s_cbranch_vccnz .LBB31_1635
; %bb.1634:
	global_load_ushort v5, v[8:9], off
	s_movk_i32 s0, 0x7fff
	s_waitcnt vmcnt(1)
	v_mov_b32_e32 v10, 0x7fc0
	s_waitcnt vmcnt(0)
	v_cvt_f32_f16_e32 v7, v5
	v_cmp_o_f16_e32 vcc, v5, v5
	v_bfe_u32 v11, v7, 16, 1
	v_add3_u32 v7, v7, v11, s0
	v_lshrrev_b32_e32 v7, 16, v7
	v_cndmask_b32_e32 v10, v10, v7, vcc
.LBB31_1635:
	s_mov_b64 s[0:1], 0
.LBB31_1636:
	s_andn2_b64 vcc, exec, s[0:1]
	s_cbranch_vccnz .LBB31_1656
; %bb.1637:
	v_mov_b32_e32 v5, 2
	v_cmp_lt_i16_sdwa s[0:1], s18, v5 src0_sel:BYTE_0 src1_sel:DWORD
	s_and_b64 vcc, exec, s[0:1]
	s_cbranch_vccnz .LBB31_1641
; %bb.1638:
	v_mov_b32_e32 v5, 3
	v_cmp_lt_i16_sdwa s[0:1], s18, v5 src0_sel:BYTE_0 src1_sel:DWORD
	s_and_b64 vcc, exec, s[0:1]
	s_cbranch_vccnz .LBB31_1642
; %bb.1639:
	v_cmp_gt_i16_sdwa s[0:1], s18, v5 src0_sel:BYTE_0 src1_sel:DWORD
	s_and_b64 vcc, exec, s[0:1]
	s_cbranch_vccz .LBB31_1643
; %bb.1640:
	global_load_dwordx2 v[10:11], v[8:9], off
	s_movk_i32 s0, 0x7fff
	s_waitcnt vmcnt(0)
	v_xor_b32_e32 v7, v10, v11
	v_ffbh_i32_e32 v5, v11
	v_ashrrev_i32_e32 v7, 31, v7
	v_add_u32_e32 v5, -1, v5
	v_add_u32_e32 v7, 32, v7
	v_min_u32_e32 v5, v5, v7
	v_lshlrev_b64 v[10:11], v5, v[10:11]
	v_min_u32_e32 v7, 1, v10
	v_or_b32_e32 v7, v11, v7
	v_cvt_f32_i32_e32 v7, v7
	v_sub_u32_e32 v5, 32, v5
	v_ldexp_f32 v5, v7, v5
	v_bfe_u32 v7, v5, 16, 1
	v_add3_u32 v5, v5, v7, s0
	v_lshrrev_b32_e32 v10, 16, v5
	s_mov_b64 s[0:1], 0
	s_branch .LBB31_1644
.LBB31_1641:
	s_mov_b64 s[0:1], -1
                                        ; implicit-def: $vgpr10
	s_branch .LBB31_1650
.LBB31_1642:
	s_mov_b64 s[0:1], -1
                                        ; implicit-def: $vgpr10
	s_branch .LBB31_1647
.LBB31_1643:
	s_mov_b64 s[0:1], -1
                                        ; implicit-def: $vgpr10
.LBB31_1644:
	s_andn2_b64 vcc, exec, s[0:1]
	s_cbranch_vccnz .LBB31_1646
; %bb.1645:
	global_load_dword v5, v[8:9], off
	s_movk_i32 s0, 0x7fff
	s_waitcnt vmcnt(0)
	v_cvt_f32_i32_e32 v5, v5
	v_bfe_u32 v7, v5, 16, 1
	v_add3_u32 v5, v5, v7, s0
	v_lshrrev_b32_e32 v10, 16, v5
.LBB31_1646:
	s_mov_b64 s[0:1], 0
.LBB31_1647:
	s_andn2_b64 vcc, exec, s[0:1]
	s_cbranch_vccnz .LBB31_1649
; %bb.1648:
	global_load_sshort v5, v[8:9], off
	s_movk_i32 s0, 0x7fff
	s_waitcnt vmcnt(0)
	v_cvt_f32_i32_e32 v5, v5
	v_bfe_u32 v7, v5, 16, 1
	v_add3_u32 v5, v5, v7, s0
	v_lshrrev_b32_e32 v10, 16, v5
.LBB31_1649:
	s_mov_b64 s[0:1], 0
.LBB31_1650:
	s_andn2_b64 vcc, exec, s[0:1]
	s_cbranch_vccnz .LBB31_1656
; %bb.1651:
	v_mov_b32_e32 v5, 0
	v_cmp_gt_i16_sdwa s[0:1], s18, v5 src0_sel:BYTE_0 src1_sel:DWORD
	s_and_b64 vcc, exec, s[0:1]
	s_cbranch_vccz .LBB31_1653
; %bb.1652:
	global_load_sbyte v5, v[8:9], off
	s_movk_i32 s0, 0x7fff
	s_waitcnt vmcnt(0)
	v_cvt_f32_i32_e32 v5, v5
	v_bfe_u32 v7, v5, 16, 1
	v_add3_u32 v5, v5, v7, s0
	v_lshrrev_b32_e32 v10, 16, v5
	s_mov_b64 s[0:1], 0
	s_branch .LBB31_1654
.LBB31_1653:
	s_mov_b64 s[0:1], -1
                                        ; implicit-def: $vgpr10
.LBB31_1654:
	s_andn2_b64 vcc, exec, s[0:1]
	s_cbranch_vccnz .LBB31_1656
; %bb.1655:
	global_load_ubyte v5, v[8:9], off
	s_movk_i32 s0, 0x7fff
	s_waitcnt vmcnt(0)
	v_cvt_f32_ubyte0_e32 v5, v5
	v_bfe_u32 v7, v5, 16, 1
	v_add3_u32 v5, v5, v7, s0
	v_lshrrev_b32_e32 v10, 16, v5
.LBB31_1656:
	s_mov_b64 s[10:11], -1
.LBB31_1657:
	s_andn2_b64 vcc, exec, s[10:11]
	s_cbranch_vccnz .LBB31_1665
; %bb.1658:
	s_load_dword s0, s[4:5], 0x160
	s_load_dword s1, s[34:35], 0x15c
	v_mov_b32_e32 v5, 0x7fff
	v_add_co_u32_e32 v6, vcc, s8, v6
	s_waitcnt lgkmcnt(0)
	s_lshr_b32 s0, s0, 16
	s_and_b32 s16, s1, 0xff
	v_and_b32_e32 v9, s0, v5
	v_mov_b32_e32 v5, s9
	s_waitcnt vmcnt(0)
	v_and_b32_e32 v1, 0xffff8000, v1
	v_addc_co_u32_e32 v7, vcc, 0, v5, vcc
	v_cmp_lt_i16_e64 s[4:5], s16, 11
	v_or_b32_e32 v1, v1, v9
	s_and_b64 vcc, exec, s[4:5]
	s_cbranch_vccnz .LBB31_1711
; %bb.1659:
	v_cmp_gt_i16_e64 s[0:1], s16, 25
	s_mov_b64 s[12:13], -1
	s_mov_b64 s[6:7], 0
	s_and_b64 vcc, exec, s[0:1]
	s_mov_b64 s[10:11], 0
	s_mov_b64 s[0:1], 0
	s_cbranch_vccz .LBB31_1743
; %bb.1660:
	v_cmp_gt_i16_e64 s[0:1], s16, 28
	s_and_b64 vcc, exec, s[0:1]
	s_cbranch_vccz .LBB31_1712
; %bb.1661:
	v_cmp_gt_i16_e64 s[0:1], s16, 43
	s_and_b64 vcc, exec, s[0:1]
	;; [unrolled: 4-line block ×3, first 2 shown]
	s_cbranch_vccz .LBB31_1715
; %bb.1663:
	v_cmp_eq_u16_e64 s[10:11], s16, 46
	s_mov_b64 s[0:1], -1
	s_mov_b64 s[12:13], 0
	s_and_b64 vcc, exec, s[10:11]
	s_mov_b64 s[10:11], 0
	s_cbranch_vccz .LBB31_1716
; %bb.1664:
	v_and_b32_e32 v5, 0xffff, v1
	global_store_dword v[6:7], v5, off
	s_mov_b64 s[0:1], 0
	s_mov_b64 s[10:11], -1
	s_branch .LBB31_1716
.LBB31_1665:
	s_mov_b64 s[0:1], 0
                                        ; implicit-def: $vgpr0_vgpr1
                                        ; implicit-def: $sgpr16
                                        ; implicit-def: $vgpr2
                                        ; implicit-def: $vgpr9
.LBB31_1666:
	s_mov_b64 s[4:5], 0
.LBB31_1667:
	s_and_b64 s[6:7], s[4:5], exec
	s_andn2_b64 s[4:5], s[28:29], exec
	s_and_b64 s[2:3], s[2:3], exec
	s_and_b64 s[0:1], s[0:1], exec
	s_or_b64 s[28:29], s[4:5], s[2:3]
.LBB31_1668:
	s_or_b64 exec, exec, s[30:31]
	s_and_saveexec_b64 s[2:3], s[28:29]
	s_cbranch_execz .LBB31_1671
; %bb.1669:
	; divergent unreachable
	s_or_b64 exec, exec, s[2:3]
	s_and_saveexec_b64 s[2:3], s[6:7]
	s_xor_b64 s[2:3], exec, s[2:3]
	s_cbranch_execnz .LBB31_1672
.LBB31_1670:
	s_or_b64 exec, exec, s[2:3]
	s_and_saveexec_b64 s[2:3], s[0:1]
	s_cbranch_execnz .LBB31_1673
	s_branch .LBB31_1710
.LBB31_1671:
	s_or_b64 exec, exec, s[2:3]
	s_and_saveexec_b64 s[2:3], s[6:7]
	s_xor_b64 s[2:3], exec, s[2:3]
	s_cbranch_execz .LBB31_1670
.LBB31_1672:
	v_cmp_ne_u16_e32 vcc, 0, v9
	s_waitcnt vmcnt(0)
	v_cndmask_b32_e64 v3, 0, 1, vcc
	global_store_byte v[0:1], v3, off
	s_or_b64 exec, exec, s[2:3]
	s_and_saveexec_b64 s[2:3], s[0:1]
	s_cbranch_execz .LBB31_1710
.LBB31_1673:
	v_cmp_lt_i16_e64 s[2:3], s16, 5
	s_mov_b64 s[0:1], -1
	s_and_b64 vcc, exec, s[2:3]
	s_cbranch_vccnz .LBB31_1694
; %bb.1674:
	v_cmp_lt_i16_e64 s[2:3], s16, 8
	s_and_b64 vcc, exec, s[2:3]
	s_cbranch_vccnz .LBB31_1684
; %bb.1675:
	v_cmp_lt_i16_e64 s[2:3], s16, 9
	s_and_b64 vcc, exec, s[2:3]
	s_cbranch_vccnz .LBB31_1681
; %bb.1676:
	v_cmp_gt_i16_e64 s[2:3], s16, 9
	s_and_b64 vcc, exec, s[2:3]
	s_cbranch_vccz .LBB31_1678
; %bb.1677:
	s_waitcnt vmcnt(0)
	v_lshlrev_b32_e32 v3, 16, v2
	v_mov_b32_e32 v6, 0
	v_cvt_f64_f32_e32 v[4:5], v3
	v_mov_b32_e32 v7, v6
	global_store_dwordx4 v[0:1], v[4:7], off
	s_mov_b64 s[0:1], 0
.LBB31_1678:
	s_andn2_b64 vcc, exec, s[0:1]
	s_cbranch_vccnz .LBB31_1680
; %bb.1679:
	v_lshlrev_b32_e32 v4, 16, v2
	v_mov_b32_e32 v5, 0
	s_waitcnt vmcnt(0)
	global_store_dwordx2 v[0:1], v[4:5], off
.LBB31_1680:
	s_mov_b64 s[0:1], 0
.LBB31_1681:
	s_andn2_b64 vcc, exec, s[0:1]
	s_cbranch_vccnz .LBB31_1683
; %bb.1682:
	s_waitcnt vmcnt(0)
	v_lshlrev_b32_e32 v3, 16, v2
	v_cvt_f16_f32_e32 v3, v3
	global_store_dword v[0:1], v3, off
.LBB31_1683:
	s_mov_b64 s[0:1], 0
.LBB31_1684:
	s_andn2_b64 vcc, exec, s[0:1]
	s_cbranch_vccnz .LBB31_1693
; %bb.1685:
	v_cmp_lt_i16_e64 s[2:3], s16, 6
	s_mov_b64 s[0:1], -1
	s_and_b64 vcc, exec, s[2:3]
	s_cbranch_vccnz .LBB31_1691
; %bb.1686:
	v_cmp_gt_i16_e64 s[2:3], s16, 6
	s_and_b64 vcc, exec, s[2:3]
	s_cbranch_vccz .LBB31_1688
; %bb.1687:
	s_waitcnt vmcnt(0)
	v_lshlrev_b32_e32 v3, 16, v2
	v_cvt_f64_f32_e32 v[4:5], v3
	global_store_dwordx2 v[0:1], v[4:5], off
	s_mov_b64 s[0:1], 0
.LBB31_1688:
	s_andn2_b64 vcc, exec, s[0:1]
	s_cbranch_vccnz .LBB31_1690
; %bb.1689:
	s_waitcnt vmcnt(0)
	v_lshlrev_b32_e32 v3, 16, v2
	global_store_dword v[0:1], v3, off
.LBB31_1690:
	s_mov_b64 s[0:1], 0
.LBB31_1691:
	s_andn2_b64 vcc, exec, s[0:1]
	s_cbranch_vccnz .LBB31_1693
; %bb.1692:
	s_waitcnt vmcnt(0)
	v_lshlrev_b32_e32 v3, 16, v2
	v_cvt_f16_f32_e32 v3, v3
	global_store_short v[0:1], v3, off
.LBB31_1693:
	s_mov_b64 s[0:1], 0
.LBB31_1694:
	s_andn2_b64 vcc, exec, s[0:1]
	s_cbranch_vccnz .LBB31_1710
; %bb.1695:
	v_cmp_lt_i16_e64 s[2:3], s16, 2
	s_mov_b64 s[0:1], -1
	s_and_b64 vcc, exec, s[2:3]
	s_cbranch_vccnz .LBB31_1705
; %bb.1696:
	v_cmp_lt_i16_e64 s[2:3], s16, 3
	s_and_b64 vcc, exec, s[2:3]
	s_cbranch_vccnz .LBB31_1702
; %bb.1697:
	v_cmp_gt_i16_e64 s[2:3], s16, 3
	s_and_b64 vcc, exec, s[2:3]
	s_cbranch_vccz .LBB31_1699
; %bb.1698:
	s_waitcnt vmcnt(0)
	v_lshlrev_b32_e32 v3, 16, v2
	v_trunc_f32_e32 v3, v3
	s_mov_b32 s0, 0x2f800000
	v_mul_f32_e64 v4, |v3|, s0
	v_floor_f32_e32 v4, v4
	s_mov_b32 s0, 0xcf800000
	v_cvt_u32_f32_e32 v5, v4
	v_fma_f32 v4, v4, s0, |v3|
	v_cvt_u32_f32_e32 v4, v4
	v_ashrrev_i32_e32 v3, 31, v3
	v_xor_b32_e32 v5, v5, v3
	s_mov_b64 s[0:1], 0
	v_xor_b32_e32 v4, v4, v3
	v_sub_co_u32_e32 v4, vcc, v4, v3
	v_subb_co_u32_e32 v5, vcc, v5, v3, vcc
	global_store_dwordx2 v[0:1], v[4:5], off
.LBB31_1699:
	s_andn2_b64 vcc, exec, s[0:1]
	s_cbranch_vccnz .LBB31_1701
; %bb.1700:
	s_waitcnt vmcnt(0)
	v_lshlrev_b32_e32 v3, 16, v2
	v_cvt_i32_f32_e32 v3, v3
	global_store_dword v[0:1], v3, off
.LBB31_1701:
	s_mov_b64 s[0:1], 0
.LBB31_1702:
	s_andn2_b64 vcc, exec, s[0:1]
	s_cbranch_vccnz .LBB31_1704
; %bb.1703:
	s_waitcnt vmcnt(0)
	v_lshlrev_b32_e32 v3, 16, v2
	v_cvt_i32_f32_e32 v3, v3
	global_store_short v[0:1], v3, off
.LBB31_1704:
	s_mov_b64 s[0:1], 0
.LBB31_1705:
	s_andn2_b64 vcc, exec, s[0:1]
	s_cbranch_vccnz .LBB31_1710
; %bb.1706:
	v_cmp_gt_i16_e64 s[2:3], s16, 0
	s_mov_b64 s[0:1], -1
	s_and_b64 vcc, exec, s[2:3]
	s_cbranch_vccz .LBB31_1708
; %bb.1707:
	s_waitcnt vmcnt(0)
	v_lshlrev_b32_e32 v3, 16, v2
	v_cvt_i32_f32_e32 v3, v3
	s_mov_b64 s[0:1], 0
	global_store_byte v[0:1], v3, off
.LBB31_1708:
	s_andn2_b64 vcc, exec, s[0:1]
	s_cbranch_vccnz .LBB31_1710
; %bb.1709:
	v_lshlrev_b32_e32 v2, 16, v2
	v_trunc_f32_e32 v2, v2
	s_mov_b32 s0, 0x2f800000
	s_waitcnt vmcnt(0)
	v_mul_f32_e64 v3, |v2|, s0
	v_floor_f32_e32 v3, v3
	s_mov_b32 s0, 0xcf800000
	v_fma_f32 v3, v3, s0, |v2|
	v_cvt_u32_f32_e32 v3, v3
	v_ashrrev_i32_e32 v2, 31, v2
	v_xor_b32_e32 v3, v3, v2
	v_sub_u32_e32 v2, v3, v2
	global_store_byte v[0:1], v2, off
	s_endpgm
.LBB31_1710:
	s_endpgm
.LBB31_1711:
	s_mov_b64 s[0:1], -1
	s_mov_b64 s[10:11], 0
	s_branch .LBB31_1787
.LBB31_1712:
	s_mov_b64 s[0:1], 0
	s_branch .LBB31_1726
.LBB31_1713:
	s_mov_b64 s[0:1], 0
	s_branch .LBB31_1722
.LBB31_1714:
	s_trap 2
	s_or_b64 s[2:3], s[2:3], exec
                                        ; implicit-def: $vgpr10
	s_cbranch_execz .LBB31_1606
	s_branch .LBB31_1607
.LBB31_1715:
	s_mov_b64 s[0:1], 0
.LBB31_1716:
	s_and_b64 vcc, exec, s[12:13]
	s_cbranch_vccz .LBB31_1721
; %bb.1717:
	v_cmp_eq_u16_e64 s[12:13], s16, 44
	s_mov_b64 s[0:1], -1
	s_and_b64 vcc, exec, s[12:13]
	s_cbranch_vccz .LBB31_1721
; %bb.1718:
	v_and_b32_e32 v8, 0xffff, v1
	v_bfe_u32 v5, v8, 7, 8
	s_movk_i32 s0, 0xff
	v_cmp_ne_u32_e32 vcc, s0, v5
	v_mov_b32_e32 v11, 0xff
	s_and_saveexec_b64 s[10:11], vcc
; %bb.1719:
	v_lshlrev_b32_e32 v13, 16, v8
	s_mov_b32 s0, 0x3f0000
	v_lshrrev_b32_e32 v11, 7, v8
	v_and_b32_e32 v8, 64, v8
	v_and_or_b32 v5, v13, s0, v5
	v_cmp_ne_u32_e32 vcc, 0, v8
	v_cmp_ne_u32_e64 s[0:1], 0, v5
	s_and_b64 s[0:1], vcc, s[0:1]
	v_cndmask_b32_e64 v5, 0, 1, s[0:1]
	v_add_u32_e32 v11, v11, v5
; %bb.1720:
	s_or_b64 exec, exec, s[10:11]
	s_mov_b64 s[0:1], 0
	s_mov_b64 s[10:11], -1
	global_store_byte v[6:7], v11, off
.LBB31_1721:
	s_mov_b64 s[12:13], 0
.LBB31_1722:
	s_and_b64 vcc, exec, s[12:13]
	s_cbranch_vccz .LBB31_1725
; %bb.1723:
	v_cmp_eq_u16_e64 s[12:13], s16, 29
	s_mov_b64 s[0:1], -1
	s_and_b64 vcc, exec, s[12:13]
	s_cbranch_vccz .LBB31_1725
; %bb.1724:
	v_lshlrev_b32_e32 v5, 16, v1
	v_trunc_f32_e32 v5, v5
	v_mul_f32_e32 v8, 0x2f800000, v5
	v_floor_f32_e32 v8, v8
	v_fmac_f32_e32 v5, 0xcf800000, v8
	v_cvt_u32_f32_e32 v15, v8
	v_cvt_u32_f32_e32 v14, v5
	s_mov_b64 s[0:1], 0
	s_mov_b64 s[10:11], -1
	s_mov_b64 s[12:13], 0
	global_store_dwordx2 v[6:7], v[14:15], off
	s_branch .LBB31_1726
.LBB31_1725:
	s_mov_b64 s[12:13], 0
.LBB31_1726:
	s_and_b64 vcc, exec, s[12:13]
	s_cbranch_vccz .LBB31_1742
; %bb.1727:
	v_cmp_lt_i16_e64 s[12:13], s16, 27
	s_mov_b64 s[10:11], -1
	s_and_b64 vcc, exec, s[12:13]
	s_cbranch_vccnz .LBB31_1733
; %bb.1728:
	v_cmp_gt_i16_e64 s[12:13], s16, 27
	s_and_b64 vcc, exec, s[12:13]
	s_cbranch_vccz .LBB31_1730
; %bb.1729:
	v_lshlrev_b32_e32 v5, 16, v1
	v_cvt_u32_f32_e32 v5, v5
	s_mov_b64 s[10:11], 0
	global_store_dword v[6:7], v5, off
.LBB31_1730:
	s_andn2_b64 vcc, exec, s[10:11]
	s_cbranch_vccnz .LBB31_1732
; %bb.1731:
	v_lshlrev_b32_e32 v5, 16, v1
	v_cvt_u32_f32_e32 v5, v5
	global_store_short v[6:7], v5, off
.LBB31_1732:
	s_mov_b64 s[10:11], 0
.LBB31_1733:
	s_andn2_b64 vcc, exec, s[10:11]
	s_cbranch_vccnz .LBB31_1741
; %bb.1734:
	v_lshlrev_b32_e32 v11, 16, v1
	v_and_b32_e32 v8, 0x7fffffff, v11
	s_mov_b32 s10, 0x43800000
	v_cmp_gt_u32_e32 vcc, s10, v8
	v_mov_b32_e32 v13, 0x80
	s_and_saveexec_b64 s[10:11], vcc
	s_cbranch_execz .LBB31_1740
; %bb.1735:
	s_mov_b32 s12, 0x3bffffff
	v_and_b32_e32 v5, 0xffff, v1
	v_cmp_lt_u32_e32 vcc, s12, v8
	s_mov_b64 s[12:13], 0
                                        ; implicit-def: $vgpr8
	s_and_saveexec_b64 s[14:15], vcc
	s_xor_b64 s[14:15], exec, s[14:15]
	s_cbranch_execz .LBB31_1836
; %bb.1736:
	v_bfe_u32 v8, v5, 4, 1
	s_mov_b32 s17, 0x487ffff
	v_add3_u32 v8, v11, v8, s17
	s_mov_b64 s[12:13], exec
	v_lshrrev_b32_e32 v8, 20, v8
                                        ; implicit-def: $vgpr11
	s_or_saveexec_b64 s[14:15], s[14:15]
                                        ; implicit-def: $sgpr17
	s_xor_b64 exec, exec, s[14:15]
	s_cbranch_execnz .LBB31_1837
.LBB31_1737:
	s_or_b64 exec, exec, s[14:15]
	v_mov_b32_e32 v13, s17
	s_and_saveexec_b64 s[14:15], s[12:13]
.LBB31_1738:
	v_lshrrev_b32_e32 v5, 8, v5
	s_movk_i32 s12, 0x80
	v_and_or_b32 v13, v5, s12, v8
.LBB31_1739:
	s_or_b64 exec, exec, s[14:15]
.LBB31_1740:
	s_or_b64 exec, exec, s[10:11]
	global_store_byte v[6:7], v13, off
.LBB31_1741:
	s_mov_b64 s[10:11], -1
.LBB31_1742:
	s_mov_b64 s[12:13], 0
.LBB31_1743:
	s_and_b64 vcc, exec, s[12:13]
	s_cbranch_vccz .LBB31_1783
; %bb.1744:
	v_cmp_gt_i16_e64 s[12:13], s16, 22
	s_mov_b64 s[6:7], -1
	s_and_b64 vcc, exec, s[12:13]
	s_cbranch_vccz .LBB31_1776
; %bb.1745:
	v_cmp_lt_i16_e64 s[10:11], s16, 24
	s_and_b64 vcc, exec, s[10:11]
	s_cbranch_vccnz .LBB31_1765
; %bb.1746:
	v_cmp_gt_i16_e64 s[10:11], s16, 24
	s_and_b64 vcc, exec, s[10:11]
	s_cbranch_vccz .LBB31_1754
; %bb.1747:
	v_lshlrev_b32_e32 v11, 16, v1
	v_and_b32_e32 v8, 0x7fffffff, v11
	s_mov_b32 s6, 0x47800000
	v_cmp_gt_u32_e32 vcc, s6, v8
	v_mov_b32_e32 v13, 0x80
	s_and_saveexec_b64 s[6:7], vcc
	s_cbranch_execz .LBB31_1753
; %bb.1748:
	s_mov_b32 s10, 0x37ffffff
	v_and_b32_e32 v5, 0xffff, v1
	v_cmp_lt_u32_e32 vcc, s10, v8
	s_mov_b64 s[10:11], 0
                                        ; implicit-def: $vgpr8
	s_and_saveexec_b64 s[12:13], vcc
	s_xor_b64 s[12:13], exec, s[12:13]
	s_cbranch_execz .LBB31_1840
; %bb.1749:
	v_bfe_u32 v8, v5, 5, 1
	s_mov_b32 s14, 0x88fffff
	v_add3_u32 v8, v11, v8, s14
	s_mov_b64 s[10:11], exec
	v_lshrrev_b32_e32 v8, 21, v8
                                        ; implicit-def: $vgpr11
	s_or_saveexec_b64 s[12:13], s[12:13]
                                        ; implicit-def: $sgpr14
	s_xor_b64 exec, exec, s[12:13]
	s_cbranch_execnz .LBB31_1841
.LBB31_1750:
	s_or_b64 exec, exec, s[12:13]
	v_mov_b32_e32 v13, s14
	s_and_saveexec_b64 s[12:13], s[10:11]
.LBB31_1751:
	v_lshrrev_b32_e32 v5, 8, v5
	s_movk_i32 s10, 0x80
	v_and_or_b32 v13, v5, s10, v8
.LBB31_1752:
	s_or_b64 exec, exec, s[12:13]
.LBB31_1753:
	s_or_b64 exec, exec, s[6:7]
	s_mov_b64 s[6:7], 0
	global_store_byte v[6:7], v13, off
.LBB31_1754:
	s_and_b64 vcc, exec, s[6:7]
	s_cbranch_vccz .LBB31_1764
; %bb.1755:
	v_lshlrev_b32_e32 v11, 16, v1
	v_and_b32_e32 v13, 0x7fffffff, v11
	s_mov_b32 s6, 0x43f00000
	v_and_b32_e32 v5, 0xffff, v1
	v_cmp_gt_u32_e32 vcc, s6, v13
                                        ; implicit-def: $vgpr8
	s_and_saveexec_b64 s[6:7], vcc
	s_xor_b64 s[6:7], exec, s[6:7]
	s_cbranch_execz .LBB31_1761
; %bb.1756:
	s_mov_b32 s10, 0x3c7fffff
	v_cmp_lt_u32_e32 vcc, s10, v13
                                        ; implicit-def: $vgpr8
	s_and_saveexec_b64 s[10:11], vcc
	s_xor_b64 s[10:11], exec, s[10:11]
; %bb.1757:
	v_bfe_u32 v8, v5, 4, 1
	s_mov_b32 s12, 0x407ffff
	v_add3_u32 v8, v11, v8, s12
	v_lshrrev_b32_e32 v11, 20, v8
	v_and_b32_e32 v8, 0xff00000, v8
	s_mov_b32 s12, 0x7f00000
	v_mov_b32_e32 v13, 0x7e
	v_cmp_ne_u32_e32 vcc, s12, v8
	v_cndmask_b32_e32 v8, v13, v11, vcc
                                        ; implicit-def: $vgpr11
; %bb.1758:
	s_andn2_saveexec_b64 s[10:11], s[10:11]
; %bb.1759:
	s_mov_b32 s12, 0x46800000
	v_add_f32_e64 v8, |v11|, s12
; %bb.1760:
	s_or_b64 exec, exec, s[10:11]
                                        ; implicit-def: $vgpr13
.LBB31_1761:
	s_andn2_saveexec_b64 s[6:7], s[6:7]
; %bb.1762:
	s_mov_b32 s10, 0x7f800000
	v_mov_b32_e32 v8, 0x7e
	v_mov_b32_e32 v11, 0x7f
	v_cmp_lt_u32_e32 vcc, s10, v13
	v_cndmask_b32_e32 v8, v8, v11, vcc
; %bb.1763:
	s_or_b64 exec, exec, s[6:7]
	v_lshrrev_b32_e32 v5, 8, v5
	s_movk_i32 s6, 0x80
	v_and_or_b32 v5, v5, s6, v8
	global_store_byte v[6:7], v5, off
.LBB31_1764:
	s_mov_b64 s[6:7], 0
.LBB31_1765:
	s_andn2_b64 vcc, exec, s[6:7]
	s_cbranch_vccnz .LBB31_1775
; %bb.1766:
	v_lshlrev_b32_e32 v11, 16, v1
	v_and_b32_e32 v13, 0x7fffffff, v11
	s_mov_b32 s6, 0x47800000
	v_and_b32_e32 v5, 0xffff, v1
	v_cmp_gt_u32_e32 vcc, s6, v13
                                        ; implicit-def: $vgpr8
	s_and_saveexec_b64 s[6:7], vcc
	s_xor_b64 s[6:7], exec, s[6:7]
	s_cbranch_execz .LBB31_1772
; %bb.1767:
	s_mov_b32 s10, 0x387fffff
	v_cmp_lt_u32_e32 vcc, s10, v13
                                        ; implicit-def: $vgpr8
	s_and_saveexec_b64 s[10:11], vcc
	s_xor_b64 s[10:11], exec, s[10:11]
; %bb.1768:
	v_bfe_u32 v8, v5, 5, 1
	s_mov_b32 s12, 0x80fffff
	v_add3_u32 v8, v11, v8, s12
	v_lshrrev_b32_e32 v8, 21, v8
                                        ; implicit-def: $vgpr11
; %bb.1769:
	s_andn2_saveexec_b64 s[10:11], s[10:11]
; %bb.1770:
	s_mov_b32 s12, 0x43000000
	v_add_f32_e64 v8, |v11|, s12
; %bb.1771:
	s_or_b64 exec, exec, s[10:11]
                                        ; implicit-def: $vgpr13
.LBB31_1772:
	s_andn2_saveexec_b64 s[6:7], s[6:7]
; %bb.1773:
	s_mov_b32 s10, 0x7f800000
	v_mov_b32_e32 v8, 0x7c
	v_mov_b32_e32 v11, 0x7f
	v_cmp_lt_u32_e32 vcc, s10, v13
	v_cndmask_b32_e32 v8, v8, v11, vcc
; %bb.1774:
	s_or_b64 exec, exec, s[6:7]
	v_lshrrev_b32_e32 v5, 8, v5
	s_movk_i32 s6, 0x80
	v_and_or_b32 v5, v5, s6, v8
	global_store_byte v[6:7], v5, off
.LBB31_1775:
	s_mov_b64 s[6:7], 0
	s_mov_b64 s[10:11], -1
.LBB31_1776:
	s_andn2_b64 vcc, exec, s[6:7]
	s_mov_b64 s[6:7], 0
	s_cbranch_vccnz .LBB31_1783
; %bb.1777:
	v_cmp_gt_i16_e64 s[6:7], s16, 14
	s_mov_b64 s[12:13], -1
	s_and_b64 vcc, exec, s[6:7]
	s_cbranch_vccz .LBB31_1781
; %bb.1778:
	v_cmp_eq_u16_e64 s[6:7], s16, 15
	s_mov_b64 s[0:1], -1
	s_and_b64 vcc, exec, s[6:7]
	s_cbranch_vccz .LBB31_1780
; %bb.1779:
	global_store_short v[6:7], v1, off
	s_mov_b64 s[0:1], 0
	s_mov_b64 s[10:11], -1
.LBB31_1780:
	s_mov_b64 s[12:13], 0
.LBB31_1781:
	s_mov_b64 s[6:7], 0
	s_and_b64 vcc, exec, s[12:13]
	s_cbranch_vccz .LBB31_1783
; %bb.1782:
	v_cmp_ne_u16_e64 s[0:1], s16, 11
	s_mov_b64 s[6:7], -1
.LBB31_1783:
	s_and_b64 vcc, exec, s[0:1]
	s_cbranch_vccnz .LBB31_1839
; %bb.1784:
	s_andn2_b64 vcc, exec, s[6:7]
	s_cbranch_vccnz .LBB31_1786
.LBB31_1785:
	v_cmp_ne_u16_e32 vcc, 0, v9
	v_cndmask_b32_e64 v5, 0, 1, vcc
	s_mov_b64 s[10:11], -1
	global_store_byte v[6:7], v5, off
.LBB31_1786:
	s_mov_b64 s[0:1], 0
.LBB31_1787:
	s_and_b64 vcc, exec, s[0:1]
	s_cbranch_vccz .LBB31_1826
; %bb.1788:
	v_cmp_lt_i16_e64 s[6:7], s16, 5
	s_mov_b64 s[0:1], -1
	s_and_b64 vcc, exec, s[6:7]
	s_cbranch_vccnz .LBB31_1809
; %bb.1789:
	v_cmp_lt_i16_e64 s[6:7], s16, 8
	s_and_b64 vcc, exec, s[6:7]
	s_cbranch_vccnz .LBB31_1799
; %bb.1790:
	v_cmp_lt_i16_e64 s[6:7], s16, 9
	s_and_b64 vcc, exec, s[6:7]
	s_cbranch_vccnz .LBB31_1796
; %bb.1791:
	v_cmp_gt_i16_e64 s[6:7], s16, 9
	s_and_b64 vcc, exec, s[6:7]
	s_cbranch_vccz .LBB31_1793
; %bb.1792:
	v_lshlrev_b32_e32 v5, 16, v1
	v_mov_b32_e32 v16, 0
	v_cvt_f64_f32_e32 v[14:15], v5
	v_mov_b32_e32 v17, v16
	global_store_dwordx4 v[6:7], v[14:17], off
	s_mov_b64 s[0:1], 0
.LBB31_1793:
	s_andn2_b64 vcc, exec, s[0:1]
	s_cbranch_vccnz .LBB31_1795
; %bb.1794:
	v_lshlrev_b32_e32 v14, 16, v1
	v_mov_b32_e32 v15, 0
	global_store_dwordx2 v[6:7], v[14:15], off
.LBB31_1795:
	s_mov_b64 s[0:1], 0
.LBB31_1796:
	s_andn2_b64 vcc, exec, s[0:1]
	s_cbranch_vccnz .LBB31_1798
; %bb.1797:
	v_lshlrev_b32_e32 v5, 16, v1
	v_cvt_f16_f32_e32 v5, v5
	global_store_dword v[6:7], v5, off
.LBB31_1798:
	s_mov_b64 s[0:1], 0
.LBB31_1799:
	s_andn2_b64 vcc, exec, s[0:1]
	s_cbranch_vccnz .LBB31_1808
; %bb.1800:
	v_cmp_lt_i16_e64 s[6:7], s16, 6
	s_mov_b64 s[0:1], -1
	s_and_b64 vcc, exec, s[6:7]
	s_cbranch_vccnz .LBB31_1806
; %bb.1801:
	v_cmp_gt_i16_e64 s[6:7], s16, 6
	s_and_b64 vcc, exec, s[6:7]
	s_cbranch_vccz .LBB31_1803
; %bb.1802:
	v_lshlrev_b32_e32 v5, 16, v1
	v_cvt_f64_f32_e32 v[14:15], v5
	global_store_dwordx2 v[6:7], v[14:15], off
	s_mov_b64 s[0:1], 0
.LBB31_1803:
	s_andn2_b64 vcc, exec, s[0:1]
	s_cbranch_vccnz .LBB31_1805
; %bb.1804:
	v_lshlrev_b32_e32 v5, 16, v1
	global_store_dword v[6:7], v5, off
.LBB31_1805:
	s_mov_b64 s[0:1], 0
.LBB31_1806:
	s_andn2_b64 vcc, exec, s[0:1]
	s_cbranch_vccnz .LBB31_1808
; %bb.1807:
	v_lshlrev_b32_e32 v5, 16, v1
	v_cvt_f16_f32_e32 v5, v5
	global_store_short v[6:7], v5, off
.LBB31_1808:
	s_mov_b64 s[0:1], 0
.LBB31_1809:
	s_andn2_b64 vcc, exec, s[0:1]
	s_cbranch_vccnz .LBB31_1825
; %bb.1810:
	v_cmp_lt_i16_e64 s[6:7], s16, 2
	s_mov_b64 s[0:1], -1
	s_and_b64 vcc, exec, s[6:7]
	s_cbranch_vccnz .LBB31_1820
; %bb.1811:
	v_cmp_lt_i16_e64 s[6:7], s16, 3
	s_and_b64 vcc, exec, s[6:7]
	s_cbranch_vccnz .LBB31_1817
; %bb.1812:
	v_cmp_gt_i16_e64 s[6:7], s16, 3
	s_and_b64 vcc, exec, s[6:7]
	s_cbranch_vccz .LBB31_1814
; %bb.1813:
	v_lshlrev_b32_e32 v5, 16, v1
	v_trunc_f32_e32 v5, v5
	s_mov_b32 s0, 0x2f800000
	v_mul_f32_e64 v8, |v5|, s0
	v_floor_f32_e32 v8, v8
	s_mov_b32 s0, 0xcf800000
	v_cvt_u32_f32_e32 v11, v8
	v_fma_f32 v8, v8, s0, |v5|
	v_cvt_u32_f32_e32 v8, v8
	v_ashrrev_i32_e32 v5, 31, v5
	v_xor_b32_e32 v11, v11, v5
	s_mov_b64 s[0:1], 0
	v_xor_b32_e32 v8, v8, v5
	v_sub_co_u32_e32 v14, vcc, v8, v5
	v_subb_co_u32_e32 v15, vcc, v11, v5, vcc
	global_store_dwordx2 v[6:7], v[14:15], off
.LBB31_1814:
	s_andn2_b64 vcc, exec, s[0:1]
	s_cbranch_vccnz .LBB31_1816
; %bb.1815:
	v_lshlrev_b32_e32 v5, 16, v1
	v_cvt_i32_f32_e32 v5, v5
	global_store_dword v[6:7], v5, off
.LBB31_1816:
	s_mov_b64 s[0:1], 0
.LBB31_1817:
	s_andn2_b64 vcc, exec, s[0:1]
	s_cbranch_vccnz .LBB31_1819
; %bb.1818:
	v_lshlrev_b32_e32 v5, 16, v1
	v_cvt_i32_f32_e32 v5, v5
	global_store_short v[6:7], v5, off
.LBB31_1819:
	s_mov_b64 s[0:1], 0
.LBB31_1820:
	s_andn2_b64 vcc, exec, s[0:1]
	s_cbranch_vccnz .LBB31_1825
; %bb.1821:
	v_cmp_gt_i16_e64 s[6:7], s16, 0
	s_mov_b64 s[0:1], -1
	s_and_b64 vcc, exec, s[6:7]
	v_lshlrev_b32_e32 v1, 16, v1
	s_cbranch_vccz .LBB31_1823
; %bb.1822:
	v_cvt_i32_f32_e32 v5, v1
	s_mov_b64 s[0:1], 0
	global_store_byte v[6:7], v5, off
.LBB31_1823:
	s_andn2_b64 vcc, exec, s[0:1]
	s_cbranch_vccnz .LBB31_1825
; %bb.1824:
	v_trunc_f32_e32 v1, v1
	s_mov_b32 s0, 0x2f800000
	v_mul_f32_e64 v5, |v1|, s0
	v_floor_f32_e32 v5, v5
	s_mov_b32 s0, 0xcf800000
	v_fma_f32 v5, v5, s0, |v1|
	v_cvt_u32_f32_e32 v5, v5
	v_ashrrev_i32_e32 v1, 31, v1
	v_xor_b32_e32 v5, v5, v1
	v_sub_u32_e32 v1, v5, v1
	global_store_byte v[6:7], v1, off
.LBB31_1825:
	s_mov_b64 s[10:11], -1
.LBB31_1826:
	s_andn2_b64 vcc, exec, s[10:11]
	s_cbranch_vccnz .LBB31_2089
; %bb.1827:
	v_and_b32_e32 v1, 0xffff8000, v3
	v_mov_b32_e32 v3, s9
	v_add_co_u32_e32 v4, vcc, s8, v4
	v_addc_co_u32_e32 v5, vcc, 0, v3, vcc
	v_or_b32_e32 v1, v1, v9
	s_and_b64 vcc, exec, s[4:5]
	s_cbranch_vccnz .LBB31_1834
; %bb.1828:
	v_cmp_gt_i16_e64 s[0:1], s16, 25
	s_mov_b64 s[12:13], -1
	s_mov_b64 s[6:7], 0
	s_and_b64 vcc, exec, s[0:1]
	s_mov_b64 s[10:11], 0
	s_mov_b64 s[0:1], 0
	s_cbranch_vccz .LBB31_1870
; %bb.1829:
	v_cmp_gt_i16_e64 s[0:1], s16, 28
	s_and_b64 vcc, exec, s[0:1]
	s_cbranch_vccz .LBB31_1835
; %bb.1830:
	v_cmp_gt_i16_e64 s[0:1], s16, 43
	s_and_b64 vcc, exec, s[0:1]
	;; [unrolled: 4-line block ×3, first 2 shown]
	s_cbranch_vccz .LBB31_1842
; %bb.1832:
	v_cmp_eq_u16_e64 s[10:11], s16, 46
	s_mov_b64 s[0:1], -1
	s_mov_b64 s[12:13], 0
	s_and_b64 vcc, exec, s[10:11]
	s_mov_b64 s[10:11], 0
	s_cbranch_vccz .LBB31_1843
; %bb.1833:
	v_and_b32_e32 v3, 0xffff, v1
	global_store_dword v[4:5], v3, off
	s_mov_b64 s[0:1], 0
	s_mov_b64 s[10:11], -1
	s_branch .LBB31_1843
.LBB31_1834:
	s_mov_b64 s[0:1], -1
	s_mov_b64 s[10:11], 0
	s_branch .LBB31_1914
.LBB31_1835:
	s_mov_b64 s[0:1], 0
	s_branch .LBB31_1853
.LBB31_1836:
	s_or_saveexec_b64 s[14:15], s[14:15]
                                        ; implicit-def: $sgpr17
	s_xor_b64 exec, exec, s[14:15]
	s_cbranch_execz .LBB31_1737
.LBB31_1837:
	s_mov_b32 s17, 0x46000000
	v_add_f32_e64 v8, |v11|, s17
	v_and_b32_e32 v8, 0xff, v8
	v_cmp_ne_u32_e32 vcc, 0, v8
	s_andn2_b64 s[12:13], s[12:13], exec
	s_and_b64 s[18:19], vcc, exec
	s_mov_b32 s17, 0
	s_or_b64 s[12:13], s[12:13], s[18:19]
	s_or_b64 exec, exec, s[14:15]
	v_mov_b32_e32 v13, s17
	s_and_saveexec_b64 s[14:15], s[12:13]
	s_cbranch_execnz .LBB31_1738
	s_branch .LBB31_1739
.LBB31_1838:
	s_mov_b64 s[0:1], 0
	s_branch .LBB31_1849
.LBB31_1839:
	s_trap 2
	s_or_b64 s[2:3], s[2:3], exec
	s_cbranch_execz .LBB31_1785
	s_branch .LBB31_1786
.LBB31_1840:
	s_or_saveexec_b64 s[12:13], s[12:13]
                                        ; implicit-def: $sgpr14
	s_xor_b64 exec, exec, s[12:13]
	s_cbranch_execz .LBB31_1750
.LBB31_1841:
	s_mov_b32 s14, 0x42800000
	v_add_f32_e64 v8, |v11|, s14
	v_and_b32_e32 v8, 0xff, v8
	v_cmp_ne_u32_e32 vcc, 0, v8
	s_andn2_b64 s[10:11], s[10:11], exec
	s_and_b64 s[18:19], vcc, exec
	s_mov_b32 s14, 0
	s_or_b64 s[10:11], s[10:11], s[18:19]
	s_or_b64 exec, exec, s[12:13]
	v_mov_b32_e32 v13, s14
	s_and_saveexec_b64 s[12:13], s[10:11]
	s_cbranch_execnz .LBB31_1751
	s_branch .LBB31_1752
.LBB31_1842:
	s_mov_b64 s[0:1], 0
.LBB31_1843:
	s_and_b64 vcc, exec, s[12:13]
	s_cbranch_vccz .LBB31_1848
; %bb.1844:
	v_cmp_eq_u16_e64 s[12:13], s16, 44
	s_mov_b64 s[0:1], -1
	s_and_b64 vcc, exec, s[12:13]
	s_cbranch_vccz .LBB31_1848
; %bb.1845:
	v_and_b32_e32 v6, 0xffff, v1
	v_bfe_u32 v3, v6, 7, 8
	s_movk_i32 s0, 0xff
	v_cmp_ne_u32_e32 vcc, s0, v3
	v_mov_b32_e32 v7, 0xff
	s_and_saveexec_b64 s[10:11], vcc
; %bb.1846:
	v_lshlrev_b32_e32 v8, 16, v6
	s_mov_b32 s0, 0x3f0000
	v_lshrrev_b32_e32 v7, 7, v6
	v_and_b32_e32 v6, 64, v6
	v_and_or_b32 v3, v8, s0, v3
	v_cmp_ne_u32_e32 vcc, 0, v6
	v_cmp_ne_u32_e64 s[0:1], 0, v3
	s_and_b64 s[0:1], vcc, s[0:1]
	v_cndmask_b32_e64 v3, 0, 1, s[0:1]
	v_add_u32_e32 v7, v7, v3
; %bb.1847:
	s_or_b64 exec, exec, s[10:11]
	s_mov_b64 s[0:1], 0
	s_mov_b64 s[10:11], -1
	global_store_byte v[4:5], v7, off
.LBB31_1848:
	s_mov_b64 s[12:13], 0
.LBB31_1849:
	s_and_b64 vcc, exec, s[12:13]
	s_cbranch_vccz .LBB31_1852
; %bb.1850:
	v_cmp_eq_u16_e64 s[12:13], s16, 29
	s_mov_b64 s[0:1], -1
	s_and_b64 vcc, exec, s[12:13]
	s_cbranch_vccz .LBB31_1852
; %bb.1851:
	v_lshlrev_b32_e32 v3, 16, v1
	v_trunc_f32_e32 v3, v3
	v_mul_f32_e32 v6, 0x2f800000, v3
	v_floor_f32_e32 v6, v6
	v_fmac_f32_e32 v3, 0xcf800000, v6
	v_cvt_u32_f32_e32 v7, v6
	v_cvt_u32_f32_e32 v6, v3
	s_mov_b64 s[0:1], 0
	s_mov_b64 s[10:11], -1
	s_mov_b64 s[12:13], 0
	global_store_dwordx2 v[4:5], v[6:7], off
	s_branch .LBB31_1853
.LBB31_1852:
	s_mov_b64 s[12:13], 0
.LBB31_1853:
	s_and_b64 vcc, exec, s[12:13]
	s_cbranch_vccz .LBB31_1869
; %bb.1854:
	v_cmp_lt_i16_e64 s[12:13], s16, 27
	s_mov_b64 s[10:11], -1
	s_and_b64 vcc, exec, s[12:13]
	s_cbranch_vccnz .LBB31_1860
; %bb.1855:
	v_cmp_gt_i16_e64 s[12:13], s16, 27
	s_and_b64 vcc, exec, s[12:13]
	s_cbranch_vccz .LBB31_1857
; %bb.1856:
	v_lshlrev_b32_e32 v3, 16, v1
	v_cvt_u32_f32_e32 v3, v3
	s_mov_b64 s[10:11], 0
	global_store_dword v[4:5], v3, off
.LBB31_1857:
	s_andn2_b64 vcc, exec, s[10:11]
	s_cbranch_vccnz .LBB31_1859
; %bb.1858:
	v_lshlrev_b32_e32 v3, 16, v1
	v_cvt_u32_f32_e32 v3, v3
	global_store_short v[4:5], v3, off
.LBB31_1859:
	s_mov_b64 s[10:11], 0
.LBB31_1860:
	s_andn2_b64 vcc, exec, s[10:11]
	s_cbranch_vccnz .LBB31_1868
; %bb.1861:
	v_lshlrev_b32_e32 v7, 16, v1
	v_and_b32_e32 v6, 0x7fffffff, v7
	s_mov_b32 s10, 0x43800000
	v_cmp_gt_u32_e32 vcc, s10, v6
	v_mov_b32_e32 v8, 0x80
	s_and_saveexec_b64 s[10:11], vcc
	s_cbranch_execz .LBB31_1867
; %bb.1862:
	s_mov_b32 s12, 0x3bffffff
	v_and_b32_e32 v3, 0xffff, v1
	v_cmp_lt_u32_e32 vcc, s12, v6
	s_mov_b64 s[12:13], 0
                                        ; implicit-def: $vgpr6
	s_and_saveexec_b64 s[14:15], vcc
	s_xor_b64 s[14:15], exec, s[14:15]
	s_cbranch_execz .LBB31_1963
; %bb.1863:
	v_bfe_u32 v6, v3, 4, 1
	s_mov_b32 s17, 0x487ffff
	v_add3_u32 v6, v7, v6, s17
	s_mov_b64 s[12:13], exec
	v_lshrrev_b32_e32 v6, 20, v6
                                        ; implicit-def: $vgpr7
	s_or_saveexec_b64 s[14:15], s[14:15]
                                        ; implicit-def: $sgpr17
	s_xor_b64 exec, exec, s[14:15]
	s_cbranch_execnz .LBB31_1964
.LBB31_1864:
	s_or_b64 exec, exec, s[14:15]
	v_mov_b32_e32 v8, s17
	s_and_saveexec_b64 s[14:15], s[12:13]
.LBB31_1865:
	v_lshrrev_b32_e32 v3, 8, v3
	s_movk_i32 s12, 0x80
	v_and_or_b32 v8, v3, s12, v6
.LBB31_1866:
	s_or_b64 exec, exec, s[14:15]
.LBB31_1867:
	s_or_b64 exec, exec, s[10:11]
	global_store_byte v[4:5], v8, off
.LBB31_1868:
	s_mov_b64 s[10:11], -1
.LBB31_1869:
	s_mov_b64 s[12:13], 0
.LBB31_1870:
	s_and_b64 vcc, exec, s[12:13]
	s_cbranch_vccz .LBB31_1910
; %bb.1871:
	v_cmp_gt_i16_e64 s[12:13], s16, 22
	s_mov_b64 s[6:7], -1
	s_and_b64 vcc, exec, s[12:13]
	s_cbranch_vccz .LBB31_1903
; %bb.1872:
	v_cmp_lt_i16_e64 s[10:11], s16, 24
	s_and_b64 vcc, exec, s[10:11]
	s_cbranch_vccnz .LBB31_1892
; %bb.1873:
	v_cmp_gt_i16_e64 s[10:11], s16, 24
	s_and_b64 vcc, exec, s[10:11]
	s_cbranch_vccz .LBB31_1881
; %bb.1874:
	v_lshlrev_b32_e32 v7, 16, v1
	v_and_b32_e32 v6, 0x7fffffff, v7
	s_mov_b32 s6, 0x47800000
	v_cmp_gt_u32_e32 vcc, s6, v6
	v_mov_b32_e32 v8, 0x80
	s_and_saveexec_b64 s[6:7], vcc
	s_cbranch_execz .LBB31_1880
; %bb.1875:
	s_mov_b32 s10, 0x37ffffff
	v_and_b32_e32 v3, 0xffff, v1
	v_cmp_lt_u32_e32 vcc, s10, v6
	s_mov_b64 s[10:11], 0
                                        ; implicit-def: $vgpr6
	s_and_saveexec_b64 s[12:13], vcc
	s_xor_b64 s[12:13], exec, s[12:13]
	s_cbranch_execz .LBB31_1967
; %bb.1876:
	v_bfe_u32 v6, v3, 5, 1
	s_mov_b32 s14, 0x88fffff
	v_add3_u32 v6, v7, v6, s14
	s_mov_b64 s[10:11], exec
	v_lshrrev_b32_e32 v6, 21, v6
                                        ; implicit-def: $vgpr7
	s_or_saveexec_b64 s[12:13], s[12:13]
                                        ; implicit-def: $sgpr14
	s_xor_b64 exec, exec, s[12:13]
	s_cbranch_execnz .LBB31_1968
.LBB31_1877:
	s_or_b64 exec, exec, s[12:13]
	v_mov_b32_e32 v8, s14
	s_and_saveexec_b64 s[12:13], s[10:11]
.LBB31_1878:
	v_lshrrev_b32_e32 v3, 8, v3
	s_movk_i32 s10, 0x80
	v_and_or_b32 v8, v3, s10, v6
.LBB31_1879:
	s_or_b64 exec, exec, s[12:13]
.LBB31_1880:
	s_or_b64 exec, exec, s[6:7]
	s_mov_b64 s[6:7], 0
	global_store_byte v[4:5], v8, off
.LBB31_1881:
	s_and_b64 vcc, exec, s[6:7]
	s_cbranch_vccz .LBB31_1891
; %bb.1882:
	v_lshlrev_b32_e32 v7, 16, v1
	v_and_b32_e32 v8, 0x7fffffff, v7
	s_mov_b32 s6, 0x43f00000
	v_and_b32_e32 v3, 0xffff, v1
	v_cmp_gt_u32_e32 vcc, s6, v8
                                        ; implicit-def: $vgpr6
	s_and_saveexec_b64 s[6:7], vcc
	s_xor_b64 s[6:7], exec, s[6:7]
	s_cbranch_execz .LBB31_1888
; %bb.1883:
	s_mov_b32 s10, 0x3c7fffff
	v_cmp_lt_u32_e32 vcc, s10, v8
                                        ; implicit-def: $vgpr6
	s_and_saveexec_b64 s[10:11], vcc
	s_xor_b64 s[10:11], exec, s[10:11]
; %bb.1884:
	v_bfe_u32 v6, v3, 4, 1
	s_mov_b32 s12, 0x407ffff
	v_add3_u32 v6, v7, v6, s12
	v_lshrrev_b32_e32 v7, 20, v6
	v_and_b32_e32 v6, 0xff00000, v6
	s_mov_b32 s12, 0x7f00000
	v_mov_b32_e32 v8, 0x7e
	v_cmp_ne_u32_e32 vcc, s12, v6
	v_cndmask_b32_e32 v6, v8, v7, vcc
                                        ; implicit-def: $vgpr7
; %bb.1885:
	s_andn2_saveexec_b64 s[10:11], s[10:11]
; %bb.1886:
	s_mov_b32 s12, 0x46800000
	v_add_f32_e64 v6, |v7|, s12
; %bb.1887:
	s_or_b64 exec, exec, s[10:11]
                                        ; implicit-def: $vgpr8
.LBB31_1888:
	s_andn2_saveexec_b64 s[6:7], s[6:7]
; %bb.1889:
	s_mov_b32 s10, 0x7f800000
	v_mov_b32_e32 v6, 0x7e
	v_mov_b32_e32 v7, 0x7f
	v_cmp_lt_u32_e32 vcc, s10, v8
	v_cndmask_b32_e32 v6, v6, v7, vcc
; %bb.1890:
	s_or_b64 exec, exec, s[6:7]
	v_lshrrev_b32_e32 v3, 8, v3
	s_movk_i32 s6, 0x80
	v_and_or_b32 v3, v3, s6, v6
	global_store_byte v[4:5], v3, off
.LBB31_1891:
	s_mov_b64 s[6:7], 0
.LBB31_1892:
	s_andn2_b64 vcc, exec, s[6:7]
	s_cbranch_vccnz .LBB31_1902
; %bb.1893:
	v_lshlrev_b32_e32 v7, 16, v1
	v_and_b32_e32 v8, 0x7fffffff, v7
	s_mov_b32 s6, 0x47800000
	v_and_b32_e32 v3, 0xffff, v1
	v_cmp_gt_u32_e32 vcc, s6, v8
                                        ; implicit-def: $vgpr6
	s_and_saveexec_b64 s[6:7], vcc
	s_xor_b64 s[6:7], exec, s[6:7]
	s_cbranch_execz .LBB31_1899
; %bb.1894:
	s_mov_b32 s10, 0x387fffff
	v_cmp_lt_u32_e32 vcc, s10, v8
                                        ; implicit-def: $vgpr6
	s_and_saveexec_b64 s[10:11], vcc
	s_xor_b64 s[10:11], exec, s[10:11]
; %bb.1895:
	v_bfe_u32 v6, v3, 5, 1
	s_mov_b32 s12, 0x80fffff
	v_add3_u32 v6, v7, v6, s12
	v_lshrrev_b32_e32 v6, 21, v6
                                        ; implicit-def: $vgpr7
; %bb.1896:
	s_andn2_saveexec_b64 s[10:11], s[10:11]
; %bb.1897:
	s_mov_b32 s12, 0x43000000
	v_add_f32_e64 v6, |v7|, s12
; %bb.1898:
	s_or_b64 exec, exec, s[10:11]
                                        ; implicit-def: $vgpr8
.LBB31_1899:
	s_andn2_saveexec_b64 s[6:7], s[6:7]
; %bb.1900:
	s_mov_b32 s10, 0x7f800000
	v_mov_b32_e32 v6, 0x7c
	v_mov_b32_e32 v7, 0x7f
	v_cmp_lt_u32_e32 vcc, s10, v8
	v_cndmask_b32_e32 v6, v6, v7, vcc
; %bb.1901:
	s_or_b64 exec, exec, s[6:7]
	v_lshrrev_b32_e32 v3, 8, v3
	s_movk_i32 s6, 0x80
	v_and_or_b32 v3, v3, s6, v6
	global_store_byte v[4:5], v3, off
.LBB31_1902:
	s_mov_b64 s[6:7], 0
	s_mov_b64 s[10:11], -1
.LBB31_1903:
	s_andn2_b64 vcc, exec, s[6:7]
	s_mov_b64 s[6:7], 0
	s_cbranch_vccnz .LBB31_1910
; %bb.1904:
	v_cmp_gt_i16_e64 s[6:7], s16, 14
	s_mov_b64 s[12:13], -1
	s_and_b64 vcc, exec, s[6:7]
	s_cbranch_vccz .LBB31_1908
; %bb.1905:
	v_cmp_eq_u16_e64 s[6:7], s16, 15
	s_mov_b64 s[0:1], -1
	s_and_b64 vcc, exec, s[6:7]
	s_cbranch_vccz .LBB31_1907
; %bb.1906:
	global_store_short v[4:5], v1, off
	s_mov_b64 s[0:1], 0
	s_mov_b64 s[10:11], -1
.LBB31_1907:
	s_mov_b64 s[12:13], 0
.LBB31_1908:
	s_mov_b64 s[6:7], 0
	s_and_b64 vcc, exec, s[12:13]
	s_cbranch_vccz .LBB31_1910
; %bb.1909:
	v_cmp_ne_u16_e64 s[0:1], s16, 11
	s_mov_b64 s[6:7], -1
.LBB31_1910:
	s_and_b64 vcc, exec, s[0:1]
	s_cbranch_vccnz .LBB31_1966
; %bb.1911:
	s_andn2_b64 vcc, exec, s[6:7]
	s_cbranch_vccnz .LBB31_1913
.LBB31_1912:
	v_cmp_ne_u16_e32 vcc, 0, v9
	v_cndmask_b32_e64 v3, 0, 1, vcc
	s_mov_b64 s[10:11], -1
	global_store_byte v[4:5], v3, off
.LBB31_1913:
	s_mov_b64 s[0:1], 0
.LBB31_1914:
	s_and_b64 vcc, exec, s[0:1]
	s_cbranch_vccz .LBB31_1953
; %bb.1915:
	v_cmp_lt_i16_e64 s[6:7], s16, 5
	s_mov_b64 s[0:1], -1
	s_and_b64 vcc, exec, s[6:7]
	s_cbranch_vccnz .LBB31_1936
; %bb.1916:
	v_cmp_lt_i16_e64 s[6:7], s16, 8
	s_and_b64 vcc, exec, s[6:7]
	s_cbranch_vccnz .LBB31_1926
; %bb.1917:
	v_cmp_lt_i16_e64 s[6:7], s16, 9
	s_and_b64 vcc, exec, s[6:7]
	s_cbranch_vccnz .LBB31_1923
; %bb.1918:
	v_cmp_gt_i16_e64 s[6:7], s16, 9
	s_and_b64 vcc, exec, s[6:7]
	s_cbranch_vccz .LBB31_1920
; %bb.1919:
	v_lshlrev_b32_e32 v3, 16, v1
	v_mov_b32_e32 v16, 0
	v_cvt_f64_f32_e32 v[14:15], v3
	v_mov_b32_e32 v17, v16
	global_store_dwordx4 v[4:5], v[14:17], off
	s_mov_b64 s[0:1], 0
.LBB31_1920:
	s_andn2_b64 vcc, exec, s[0:1]
	s_cbranch_vccnz .LBB31_1922
; %bb.1921:
	v_lshlrev_b32_e32 v6, 16, v1
	v_mov_b32_e32 v7, 0
	global_store_dwordx2 v[4:5], v[6:7], off
.LBB31_1922:
	s_mov_b64 s[0:1], 0
.LBB31_1923:
	s_andn2_b64 vcc, exec, s[0:1]
	s_cbranch_vccnz .LBB31_1925
; %bb.1924:
	v_lshlrev_b32_e32 v3, 16, v1
	v_cvt_f16_f32_e32 v3, v3
	global_store_dword v[4:5], v3, off
.LBB31_1925:
	s_mov_b64 s[0:1], 0
.LBB31_1926:
	s_andn2_b64 vcc, exec, s[0:1]
	s_cbranch_vccnz .LBB31_1935
; %bb.1927:
	v_cmp_lt_i16_e64 s[6:7], s16, 6
	s_mov_b64 s[0:1], -1
	s_and_b64 vcc, exec, s[6:7]
	s_cbranch_vccnz .LBB31_1933
; %bb.1928:
	v_cmp_gt_i16_e64 s[6:7], s16, 6
	s_and_b64 vcc, exec, s[6:7]
	s_cbranch_vccz .LBB31_1930
; %bb.1929:
	v_lshlrev_b32_e32 v3, 16, v1
	v_cvt_f64_f32_e32 v[6:7], v3
	global_store_dwordx2 v[4:5], v[6:7], off
	s_mov_b64 s[0:1], 0
.LBB31_1930:
	s_andn2_b64 vcc, exec, s[0:1]
	s_cbranch_vccnz .LBB31_1932
; %bb.1931:
	v_lshlrev_b32_e32 v3, 16, v1
	global_store_dword v[4:5], v3, off
.LBB31_1932:
	s_mov_b64 s[0:1], 0
.LBB31_1933:
	s_andn2_b64 vcc, exec, s[0:1]
	s_cbranch_vccnz .LBB31_1935
; %bb.1934:
	v_lshlrev_b32_e32 v3, 16, v1
	v_cvt_f16_f32_e32 v3, v3
	global_store_short v[4:5], v3, off
.LBB31_1935:
	s_mov_b64 s[0:1], 0
.LBB31_1936:
	s_andn2_b64 vcc, exec, s[0:1]
	s_cbranch_vccnz .LBB31_1952
; %bb.1937:
	v_cmp_lt_i16_e64 s[6:7], s16, 2
	s_mov_b64 s[0:1], -1
	s_and_b64 vcc, exec, s[6:7]
	s_cbranch_vccnz .LBB31_1947
; %bb.1938:
	v_cmp_lt_i16_e64 s[6:7], s16, 3
	s_and_b64 vcc, exec, s[6:7]
	s_cbranch_vccnz .LBB31_1944
; %bb.1939:
	v_cmp_gt_i16_e64 s[6:7], s16, 3
	s_and_b64 vcc, exec, s[6:7]
	s_cbranch_vccz .LBB31_1941
; %bb.1940:
	v_lshlrev_b32_e32 v3, 16, v1
	v_trunc_f32_e32 v3, v3
	s_mov_b32 s0, 0x2f800000
	v_mul_f32_e64 v6, |v3|, s0
	v_floor_f32_e32 v6, v6
	s_mov_b32 s0, 0xcf800000
	v_cvt_u32_f32_e32 v7, v6
	v_fma_f32 v6, v6, s0, |v3|
	v_cvt_u32_f32_e32 v6, v6
	v_ashrrev_i32_e32 v3, 31, v3
	v_xor_b32_e32 v7, v7, v3
	s_mov_b64 s[0:1], 0
	v_xor_b32_e32 v6, v6, v3
	v_sub_co_u32_e32 v6, vcc, v6, v3
	v_subb_co_u32_e32 v7, vcc, v7, v3, vcc
	global_store_dwordx2 v[4:5], v[6:7], off
.LBB31_1941:
	s_andn2_b64 vcc, exec, s[0:1]
	s_cbranch_vccnz .LBB31_1943
; %bb.1942:
	v_lshlrev_b32_e32 v3, 16, v1
	v_cvt_i32_f32_e32 v3, v3
	global_store_dword v[4:5], v3, off
.LBB31_1943:
	s_mov_b64 s[0:1], 0
.LBB31_1944:
	s_andn2_b64 vcc, exec, s[0:1]
	s_cbranch_vccnz .LBB31_1946
; %bb.1945:
	v_lshlrev_b32_e32 v3, 16, v1
	v_cvt_i32_f32_e32 v3, v3
	global_store_short v[4:5], v3, off
.LBB31_1946:
	s_mov_b64 s[0:1], 0
.LBB31_1947:
	s_andn2_b64 vcc, exec, s[0:1]
	s_cbranch_vccnz .LBB31_1952
; %bb.1948:
	v_cmp_gt_i16_e64 s[6:7], s16, 0
	s_mov_b64 s[0:1], -1
	s_and_b64 vcc, exec, s[6:7]
	v_lshlrev_b32_e32 v1, 16, v1
	s_cbranch_vccz .LBB31_1950
; %bb.1949:
	v_cvt_i32_f32_e32 v3, v1
	s_mov_b64 s[0:1], 0
	global_store_byte v[4:5], v3, off
.LBB31_1950:
	s_andn2_b64 vcc, exec, s[0:1]
	s_cbranch_vccnz .LBB31_1952
; %bb.1951:
	v_trunc_f32_e32 v1, v1
	s_mov_b32 s0, 0x2f800000
	v_mul_f32_e64 v3, |v1|, s0
	v_floor_f32_e32 v3, v3
	s_mov_b32 s0, 0xcf800000
	v_fma_f32 v3, v3, s0, |v1|
	v_cvt_u32_f32_e32 v3, v3
	v_ashrrev_i32_e32 v1, 31, v1
	v_xor_b32_e32 v3, v3, v1
	v_sub_u32_e32 v1, v3, v1
	global_store_byte v[4:5], v1, off
.LBB31_1952:
	s_mov_b64 s[10:11], -1
.LBB31_1953:
	s_andn2_b64 vcc, exec, s[10:11]
	s_cbranch_vccnz .LBB31_2089
; %bb.1954:
	v_mov_b32_e32 v3, s9
	v_add_co_u32_e32 v2, vcc, s8, v2
	v_and_b32_e32 v1, 0xffff8000, v12
	v_addc_co_u32_e32 v3, vcc, 0, v3, vcc
	v_or_b32_e32 v1, v1, v9
	s_and_b64 vcc, exec, s[4:5]
	s_cbranch_vccnz .LBB31_1961
; %bb.1955:
	v_cmp_gt_i16_e64 s[0:1], s16, 25
	s_mov_b64 s[12:13], -1
	s_mov_b64 s[6:7], 0
	s_and_b64 vcc, exec, s[0:1]
	s_mov_b64 s[10:11], 0
	s_mov_b64 s[0:1], 0
	s_cbranch_vccz .LBB31_1997
; %bb.1956:
	v_cmp_gt_i16_e64 s[0:1], s16, 28
	s_and_b64 vcc, exec, s[0:1]
	s_cbranch_vccz .LBB31_1962
; %bb.1957:
	v_cmp_gt_i16_e64 s[0:1], s16, 43
	s_and_b64 vcc, exec, s[0:1]
	;; [unrolled: 4-line block ×3, first 2 shown]
	s_cbranch_vccz .LBB31_1969
; %bb.1959:
	v_cmp_eq_u16_e64 s[10:11], s16, 46
	s_mov_b64 s[0:1], -1
	s_mov_b64 s[12:13], 0
	s_and_b64 vcc, exec, s[10:11]
	s_mov_b64 s[10:11], 0
	s_cbranch_vccz .LBB31_1970
; %bb.1960:
	v_and_b32_e32 v4, 0xffff, v1
	global_store_dword v[2:3], v4, off
	s_mov_b64 s[0:1], 0
	s_mov_b64 s[10:11], -1
	s_branch .LBB31_1970
.LBB31_1961:
	s_mov_b64 s[0:1], -1
	s_mov_b64 s[10:11], 0
	s_branch .LBB31_2041
.LBB31_1962:
	s_mov_b64 s[0:1], 0
	s_branch .LBB31_1980
.LBB31_1963:
	s_or_saveexec_b64 s[14:15], s[14:15]
                                        ; implicit-def: $sgpr17
	s_xor_b64 exec, exec, s[14:15]
	s_cbranch_execz .LBB31_1864
.LBB31_1964:
	s_mov_b32 s17, 0x46000000
	v_add_f32_e64 v6, |v7|, s17
	v_and_b32_e32 v6, 0xff, v6
	v_cmp_ne_u32_e32 vcc, 0, v6
	s_andn2_b64 s[12:13], s[12:13], exec
	s_and_b64 s[18:19], vcc, exec
	s_mov_b32 s17, 0
	s_or_b64 s[12:13], s[12:13], s[18:19]
	s_or_b64 exec, exec, s[14:15]
	v_mov_b32_e32 v8, s17
	s_and_saveexec_b64 s[14:15], s[12:13]
	s_cbranch_execnz .LBB31_1865
	s_branch .LBB31_1866
.LBB31_1965:
	s_mov_b64 s[0:1], 0
	s_branch .LBB31_1976
.LBB31_1966:
	s_trap 2
	s_or_b64 s[2:3], s[2:3], exec
	s_cbranch_execz .LBB31_1912
	s_branch .LBB31_1913
.LBB31_1967:
	s_or_saveexec_b64 s[12:13], s[12:13]
                                        ; implicit-def: $sgpr14
	s_xor_b64 exec, exec, s[12:13]
	s_cbranch_execz .LBB31_1877
.LBB31_1968:
	s_mov_b32 s14, 0x42800000
	v_add_f32_e64 v6, |v7|, s14
	v_and_b32_e32 v6, 0xff, v6
	v_cmp_ne_u32_e32 vcc, 0, v6
	s_andn2_b64 s[10:11], s[10:11], exec
	s_and_b64 s[18:19], vcc, exec
	s_mov_b32 s14, 0
	s_or_b64 s[10:11], s[10:11], s[18:19]
	s_or_b64 exec, exec, s[12:13]
	v_mov_b32_e32 v8, s14
	s_and_saveexec_b64 s[12:13], s[10:11]
	s_cbranch_execnz .LBB31_1878
	s_branch .LBB31_1879
.LBB31_1969:
	s_mov_b64 s[0:1], 0
.LBB31_1970:
	s_and_b64 vcc, exec, s[12:13]
	s_cbranch_vccz .LBB31_1975
; %bb.1971:
	v_cmp_eq_u16_e64 s[12:13], s16, 44
	s_mov_b64 s[0:1], -1
	s_and_b64 vcc, exec, s[12:13]
	s_cbranch_vccz .LBB31_1975
; %bb.1972:
	v_and_b32_e32 v5, 0xffff, v1
	v_bfe_u32 v4, v5, 7, 8
	s_movk_i32 s0, 0xff
	v_cmp_ne_u32_e32 vcc, s0, v4
	v_mov_b32_e32 v6, 0xff
	s_and_saveexec_b64 s[10:11], vcc
; %bb.1973:
	v_lshlrev_b32_e32 v7, 16, v5
	s_mov_b32 s0, 0x3f0000
	v_lshrrev_b32_e32 v6, 7, v5
	v_and_b32_e32 v5, 64, v5
	v_and_or_b32 v4, v7, s0, v4
	v_cmp_ne_u32_e32 vcc, 0, v5
	v_cmp_ne_u32_e64 s[0:1], 0, v4
	s_and_b64 s[0:1], vcc, s[0:1]
	v_cndmask_b32_e64 v4, 0, 1, s[0:1]
	v_add_u32_e32 v6, v6, v4
; %bb.1974:
	s_or_b64 exec, exec, s[10:11]
	s_mov_b64 s[0:1], 0
	s_mov_b64 s[10:11], -1
	global_store_byte v[2:3], v6, off
.LBB31_1975:
	s_mov_b64 s[12:13], 0
.LBB31_1976:
	s_and_b64 vcc, exec, s[12:13]
	s_cbranch_vccz .LBB31_1979
; %bb.1977:
	v_cmp_eq_u16_e64 s[12:13], s16, 29
	s_mov_b64 s[0:1], -1
	s_and_b64 vcc, exec, s[12:13]
	s_cbranch_vccz .LBB31_1979
; %bb.1978:
	v_lshlrev_b32_e32 v4, 16, v1
	v_trunc_f32_e32 v4, v4
	v_mul_f32_e32 v5, 0x2f800000, v4
	v_floor_f32_e32 v6, v5
	v_fmac_f32_e32 v4, 0xcf800000, v6
	v_cvt_u32_f32_e32 v5, v6
	v_cvt_u32_f32_e32 v4, v4
	s_mov_b64 s[0:1], 0
	s_mov_b64 s[10:11], -1
	s_mov_b64 s[12:13], 0
	global_store_dwordx2 v[2:3], v[4:5], off
	s_branch .LBB31_1980
.LBB31_1979:
	s_mov_b64 s[12:13], 0
.LBB31_1980:
	s_and_b64 vcc, exec, s[12:13]
	s_cbranch_vccz .LBB31_1996
; %bb.1981:
	v_cmp_lt_i16_e64 s[12:13], s16, 27
	s_mov_b64 s[10:11], -1
	s_and_b64 vcc, exec, s[12:13]
	s_cbranch_vccnz .LBB31_1987
; %bb.1982:
	v_cmp_gt_i16_e64 s[12:13], s16, 27
	s_and_b64 vcc, exec, s[12:13]
	s_cbranch_vccz .LBB31_1984
; %bb.1983:
	v_lshlrev_b32_e32 v4, 16, v1
	v_cvt_u32_f32_e32 v4, v4
	s_mov_b64 s[10:11], 0
	global_store_dword v[2:3], v4, off
.LBB31_1984:
	s_andn2_b64 vcc, exec, s[10:11]
	s_cbranch_vccnz .LBB31_1986
; %bb.1985:
	v_lshlrev_b32_e32 v4, 16, v1
	v_cvt_u32_f32_e32 v4, v4
	global_store_short v[2:3], v4, off
.LBB31_1986:
	s_mov_b64 s[10:11], 0
.LBB31_1987:
	s_andn2_b64 vcc, exec, s[10:11]
	s_cbranch_vccnz .LBB31_1995
; %bb.1988:
	v_lshlrev_b32_e32 v6, 16, v1
	v_and_b32_e32 v5, 0x7fffffff, v6
	s_mov_b32 s10, 0x43800000
	v_cmp_gt_u32_e32 vcc, s10, v5
	v_mov_b32_e32 v7, 0x80
	s_and_saveexec_b64 s[10:11], vcc
	s_cbranch_execz .LBB31_1994
; %bb.1989:
	s_mov_b32 s12, 0x3bffffff
	v_and_b32_e32 v4, 0xffff, v1
	v_cmp_lt_u32_e32 vcc, s12, v5
	s_mov_b64 s[12:13], 0
                                        ; implicit-def: $vgpr5
	s_and_saveexec_b64 s[14:15], vcc
	s_xor_b64 s[14:15], exec, s[14:15]
	s_cbranch_execz .LBB31_2092
; %bb.1990:
	v_bfe_u32 v5, v4, 4, 1
	s_mov_b32 s17, 0x487ffff
	v_add3_u32 v5, v6, v5, s17
	s_mov_b64 s[12:13], exec
	v_lshrrev_b32_e32 v5, 20, v5
                                        ; implicit-def: $vgpr6
	s_or_saveexec_b64 s[14:15], s[14:15]
                                        ; implicit-def: $sgpr17
	s_xor_b64 exec, exec, s[14:15]
	s_cbranch_execnz .LBB31_2093
.LBB31_1991:
	s_or_b64 exec, exec, s[14:15]
	v_mov_b32_e32 v7, s17
	s_and_saveexec_b64 s[14:15], s[12:13]
.LBB31_1992:
	v_lshrrev_b32_e32 v4, 8, v4
	s_movk_i32 s12, 0x80
	v_and_or_b32 v7, v4, s12, v5
.LBB31_1993:
	s_or_b64 exec, exec, s[14:15]
.LBB31_1994:
	s_or_b64 exec, exec, s[10:11]
	global_store_byte v[2:3], v7, off
.LBB31_1995:
	s_mov_b64 s[10:11], -1
.LBB31_1996:
	s_mov_b64 s[12:13], 0
.LBB31_1997:
	s_and_b64 vcc, exec, s[12:13]
	s_cbranch_vccz .LBB31_2037
; %bb.1998:
	v_cmp_gt_i16_e64 s[12:13], s16, 22
	s_mov_b64 s[6:7], -1
	s_and_b64 vcc, exec, s[12:13]
	s_cbranch_vccz .LBB31_2030
; %bb.1999:
	v_cmp_lt_i16_e64 s[10:11], s16, 24
	s_and_b64 vcc, exec, s[10:11]
	s_cbranch_vccnz .LBB31_2019
; %bb.2000:
	v_cmp_gt_i16_e64 s[10:11], s16, 24
	s_and_b64 vcc, exec, s[10:11]
	s_cbranch_vccz .LBB31_2008
; %bb.2001:
	v_lshlrev_b32_e32 v6, 16, v1
	v_and_b32_e32 v5, 0x7fffffff, v6
	s_mov_b32 s6, 0x47800000
	v_cmp_gt_u32_e32 vcc, s6, v5
	v_mov_b32_e32 v7, 0x80
	s_and_saveexec_b64 s[6:7], vcc
	s_cbranch_execz .LBB31_2007
; %bb.2002:
	s_mov_b32 s10, 0x37ffffff
	v_and_b32_e32 v4, 0xffff, v1
	v_cmp_lt_u32_e32 vcc, s10, v5
	s_mov_b64 s[10:11], 0
                                        ; implicit-def: $vgpr5
	s_and_saveexec_b64 s[12:13], vcc
	s_xor_b64 s[12:13], exec, s[12:13]
	s_cbranch_execz .LBB31_2096
; %bb.2003:
	v_bfe_u32 v5, v4, 5, 1
	s_mov_b32 s14, 0x88fffff
	v_add3_u32 v5, v6, v5, s14
	s_mov_b64 s[10:11], exec
	v_lshrrev_b32_e32 v5, 21, v5
                                        ; implicit-def: $vgpr6
	s_or_saveexec_b64 s[12:13], s[12:13]
                                        ; implicit-def: $sgpr14
	s_xor_b64 exec, exec, s[12:13]
	s_cbranch_execnz .LBB31_2097
.LBB31_2004:
	s_or_b64 exec, exec, s[12:13]
	v_mov_b32_e32 v7, s14
	s_and_saveexec_b64 s[12:13], s[10:11]
.LBB31_2005:
	v_lshrrev_b32_e32 v4, 8, v4
	s_movk_i32 s10, 0x80
	v_and_or_b32 v7, v4, s10, v5
.LBB31_2006:
	s_or_b64 exec, exec, s[12:13]
.LBB31_2007:
	s_or_b64 exec, exec, s[6:7]
	s_mov_b64 s[6:7], 0
	global_store_byte v[2:3], v7, off
.LBB31_2008:
	s_and_b64 vcc, exec, s[6:7]
	s_cbranch_vccz .LBB31_2018
; %bb.2009:
	v_lshlrev_b32_e32 v6, 16, v1
	v_and_b32_e32 v7, 0x7fffffff, v6
	s_mov_b32 s6, 0x43f00000
	v_and_b32_e32 v4, 0xffff, v1
	v_cmp_gt_u32_e32 vcc, s6, v7
                                        ; implicit-def: $vgpr5
	s_and_saveexec_b64 s[6:7], vcc
	s_xor_b64 s[6:7], exec, s[6:7]
	s_cbranch_execz .LBB31_2015
; %bb.2010:
	s_mov_b32 s10, 0x3c7fffff
	v_cmp_lt_u32_e32 vcc, s10, v7
                                        ; implicit-def: $vgpr5
	s_and_saveexec_b64 s[10:11], vcc
	s_xor_b64 s[10:11], exec, s[10:11]
; %bb.2011:
	v_bfe_u32 v5, v4, 4, 1
	s_mov_b32 s12, 0x407ffff
	v_add3_u32 v5, v6, v5, s12
	v_lshrrev_b32_e32 v6, 20, v5
	v_and_b32_e32 v5, 0xff00000, v5
	s_mov_b32 s12, 0x7f00000
	v_mov_b32_e32 v7, 0x7e
	v_cmp_ne_u32_e32 vcc, s12, v5
	v_cndmask_b32_e32 v5, v7, v6, vcc
                                        ; implicit-def: $vgpr6
; %bb.2012:
	s_andn2_saveexec_b64 s[10:11], s[10:11]
; %bb.2013:
	s_mov_b32 s12, 0x46800000
	v_add_f32_e64 v5, |v6|, s12
; %bb.2014:
	s_or_b64 exec, exec, s[10:11]
                                        ; implicit-def: $vgpr7
.LBB31_2015:
	s_andn2_saveexec_b64 s[6:7], s[6:7]
; %bb.2016:
	s_mov_b32 s10, 0x7f800000
	v_mov_b32_e32 v5, 0x7e
	v_mov_b32_e32 v6, 0x7f
	v_cmp_lt_u32_e32 vcc, s10, v7
	v_cndmask_b32_e32 v5, v5, v6, vcc
; %bb.2017:
	s_or_b64 exec, exec, s[6:7]
	v_lshrrev_b32_e32 v4, 8, v4
	s_movk_i32 s6, 0x80
	v_and_or_b32 v4, v4, s6, v5
	global_store_byte v[2:3], v4, off
.LBB31_2018:
	s_mov_b64 s[6:7], 0
.LBB31_2019:
	s_andn2_b64 vcc, exec, s[6:7]
	s_cbranch_vccnz .LBB31_2029
; %bb.2020:
	v_lshlrev_b32_e32 v6, 16, v1
	v_and_b32_e32 v7, 0x7fffffff, v6
	s_mov_b32 s6, 0x47800000
	v_and_b32_e32 v4, 0xffff, v1
	v_cmp_gt_u32_e32 vcc, s6, v7
                                        ; implicit-def: $vgpr5
	s_and_saveexec_b64 s[6:7], vcc
	s_xor_b64 s[6:7], exec, s[6:7]
	s_cbranch_execz .LBB31_2026
; %bb.2021:
	s_mov_b32 s10, 0x387fffff
	v_cmp_lt_u32_e32 vcc, s10, v7
                                        ; implicit-def: $vgpr5
	s_and_saveexec_b64 s[10:11], vcc
	s_xor_b64 s[10:11], exec, s[10:11]
; %bb.2022:
	v_bfe_u32 v5, v4, 5, 1
	s_mov_b32 s12, 0x80fffff
	v_add3_u32 v5, v6, v5, s12
	v_lshrrev_b32_e32 v5, 21, v5
                                        ; implicit-def: $vgpr6
; %bb.2023:
	s_andn2_saveexec_b64 s[10:11], s[10:11]
; %bb.2024:
	s_mov_b32 s12, 0x43000000
	v_add_f32_e64 v5, |v6|, s12
; %bb.2025:
	s_or_b64 exec, exec, s[10:11]
                                        ; implicit-def: $vgpr7
.LBB31_2026:
	s_andn2_saveexec_b64 s[6:7], s[6:7]
; %bb.2027:
	s_mov_b32 s10, 0x7f800000
	v_mov_b32_e32 v5, 0x7c
	v_mov_b32_e32 v6, 0x7f
	v_cmp_lt_u32_e32 vcc, s10, v7
	v_cndmask_b32_e32 v5, v5, v6, vcc
; %bb.2028:
	s_or_b64 exec, exec, s[6:7]
	v_lshrrev_b32_e32 v4, 8, v4
	s_movk_i32 s6, 0x80
	v_and_or_b32 v4, v4, s6, v5
	global_store_byte v[2:3], v4, off
.LBB31_2029:
	s_mov_b64 s[6:7], 0
	s_mov_b64 s[10:11], -1
.LBB31_2030:
	s_andn2_b64 vcc, exec, s[6:7]
	s_mov_b64 s[6:7], 0
	s_cbranch_vccnz .LBB31_2037
; %bb.2031:
	v_cmp_gt_i16_e64 s[6:7], s16, 14
	s_mov_b64 s[12:13], -1
	s_and_b64 vcc, exec, s[6:7]
	s_cbranch_vccz .LBB31_2035
; %bb.2032:
	v_cmp_eq_u16_e64 s[6:7], s16, 15
	s_mov_b64 s[0:1], -1
	s_and_b64 vcc, exec, s[6:7]
	s_cbranch_vccz .LBB31_2034
; %bb.2033:
	global_store_short v[2:3], v1, off
	s_mov_b64 s[0:1], 0
	s_mov_b64 s[10:11], -1
.LBB31_2034:
	s_mov_b64 s[12:13], 0
.LBB31_2035:
	s_mov_b64 s[6:7], 0
	s_and_b64 vcc, exec, s[12:13]
	s_cbranch_vccz .LBB31_2037
; %bb.2036:
	v_cmp_ne_u16_e64 s[0:1], s16, 11
	s_mov_b64 s[6:7], -1
.LBB31_2037:
	s_and_b64 vcc, exec, s[0:1]
	s_cbranch_vccnz .LBB31_2095
; %bb.2038:
	s_andn2_b64 vcc, exec, s[6:7]
	s_cbranch_vccnz .LBB31_2040
.LBB31_2039:
	v_cmp_ne_u16_e32 vcc, 0, v9
	v_cndmask_b32_e64 v4, 0, 1, vcc
	s_mov_b64 s[10:11], -1
	global_store_byte v[2:3], v4, off
.LBB31_2040:
	s_mov_b64 s[0:1], 0
.LBB31_2041:
	s_and_b64 vcc, exec, s[0:1]
	s_cbranch_vccz .LBB31_2080
; %bb.2042:
	v_cmp_lt_i16_e64 s[6:7], s16, 5
	s_mov_b64 s[0:1], -1
	s_and_b64 vcc, exec, s[6:7]
	s_cbranch_vccnz .LBB31_2063
; %bb.2043:
	v_cmp_lt_i16_e64 s[6:7], s16, 8
	s_and_b64 vcc, exec, s[6:7]
	s_cbranch_vccnz .LBB31_2053
; %bb.2044:
	v_cmp_lt_i16_e64 s[6:7], s16, 9
	s_and_b64 vcc, exec, s[6:7]
	s_cbranch_vccnz .LBB31_2050
; %bb.2045:
	v_cmp_gt_i16_e64 s[6:7], s16, 9
	s_and_b64 vcc, exec, s[6:7]
	s_cbranch_vccz .LBB31_2047
; %bb.2046:
	v_lshlrev_b32_e32 v4, 16, v1
	v_mov_b32_e32 v6, 0
	v_cvt_f64_f32_e32 v[4:5], v4
	v_mov_b32_e32 v7, v6
	global_store_dwordx4 v[2:3], v[4:7], off
	s_mov_b64 s[0:1], 0
.LBB31_2047:
	s_andn2_b64 vcc, exec, s[0:1]
	s_cbranch_vccnz .LBB31_2049
; %bb.2048:
	v_lshlrev_b32_e32 v4, 16, v1
	v_mov_b32_e32 v5, 0
	global_store_dwordx2 v[2:3], v[4:5], off
.LBB31_2049:
	s_mov_b64 s[0:1], 0
.LBB31_2050:
	s_andn2_b64 vcc, exec, s[0:1]
	s_cbranch_vccnz .LBB31_2052
; %bb.2051:
	v_lshlrev_b32_e32 v4, 16, v1
	v_cvt_f16_f32_e32 v4, v4
	global_store_dword v[2:3], v4, off
.LBB31_2052:
	s_mov_b64 s[0:1], 0
.LBB31_2053:
	s_andn2_b64 vcc, exec, s[0:1]
	s_cbranch_vccnz .LBB31_2062
; %bb.2054:
	v_cmp_lt_i16_e64 s[6:7], s16, 6
	s_mov_b64 s[0:1], -1
	s_and_b64 vcc, exec, s[6:7]
	s_cbranch_vccnz .LBB31_2060
; %bb.2055:
	v_cmp_gt_i16_e64 s[6:7], s16, 6
	s_and_b64 vcc, exec, s[6:7]
	s_cbranch_vccz .LBB31_2057
; %bb.2056:
	v_lshlrev_b32_e32 v4, 16, v1
	v_cvt_f64_f32_e32 v[4:5], v4
	global_store_dwordx2 v[2:3], v[4:5], off
	s_mov_b64 s[0:1], 0
.LBB31_2057:
	s_andn2_b64 vcc, exec, s[0:1]
	s_cbranch_vccnz .LBB31_2059
; %bb.2058:
	v_lshlrev_b32_e32 v4, 16, v1
	global_store_dword v[2:3], v4, off
.LBB31_2059:
	s_mov_b64 s[0:1], 0
.LBB31_2060:
	s_andn2_b64 vcc, exec, s[0:1]
	s_cbranch_vccnz .LBB31_2062
; %bb.2061:
	v_lshlrev_b32_e32 v4, 16, v1
	v_cvt_f16_f32_e32 v4, v4
	global_store_short v[2:3], v4, off
.LBB31_2062:
	s_mov_b64 s[0:1], 0
.LBB31_2063:
	s_andn2_b64 vcc, exec, s[0:1]
	s_cbranch_vccnz .LBB31_2079
; %bb.2064:
	v_cmp_lt_i16_e64 s[6:7], s16, 2
	s_mov_b64 s[0:1], -1
	s_and_b64 vcc, exec, s[6:7]
	s_cbranch_vccnz .LBB31_2074
; %bb.2065:
	v_cmp_lt_i16_e64 s[6:7], s16, 3
	s_and_b64 vcc, exec, s[6:7]
	s_cbranch_vccnz .LBB31_2071
; %bb.2066:
	v_cmp_gt_i16_e64 s[6:7], s16, 3
	s_and_b64 vcc, exec, s[6:7]
	s_cbranch_vccz .LBB31_2068
; %bb.2067:
	v_lshlrev_b32_e32 v4, 16, v1
	v_trunc_f32_e32 v4, v4
	s_mov_b32 s0, 0x2f800000
	v_mul_f32_e64 v5, |v4|, s0
	v_floor_f32_e32 v5, v5
	s_mov_b32 s0, 0xcf800000
	v_cvt_u32_f32_e32 v6, v5
	v_fma_f32 v5, v5, s0, |v4|
	v_cvt_u32_f32_e32 v5, v5
	v_ashrrev_i32_e32 v7, 31, v4
	v_xor_b32_e32 v6, v6, v7
	s_mov_b64 s[0:1], 0
	v_xor_b32_e32 v4, v5, v7
	v_sub_co_u32_e32 v4, vcc, v4, v7
	v_subb_co_u32_e32 v5, vcc, v6, v7, vcc
	global_store_dwordx2 v[2:3], v[4:5], off
.LBB31_2068:
	s_andn2_b64 vcc, exec, s[0:1]
	s_cbranch_vccnz .LBB31_2070
; %bb.2069:
	v_lshlrev_b32_e32 v4, 16, v1
	v_cvt_i32_f32_e32 v4, v4
	global_store_dword v[2:3], v4, off
.LBB31_2070:
	s_mov_b64 s[0:1], 0
.LBB31_2071:
	s_andn2_b64 vcc, exec, s[0:1]
	s_cbranch_vccnz .LBB31_2073
; %bb.2072:
	v_lshlrev_b32_e32 v4, 16, v1
	v_cvt_i32_f32_e32 v4, v4
	global_store_short v[2:3], v4, off
.LBB31_2073:
	s_mov_b64 s[0:1], 0
.LBB31_2074:
	s_andn2_b64 vcc, exec, s[0:1]
	s_cbranch_vccnz .LBB31_2079
; %bb.2075:
	v_cmp_gt_i16_e64 s[6:7], s16, 0
	s_mov_b64 s[0:1], -1
	s_and_b64 vcc, exec, s[6:7]
	s_cbranch_vccz .LBB31_2077
; %bb.2076:
	v_lshlrev_b32_e32 v4, 16, v1
	v_cvt_i32_f32_e32 v4, v4
	s_mov_b64 s[0:1], 0
	global_store_byte v[2:3], v4, off
.LBB31_2077:
	s_andn2_b64 vcc, exec, s[0:1]
	s_cbranch_vccnz .LBB31_2079
; %bb.2078:
	v_lshlrev_b32_e32 v1, 16, v1
	v_trunc_f32_e32 v1, v1
	s_mov_b32 s0, 0x2f800000
	v_mul_f32_e64 v4, |v1|, s0
	v_floor_f32_e32 v4, v4
	s_mov_b32 s0, 0xcf800000
	v_fma_f32 v4, v4, s0, |v1|
	v_cvt_u32_f32_e32 v4, v4
	v_ashrrev_i32_e32 v1, 31, v1
	v_xor_b32_e32 v4, v4, v1
	v_sub_u32_e32 v1, v4, v1
	global_store_byte v[2:3], v1, off
.LBB31_2079:
	s_mov_b64 s[10:11], -1
.LBB31_2080:
	s_andn2_b64 vcc, exec, s[10:11]
	s_cbranch_vccnz .LBB31_2089
; %bb.2081:
	v_and_b32_e32 v1, 0xffff8000, v10
	v_or_b32_e32 v2, v1, v9
	v_mov_b32_e32 v1, s9
	v_add_co_u32_e32 v0, vcc, s8, v0
	v_addc_co_u32_e32 v1, vcc, 0, v1, vcc
	s_and_b64 vcc, exec, s[4:5]
	s_cbranch_vccnz .LBB31_2090
; %bb.2082:
	v_cmp_gt_i16_e64 s[0:1], s16, 25
	s_mov_b64 s[6:7], -1
	s_mov_b64 s[4:5], 0
	s_and_b64 vcc, exec, s[0:1]
	s_mov_b64 s[0:1], 0
	s_cbranch_vccz .LBB31_2125
; %bb.2083:
	v_cmp_gt_i16_e64 s[0:1], s16, 28
	s_and_b64 vcc, exec, s[0:1]
	s_cbranch_vccz .LBB31_2091
; %bb.2084:
	v_cmp_gt_i16_e64 s[0:1], s16, 43
	s_and_b64 vcc, exec, s[0:1]
	;; [unrolled: 4-line block ×3, first 2 shown]
	s_cbranch_vccz .LBB31_2098
; %bb.2086:
	v_cmp_eq_u16_e64 s[6:7], s16, 46
	s_mov_b64 s[0:1], -1
	s_and_b64 vcc, exec, s[6:7]
	s_cbranch_vccz .LBB31_2088
; %bb.2087:
	v_and_b32_e32 v3, 0xffff, v2
	global_store_dword v[0:1], v3, off
	s_mov_b64 s[0:1], 0
.LBB31_2088:
	s_mov_b64 s[6:7], 0
	s_branch .LBB31_2099
.LBB31_2089:
	s_mov_b64 s[0:1], 0
                                        ; implicit-def: $vgpr0_vgpr1
                                        ; implicit-def: $sgpr16
                                        ; implicit-def: $vgpr2
	s_branch .LBB31_1666
.LBB31_2090:
	s_mov_b64 s[4:5], 0
	s_mov_b64 s[0:1], -1
	s_branch .LBB31_1667
.LBB31_2091:
	s_mov_b64 s[0:1], 0
	s_branch .LBB31_2109
.LBB31_2092:
	s_or_saveexec_b64 s[14:15], s[14:15]
                                        ; implicit-def: $sgpr17
	s_xor_b64 exec, exec, s[14:15]
	s_cbranch_execz .LBB31_1991
.LBB31_2093:
	s_mov_b32 s17, 0x46000000
	v_add_f32_e64 v5, |v6|, s17
	v_and_b32_e32 v5, 0xff, v5
	v_cmp_ne_u32_e32 vcc, 0, v5
	s_andn2_b64 s[12:13], s[12:13], exec
	s_and_b64 s[18:19], vcc, exec
	s_mov_b32 s17, 0
	s_or_b64 s[12:13], s[12:13], s[18:19]
	s_or_b64 exec, exec, s[14:15]
	v_mov_b32_e32 v7, s17
	s_and_saveexec_b64 s[14:15], s[12:13]
	s_cbranch_execnz .LBB31_1992
	s_branch .LBB31_1993
.LBB31_2094:
	s_mov_b64 s[0:1], 0
	s_branch .LBB31_2105
.LBB31_2095:
	s_trap 2
	s_or_b64 s[2:3], s[2:3], exec
	s_cbranch_execz .LBB31_2039
	s_branch .LBB31_2040
.LBB31_2096:
	s_or_saveexec_b64 s[12:13], s[12:13]
                                        ; implicit-def: $sgpr14
	s_xor_b64 exec, exec, s[12:13]
	s_cbranch_execz .LBB31_2004
.LBB31_2097:
	s_mov_b32 s14, 0x42800000
	v_add_f32_e64 v5, |v6|, s14
	v_and_b32_e32 v5, 0xff, v5
	v_cmp_ne_u32_e32 vcc, 0, v5
	s_andn2_b64 s[10:11], s[10:11], exec
	s_and_b64 s[18:19], vcc, exec
	s_mov_b32 s14, 0
	s_or_b64 s[10:11], s[10:11], s[18:19]
	s_or_b64 exec, exec, s[12:13]
	v_mov_b32_e32 v7, s14
	s_and_saveexec_b64 s[12:13], s[10:11]
	s_cbranch_execnz .LBB31_2005
	s_branch .LBB31_2006
.LBB31_2098:
	s_mov_b64 s[0:1], 0
.LBB31_2099:
	s_and_b64 vcc, exec, s[6:7]
	s_cbranch_vccz .LBB31_2104
; %bb.2100:
	v_cmp_eq_u16_e64 s[6:7], s16, 44
	s_mov_b64 s[0:1], -1
	s_and_b64 vcc, exec, s[6:7]
	s_cbranch_vccz .LBB31_2104
; %bb.2101:
	v_and_b32_e32 v4, 0xffff, v2
	v_bfe_u32 v3, v4, 7, 8
	s_movk_i32 s0, 0xff
	v_cmp_ne_u32_e32 vcc, s0, v3
	v_mov_b32_e32 v5, 0xff
	s_and_saveexec_b64 s[6:7], vcc
; %bb.2102:
	v_lshlrev_b32_e32 v6, 16, v4
	s_mov_b32 s0, 0x3f0000
	v_lshrrev_b32_e32 v5, 7, v4
	v_and_b32_e32 v4, 64, v4
	v_and_or_b32 v3, v6, s0, v3
	v_cmp_ne_u32_e32 vcc, 0, v4
	v_cmp_ne_u32_e64 s[0:1], 0, v3
	s_and_b64 s[0:1], vcc, s[0:1]
	v_cndmask_b32_e64 v3, 0, 1, s[0:1]
	v_add_u32_e32 v5, v5, v3
; %bb.2103:
	s_or_b64 exec, exec, s[6:7]
	s_mov_b64 s[0:1], 0
	global_store_byte v[0:1], v5, off
.LBB31_2104:
	s_mov_b64 s[6:7], 0
.LBB31_2105:
	s_and_b64 vcc, exec, s[6:7]
	s_cbranch_vccz .LBB31_2108
; %bb.2106:
	v_cmp_eq_u16_e64 s[6:7], s16, 29
	s_mov_b64 s[0:1], -1
	s_and_b64 vcc, exec, s[6:7]
	s_cbranch_vccz .LBB31_2108
; %bb.2107:
	v_lshlrev_b32_e32 v3, 16, v2
	v_trunc_f32_e32 v3, v3
	v_mul_f32_e32 v4, 0x2f800000, v3
	v_floor_f32_e32 v4, v4
	v_fmac_f32_e32 v3, 0xcf800000, v4
	v_cvt_u32_f32_e32 v5, v4
	v_cvt_u32_f32_e32 v4, v3
	s_mov_b64 s[0:1], 0
	global_store_dwordx2 v[0:1], v[4:5], off
.LBB31_2108:
	s_mov_b64 s[6:7], 0
.LBB31_2109:
	s_and_b64 vcc, exec, s[6:7]
	s_cbranch_vccz .LBB31_2124
; %bb.2110:
	v_cmp_lt_i16_e64 s[8:9], s16, 27
	s_mov_b64 s[6:7], -1
	s_and_b64 vcc, exec, s[8:9]
	s_cbranch_vccnz .LBB31_2116
; %bb.2111:
	v_cmp_gt_i16_e64 s[8:9], s16, 27
	s_and_b64 vcc, exec, s[8:9]
	s_cbranch_vccz .LBB31_2113
; %bb.2112:
	v_lshlrev_b32_e32 v3, 16, v2
	v_cvt_u32_f32_e32 v3, v3
	s_mov_b64 s[6:7], 0
	global_store_dword v[0:1], v3, off
.LBB31_2113:
	s_andn2_b64 vcc, exec, s[6:7]
	s_cbranch_vccnz .LBB31_2115
; %bb.2114:
	v_lshlrev_b32_e32 v3, 16, v2
	v_cvt_u32_f32_e32 v3, v3
	global_store_short v[0:1], v3, off
.LBB31_2115:
	s_mov_b64 s[6:7], 0
.LBB31_2116:
	s_andn2_b64 vcc, exec, s[6:7]
	s_cbranch_vccnz .LBB31_2124
; %bb.2117:
	v_lshlrev_b32_e32 v5, 16, v2
	v_and_b32_e32 v4, 0x7fffffff, v5
	s_mov_b32 s6, 0x43800000
	v_cmp_gt_u32_e32 vcc, s6, v4
	v_mov_b32_e32 v6, 0x80
	s_and_saveexec_b64 s[6:7], vcc
	s_cbranch_execz .LBB31_2123
; %bb.2118:
	s_mov_b32 s8, 0x3bffffff
	v_and_b32_e32 v3, 0xffff, v2
	v_cmp_lt_u32_e32 vcc, s8, v4
	s_mov_b64 s[8:9], 0
                                        ; implicit-def: $vgpr4
	s_and_saveexec_b64 s[10:11], vcc
	s_xor_b64 s[10:11], exec, s[10:11]
	s_cbranch_execz .LBB31_2167
; %bb.2119:
	v_bfe_u32 v4, v3, 4, 1
	s_mov_b32 s12, 0x487ffff
	v_add3_u32 v4, v5, v4, s12
	s_mov_b64 s[8:9], exec
	v_lshrrev_b32_e32 v4, 20, v4
                                        ; implicit-def: $vgpr5
	s_or_saveexec_b64 s[10:11], s[10:11]
                                        ; implicit-def: $sgpr12
	s_xor_b64 exec, exec, s[10:11]
	s_cbranch_execnz .LBB31_2168
.LBB31_2120:
	s_or_b64 exec, exec, s[10:11]
	v_mov_b32_e32 v6, s12
	s_and_saveexec_b64 s[10:11], s[8:9]
.LBB31_2121:
	v_lshrrev_b32_e32 v3, 8, v3
	s_movk_i32 s8, 0x80
	v_and_or_b32 v6, v3, s8, v4
.LBB31_2122:
	s_or_b64 exec, exec, s[10:11]
.LBB31_2123:
	s_or_b64 exec, exec, s[6:7]
	global_store_byte v[0:1], v6, off
.LBB31_2124:
	s_mov_b64 s[6:7], 0
.LBB31_2125:
	s_and_b64 vcc, exec, s[6:7]
	s_cbranch_vccz .LBB31_2165
; %bb.2126:
	v_cmp_gt_i16_e64 s[6:7], s16, 22
	s_mov_b64 s[4:5], -1
	s_and_b64 vcc, exec, s[6:7]
	s_cbranch_vccz .LBB31_2158
; %bb.2127:
	v_cmp_lt_i16_e64 s[6:7], s16, 24
	s_and_b64 vcc, exec, s[6:7]
	s_cbranch_vccnz .LBB31_2147
; %bb.2128:
	v_cmp_gt_i16_e64 s[6:7], s16, 24
	s_and_b64 vcc, exec, s[6:7]
	s_cbranch_vccz .LBB31_2136
; %bb.2129:
	v_lshlrev_b32_e32 v5, 16, v2
	v_and_b32_e32 v4, 0x7fffffff, v5
	s_mov_b32 s4, 0x47800000
	v_cmp_gt_u32_e32 vcc, s4, v4
	v_mov_b32_e32 v6, 0x80
	s_and_saveexec_b64 s[4:5], vcc
	s_cbranch_execz .LBB31_2135
; %bb.2130:
	s_mov_b32 s6, 0x37ffffff
	v_and_b32_e32 v3, 0xffff, v2
	v_cmp_lt_u32_e32 vcc, s6, v4
	s_mov_b64 s[6:7], 0
                                        ; implicit-def: $vgpr4
	s_and_saveexec_b64 s[8:9], vcc
	s_xor_b64 s[8:9], exec, s[8:9]
	s_cbranch_execz .LBB31_2170
; %bb.2131:
	v_bfe_u32 v4, v3, 5, 1
	s_mov_b32 s10, 0x88fffff
	v_add3_u32 v4, v5, v4, s10
	s_mov_b64 s[6:7], exec
	v_lshrrev_b32_e32 v4, 21, v4
                                        ; implicit-def: $vgpr5
	s_or_saveexec_b64 s[8:9], s[8:9]
                                        ; implicit-def: $sgpr10
	s_xor_b64 exec, exec, s[8:9]
	s_cbranch_execnz .LBB31_2171
.LBB31_2132:
	s_or_b64 exec, exec, s[8:9]
	v_mov_b32_e32 v6, s10
	s_and_saveexec_b64 s[8:9], s[6:7]
.LBB31_2133:
	v_lshrrev_b32_e32 v3, 8, v3
	s_movk_i32 s6, 0x80
	v_and_or_b32 v6, v3, s6, v4
.LBB31_2134:
	s_or_b64 exec, exec, s[8:9]
.LBB31_2135:
	s_or_b64 exec, exec, s[4:5]
	s_mov_b64 s[4:5], 0
	global_store_byte v[0:1], v6, off
.LBB31_2136:
	s_and_b64 vcc, exec, s[4:5]
	s_cbranch_vccz .LBB31_2146
; %bb.2137:
	v_lshlrev_b32_e32 v5, 16, v2
	v_and_b32_e32 v6, 0x7fffffff, v5
	s_mov_b32 s4, 0x43f00000
	v_and_b32_e32 v3, 0xffff, v2
	v_cmp_gt_u32_e32 vcc, s4, v6
                                        ; implicit-def: $vgpr4
	s_and_saveexec_b64 s[4:5], vcc
	s_xor_b64 s[4:5], exec, s[4:5]
	s_cbranch_execz .LBB31_2143
; %bb.2138:
	s_mov_b32 s6, 0x3c7fffff
	v_cmp_lt_u32_e32 vcc, s6, v6
                                        ; implicit-def: $vgpr4
	s_and_saveexec_b64 s[6:7], vcc
	s_xor_b64 s[6:7], exec, s[6:7]
; %bb.2139:
	v_bfe_u32 v4, v3, 4, 1
	s_mov_b32 s8, 0x407ffff
	v_add3_u32 v4, v5, v4, s8
	v_lshrrev_b32_e32 v5, 20, v4
	v_and_b32_e32 v4, 0xff00000, v4
	s_mov_b32 s8, 0x7f00000
	v_mov_b32_e32 v6, 0x7e
	v_cmp_ne_u32_e32 vcc, s8, v4
	v_cndmask_b32_e32 v4, v6, v5, vcc
                                        ; implicit-def: $vgpr5
; %bb.2140:
	s_andn2_saveexec_b64 s[6:7], s[6:7]
; %bb.2141:
	s_mov_b32 s8, 0x46800000
	v_add_f32_e64 v4, |v5|, s8
; %bb.2142:
	s_or_b64 exec, exec, s[6:7]
                                        ; implicit-def: $vgpr6
.LBB31_2143:
	s_andn2_saveexec_b64 s[4:5], s[4:5]
; %bb.2144:
	s_mov_b32 s6, 0x7f800000
	v_mov_b32_e32 v4, 0x7e
	v_mov_b32_e32 v5, 0x7f
	v_cmp_lt_u32_e32 vcc, s6, v6
	v_cndmask_b32_e32 v4, v4, v5, vcc
; %bb.2145:
	s_or_b64 exec, exec, s[4:5]
	v_lshrrev_b32_e32 v3, 8, v3
	s_movk_i32 s4, 0x80
	v_and_or_b32 v3, v3, s4, v4
	global_store_byte v[0:1], v3, off
.LBB31_2146:
	s_mov_b64 s[4:5], 0
.LBB31_2147:
	s_andn2_b64 vcc, exec, s[4:5]
	s_cbranch_vccnz .LBB31_2157
; %bb.2148:
	v_lshlrev_b32_e32 v5, 16, v2
	v_and_b32_e32 v6, 0x7fffffff, v5
	s_mov_b32 s4, 0x47800000
	v_and_b32_e32 v3, 0xffff, v2
	v_cmp_gt_u32_e32 vcc, s4, v6
                                        ; implicit-def: $vgpr4
	s_and_saveexec_b64 s[4:5], vcc
	s_xor_b64 s[4:5], exec, s[4:5]
	s_cbranch_execz .LBB31_2154
; %bb.2149:
	s_mov_b32 s6, 0x387fffff
	v_cmp_lt_u32_e32 vcc, s6, v6
                                        ; implicit-def: $vgpr4
	s_and_saveexec_b64 s[6:7], vcc
	s_xor_b64 s[6:7], exec, s[6:7]
; %bb.2150:
	v_bfe_u32 v4, v3, 5, 1
	s_mov_b32 s8, 0x80fffff
	v_add3_u32 v4, v5, v4, s8
	v_lshrrev_b32_e32 v4, 21, v4
                                        ; implicit-def: $vgpr5
; %bb.2151:
	s_andn2_saveexec_b64 s[6:7], s[6:7]
; %bb.2152:
	s_mov_b32 s8, 0x43000000
	v_add_f32_e64 v4, |v5|, s8
; %bb.2153:
	s_or_b64 exec, exec, s[6:7]
                                        ; implicit-def: $vgpr6
.LBB31_2154:
	s_andn2_saveexec_b64 s[4:5], s[4:5]
; %bb.2155:
	s_mov_b32 s6, 0x7f800000
	v_mov_b32_e32 v4, 0x7c
	v_mov_b32_e32 v5, 0x7f
	v_cmp_lt_u32_e32 vcc, s6, v6
	v_cndmask_b32_e32 v4, v4, v5, vcc
; %bb.2156:
	s_or_b64 exec, exec, s[4:5]
	v_lshrrev_b32_e32 v3, 8, v3
	s_movk_i32 s4, 0x80
	v_and_or_b32 v3, v3, s4, v4
	global_store_byte v[0:1], v3, off
.LBB31_2157:
	s_mov_b64 s[4:5], 0
.LBB31_2158:
	s_andn2_b64 vcc, exec, s[4:5]
	s_mov_b64 s[4:5], 0
	s_cbranch_vccnz .LBB31_2165
; %bb.2159:
	v_cmp_gt_i16_e64 s[4:5], s16, 14
	s_mov_b64 s[6:7], -1
	s_and_b64 vcc, exec, s[4:5]
	s_cbranch_vccz .LBB31_2163
; %bb.2160:
	v_cmp_eq_u16_e64 s[4:5], s16, 15
	s_mov_b64 s[0:1], -1
	s_and_b64 vcc, exec, s[4:5]
	s_cbranch_vccz .LBB31_2162
; %bb.2161:
	global_store_short v[0:1], v2, off
	s_mov_b64 s[0:1], 0
.LBB31_2162:
	s_mov_b64 s[6:7], 0
.LBB31_2163:
	s_mov_b64 s[4:5], 0
	s_and_b64 vcc, exec, s[6:7]
	s_cbranch_vccz .LBB31_2165
; %bb.2164:
	v_cmp_ne_u16_e64 s[0:1], s16, 11
	s_mov_b64 s[4:5], -1
.LBB31_2165:
	s_and_b64 vcc, exec, s[0:1]
	s_cbranch_vccnz .LBB31_2169
.LBB31_2166:
	s_mov_b64 s[0:1], 0
	s_branch .LBB31_1667
.LBB31_2167:
	s_or_saveexec_b64 s[10:11], s[10:11]
                                        ; implicit-def: $sgpr12
	s_xor_b64 exec, exec, s[10:11]
	s_cbranch_execz .LBB31_2120
.LBB31_2168:
	s_mov_b32 s12, 0x46000000
	v_add_f32_e64 v4, |v5|, s12
	v_and_b32_e32 v4, 0xff, v4
	v_cmp_ne_u32_e32 vcc, 0, v4
	s_andn2_b64 s[8:9], s[8:9], exec
	s_and_b64 s[14:15], vcc, exec
	s_mov_b32 s12, 0
	s_or_b64 s[8:9], s[8:9], s[14:15]
	s_or_b64 exec, exec, s[10:11]
	v_mov_b32_e32 v6, s12
	s_and_saveexec_b64 s[10:11], s[8:9]
	s_cbranch_execnz .LBB31_2121
	s_branch .LBB31_2122
.LBB31_2169:
	s_mov_b64 s[4:5], 0
	s_or_b64 s[2:3], s[2:3], exec
	s_trap 2
	s_branch .LBB31_2166
.LBB31_2170:
	s_or_saveexec_b64 s[8:9], s[8:9]
                                        ; implicit-def: $sgpr10
	s_xor_b64 exec, exec, s[8:9]
	s_cbranch_execz .LBB31_2132
.LBB31_2171:
	s_mov_b32 s10, 0x42800000
	v_add_f32_e64 v4, |v5|, s10
	v_and_b32_e32 v4, 0xff, v4
	v_cmp_ne_u32_e32 vcc, 0, v4
	s_andn2_b64 s[6:7], s[6:7], exec
	s_and_b64 s[12:13], vcc, exec
	s_mov_b32 s10, 0
	s_or_b64 s[6:7], s[6:7], s[12:13]
	s_or_b64 exec, exec, s[8:9]
	v_mov_b32_e32 v6, s10
	s_and_saveexec_b64 s[8:9], s[6:7]
	s_cbranch_execnz .LBB31_2133
	s_branch .LBB31_2134
	.section	.rodata,"a",@progbits
	.p2align	6, 0x0
	.amdhsa_kernel _ZN2at6native32elementwise_kernel_manual_unrollILi128ELi4EZNS0_15gpu_kernel_implINS0_13AUnaryFunctorIN3c108BFloat16ES5_S5_ZNS0_20copysign_kernel_cudaERNS_18TensorIteratorBaseEEUlS5_S5_E_EEEEvS7_RKT_EUlibE0_EEviT1_
		.amdhsa_group_segment_fixed_size 0
		.amdhsa_private_segment_fixed_size 0
		.amdhsa_kernarg_size 360
		.amdhsa_user_sgpr_count 6
		.amdhsa_user_sgpr_private_segment_buffer 1
		.amdhsa_user_sgpr_dispatch_ptr 0
		.amdhsa_user_sgpr_queue_ptr 0
		.amdhsa_user_sgpr_kernarg_segment_ptr 1
		.amdhsa_user_sgpr_dispatch_id 0
		.amdhsa_user_sgpr_flat_scratch_init 0
		.amdhsa_user_sgpr_kernarg_preload_length 0
		.amdhsa_user_sgpr_kernarg_preload_offset 0
		.amdhsa_user_sgpr_private_segment_size 0
		.amdhsa_uses_dynamic_stack 0
		.amdhsa_system_sgpr_private_segment_wavefront_offset 0
		.amdhsa_system_sgpr_workgroup_id_x 1
		.amdhsa_system_sgpr_workgroup_id_y 0
		.amdhsa_system_sgpr_workgroup_id_z 0
		.amdhsa_system_sgpr_workgroup_info 0
		.amdhsa_system_vgpr_workitem_id 0
		.amdhsa_next_free_vgpr 18
		.amdhsa_next_free_sgpr 77
		.amdhsa_accum_offset 20
		.amdhsa_reserve_vcc 1
		.amdhsa_reserve_flat_scratch 0
		.amdhsa_float_round_mode_32 0
		.amdhsa_float_round_mode_16_64 0
		.amdhsa_float_denorm_mode_32 3
		.amdhsa_float_denorm_mode_16_64 3
		.amdhsa_dx10_clamp 1
		.amdhsa_ieee_mode 1
		.amdhsa_fp16_overflow 0
		.amdhsa_tg_split 0
		.amdhsa_exception_fp_ieee_invalid_op 0
		.amdhsa_exception_fp_denorm_src 0
		.amdhsa_exception_fp_ieee_div_zero 0
		.amdhsa_exception_fp_ieee_overflow 0
		.amdhsa_exception_fp_ieee_underflow 0
		.amdhsa_exception_fp_ieee_inexact 0
		.amdhsa_exception_int_div_zero 0
	.end_amdhsa_kernel
	.section	.text._ZN2at6native32elementwise_kernel_manual_unrollILi128ELi4EZNS0_15gpu_kernel_implINS0_13AUnaryFunctorIN3c108BFloat16ES5_S5_ZNS0_20copysign_kernel_cudaERNS_18TensorIteratorBaseEEUlS5_S5_E_EEEEvS7_RKT_EUlibE0_EEviT1_,"axG",@progbits,_ZN2at6native32elementwise_kernel_manual_unrollILi128ELi4EZNS0_15gpu_kernel_implINS0_13AUnaryFunctorIN3c108BFloat16ES5_S5_ZNS0_20copysign_kernel_cudaERNS_18TensorIteratorBaseEEUlS5_S5_E_EEEEvS7_RKT_EUlibE0_EEviT1_,comdat
.Lfunc_end31:
	.size	_ZN2at6native32elementwise_kernel_manual_unrollILi128ELi4EZNS0_15gpu_kernel_implINS0_13AUnaryFunctorIN3c108BFloat16ES5_S5_ZNS0_20copysign_kernel_cudaERNS_18TensorIteratorBaseEEUlS5_S5_E_EEEEvS7_RKT_EUlibE0_EEviT1_, .Lfunc_end31-_ZN2at6native32elementwise_kernel_manual_unrollILi128ELi4EZNS0_15gpu_kernel_implINS0_13AUnaryFunctorIN3c108BFloat16ES5_S5_ZNS0_20copysign_kernel_cudaERNS_18TensorIteratorBaseEEUlS5_S5_E_EEEEvS7_RKT_EUlibE0_EEviT1_
                                        ; -- End function
	.section	.AMDGPU.csdata,"",@progbits
; Kernel info:
; codeLenInByte = 45972
; NumSgprs: 81
; NumVgprs: 18
; NumAgprs: 0
; TotalNumVgprs: 18
; ScratchSize: 0
; MemoryBound: 0
; FloatMode: 240
; IeeeMode: 1
; LDSByteSize: 0 bytes/workgroup (compile time only)
; SGPRBlocks: 10
; VGPRBlocks: 2
; NumSGPRsForWavesPerEU: 81
; NumVGPRsForWavesPerEU: 18
; AccumOffset: 20
; Occupancy: 8
; WaveLimiterHint : 1
; COMPUTE_PGM_RSRC2:SCRATCH_EN: 0
; COMPUTE_PGM_RSRC2:USER_SGPR: 6
; COMPUTE_PGM_RSRC2:TRAP_HANDLER: 0
; COMPUTE_PGM_RSRC2:TGID_X_EN: 1
; COMPUTE_PGM_RSRC2:TGID_Y_EN: 0
; COMPUTE_PGM_RSRC2:TGID_Z_EN: 0
; COMPUTE_PGM_RSRC2:TIDIG_COMP_CNT: 0
; COMPUTE_PGM_RSRC3_GFX90A:ACCUM_OFFSET: 4
; COMPUTE_PGM_RSRC3_GFX90A:TG_SPLIT: 0
	.section	.text._ZN2at6native29vectorized_elementwise_kernelILi16ENS0_13BUnaryFunctorIN3c108BFloat16ES4_S4_ZNS0_20copysign_kernel_cudaERNS_18TensorIteratorBaseEEUlS4_S4_E_EESt5arrayIPcLm2EEEEviT0_T1_,"axG",@progbits,_ZN2at6native29vectorized_elementwise_kernelILi16ENS0_13BUnaryFunctorIN3c108BFloat16ES4_S4_ZNS0_20copysign_kernel_cudaERNS_18TensorIteratorBaseEEUlS4_S4_E_EESt5arrayIPcLm2EEEEviT0_T1_,comdat
	.globl	_ZN2at6native29vectorized_elementwise_kernelILi16ENS0_13BUnaryFunctorIN3c108BFloat16ES4_S4_ZNS0_20copysign_kernel_cudaERNS_18TensorIteratorBaseEEUlS4_S4_E_EESt5arrayIPcLm2EEEEviT0_T1_ ; -- Begin function _ZN2at6native29vectorized_elementwise_kernelILi16ENS0_13BUnaryFunctorIN3c108BFloat16ES4_S4_ZNS0_20copysign_kernel_cudaERNS_18TensorIteratorBaseEEUlS4_S4_E_EESt5arrayIPcLm2EEEEviT0_T1_
	.p2align	8
	.type	_ZN2at6native29vectorized_elementwise_kernelILi16ENS0_13BUnaryFunctorIN3c108BFloat16ES4_S4_ZNS0_20copysign_kernel_cudaERNS_18TensorIteratorBaseEEUlS4_S4_E_EESt5arrayIPcLm2EEEEviT0_T1_,@function
_ZN2at6native29vectorized_elementwise_kernelILi16ENS0_13BUnaryFunctorIN3c108BFloat16ES4_S4_ZNS0_20copysign_kernel_cudaERNS_18TensorIteratorBaseEEUlS4_S4_E_EESt5arrayIPcLm2EEEEviT0_T1_: ; @_ZN2at6native29vectorized_elementwise_kernelILi16ENS0_13BUnaryFunctorIN3c108BFloat16ES4_S4_ZNS0_20copysign_kernel_cudaERNS_18TensorIteratorBaseEEUlS4_S4_E_EESt5arrayIPcLm2EEEEviT0_T1_
; %bb.0:
	s_load_dwordx2 s[0:1], s[4:5], 0x0
	s_load_dwordx4 s[8:11], s[4:5], 0x8
	s_lshl_b32 s2, s6, 11
	s_waitcnt lgkmcnt(0)
	s_sub_i32 s6, s0, s2
	s_lshr_b32 s7, s1, 16
	s_cmpk_gt_i32 s6, 0x7ff
	s_mov_b64 s[0:1], -1
	s_cbranch_scc0 .LBB32_2
; %bb.1:
	s_ashr_i32 s3, s2, 31
	s_lshl_b64 s[0:1], s[2:3], 1
	s_add_u32 s4, s10, s0
	s_addc_u32 s5, s11, s1
	v_lshlrev_b32_e32 v1, 4, v0
	global_load_dwordx4 v[2:5], v1, s[4:5]
	v_mov_b32_e32 v6, 0xffff8000
	s_movk_i32 s3, 0x7fff
	v_and_b32_e32 v6, s7, v6
	s_mov_b32 s4, 0x5040100
	s_add_u32 s0, s8, s0
	s_addc_u32 s1, s9, s1
	s_waitcnt vmcnt(0)
	v_and_b32_sdwa v7, v3, s3 dst_sel:DWORD dst_unused:UNUSED_PAD src0_sel:WORD_1 src1_sel:DWORD
	v_and_b32_e32 v3, 0x7fff, v3
	v_and_b32_sdwa v8, v2, s3 dst_sel:DWORD dst_unused:UNUSED_PAD src0_sel:WORD_1 src1_sel:DWORD
	v_and_b32_e32 v2, 0x7fff, v2
	;; [unrolled: 2-line block ×4, first 2 shown]
	v_or_b32_e32 v2, v2, v6
	v_or_b32_e32 v8, v8, v6
	;; [unrolled: 1-line block ×8, first 2 shown]
	v_perm_b32 v5, v6, v5, s4
	v_perm_b32 v4, v10, v4, s4
	;; [unrolled: 1-line block ×4, first 2 shown]
	global_store_dwordx4 v1, v[2:5], s[0:1]
	s_mov_b64 s[0:1], 0
.LBB32_2:
	s_andn2_b64 vcc, exec, s[0:1]
	s_cbranch_vccnz .LBB32_28
; %bb.3:
	v_cmp_gt_i32_e32 vcc, s6, v0
	v_mov_b32_e32 v1, 0
	v_or_b32_e32 v2, s2, v0
	v_mov_b32_e32 v3, 0
	v_mov_b32_e32 v9, v0
	s_and_saveexec_b64 s[4:5], vcc
	s_cbranch_execz .LBB32_5
; %bb.4:
	v_mov_b32_e32 v3, 0
	v_lshlrev_b64 v[4:5], 1, v[2:3]
	v_mov_b32_e32 v3, s11
	v_add_co_u32_e64 v4, s[0:1], s10, v4
	v_addc_co_u32_e64 v5, s[0:1], v3, v5, s[0:1]
	global_load_ushort v3, v[4:5], off
	v_or_b32_e32 v9, 0x100, v0
	s_waitcnt vmcnt(0)
	v_and_b32_e32 v3, 0x7fff, v3
.LBB32_5:
	s_or_b64 exec, exec, s[4:5]
	v_cmp_gt_i32_e64 s[0:1], s6, v9
	s_and_saveexec_b64 s[4:5], s[0:1]
	s_cbranch_execz .LBB32_7
; %bb.6:
	v_add_u32_e32 v4, s2, v9
	v_mov_b32_e32 v5, 0
	v_lshlrev_b64 v[4:5], 1, v[4:5]
	v_mov_b32_e32 v1, s11
	v_add_co_u32_e64 v4, s[0:1], s10, v4
	v_addc_co_u32_e64 v5, s[0:1], v1, v5, s[0:1]
	global_load_ushort v1, v[4:5], off
	v_add_u32_e32 v9, 0x100, v9
	s_waitcnt vmcnt(0)
	v_and_b32_e32 v1, 0x7fff, v1
.LBB32_7:
	s_or_b64 exec, exec, s[4:5]
	v_cmp_gt_i32_e64 s[0:1], s6, v9
	v_mov_b32_e32 v4, 0
	v_mov_b32_e32 v7, 0
	s_and_saveexec_b64 s[4:5], s[0:1]
	s_cbranch_execz .LBB32_9
; %bb.8:
	v_add_u32_e32 v6, s2, v9
	v_mov_b32_e32 v7, 0
	v_lshlrev_b64 v[6:7], 1, v[6:7]
	v_mov_b32_e32 v5, s11
	v_add_co_u32_e64 v6, s[0:1], s10, v6
	v_addc_co_u32_e64 v7, s[0:1], v5, v7, s[0:1]
	global_load_ushort v5, v[6:7], off
	v_add_u32_e32 v9, 0x100, v9
	s_waitcnt vmcnt(0)
	v_and_b32_e32 v7, 0x7fff, v5
.LBB32_9:
	s_or_b64 exec, exec, s[4:5]
	v_cmp_gt_i32_e64 s[0:1], s6, v9
	s_and_saveexec_b64 s[4:5], s[0:1]
	s_cbranch_execz .LBB32_11
; %bb.10:
	v_add_u32_e32 v4, s2, v9
	v_mov_b32_e32 v5, 0
	v_lshlrev_b64 v[4:5], 1, v[4:5]
	v_mov_b32_e32 v6, s11
	v_add_co_u32_e64 v4, s[0:1], s10, v4
	v_addc_co_u32_e64 v5, s[0:1], v6, v5, s[0:1]
	global_load_ushort v4, v[4:5], off
	v_add_u32_e32 v9, 0x100, v9
	s_waitcnt vmcnt(0)
	v_and_b32_e32 v4, 0x7fff, v4
.LBB32_11:
	s_or_b64 exec, exec, s[4:5]
	v_cmp_gt_i32_e64 s[0:1], s6, v9
	v_mov_b32_e32 v5, 0
	v_mov_b32_e32 v8, 0
	s_and_saveexec_b64 s[4:5], s[0:1]
	s_cbranch_execz .LBB32_13
; %bb.12:
	v_add_u32_e32 v10, s2, v9
	v_mov_b32_e32 v11, 0
	v_lshlrev_b64 v[10:11], 1, v[10:11]
	v_mov_b32_e32 v6, s11
	v_add_co_u32_e64 v10, s[0:1], s10, v10
	v_addc_co_u32_e64 v11, s[0:1], v6, v11, s[0:1]
	global_load_ushort v6, v[10:11], off
	v_add_u32_e32 v9, 0x100, v9
	s_waitcnt vmcnt(0)
	v_and_b32_e32 v8, 0x7fff, v6
.LBB32_13:
	;; [unrolled: 34-line block ×3, first 2 shown]
	s_or_b64 exec, exec, s[4:5]
	v_cmp_gt_i32_e64 s[0:1], s6, v9
	s_and_saveexec_b64 s[4:5], s[0:1]
	s_cbranch_execz .LBB32_19
; %bb.18:
	v_add_u32_e32 v12, s2, v9
	v_mov_b32_e32 v13, 0
	v_lshlrev_b64 v[12:13], 1, v[12:13]
	v_mov_b32_e32 v6, s11
	v_add_co_u32_e64 v12, s[0:1], s10, v12
	v_addc_co_u32_e64 v13, s[0:1], v6, v13, s[0:1]
	global_load_ushort v6, v[12:13], off
	s_waitcnt vmcnt(0)
	v_and_b32_e32 v6, 0x7fff, v6
.LBB32_19:
	s_or_b64 exec, exec, s[4:5]
	v_mov_b32_e32 v9, 0xffff8000
	v_and_b32_e32 v9, s7, v9
	s_and_saveexec_b64 s[0:1], vcc
	s_cbranch_execnz .LBB32_29
; %bb.20:
	s_or_b64 exec, exec, s[0:1]
	v_cmp_gt_i32_e32 vcc, s6, v0
	s_and_saveexec_b64 s[0:1], vcc
	s_cbranch_execnz .LBB32_30
.LBB32_21:
	s_or_b64 exec, exec, s[0:1]
	v_cmp_gt_i32_e32 vcc, s6, v0
	s_and_saveexec_b64 s[0:1], vcc
	s_cbranch_execnz .LBB32_31
.LBB32_22:
	s_or_b64 exec, exec, s[0:1]
	v_cmp_gt_i32_e32 vcc, s6, v0
	s_and_saveexec_b64 s[0:1], vcc
	s_cbranch_execnz .LBB32_32
.LBB32_23:
	s_or_b64 exec, exec, s[0:1]
	v_cmp_gt_i32_e32 vcc, s6, v0
	s_and_saveexec_b64 s[0:1], vcc
	s_cbranch_execnz .LBB32_33
.LBB32_24:
	s_or_b64 exec, exec, s[0:1]
	v_cmp_gt_i32_e32 vcc, s6, v0
	s_and_saveexec_b64 s[0:1], vcc
	s_cbranch_execnz .LBB32_34
.LBB32_25:
	s_or_b64 exec, exec, s[0:1]
	v_cmp_gt_i32_e32 vcc, s6, v0
	s_and_saveexec_b64 s[0:1], vcc
	s_cbranch_execnz .LBB32_35
.LBB32_26:
	s_or_b64 exec, exec, s[0:1]
	v_cmp_gt_i32_e32 vcc, s6, v0
	s_and_saveexec_b64 s[0:1], vcc
	s_cbranch_execz .LBB32_28
.LBB32_27:
	v_add_u32_e32 v0, s2, v0
	v_mov_b32_e32 v1, 0
	v_lshlrev_b64 v[0:1], 1, v[0:1]
	v_mov_b32_e32 v3, s9
	v_add_co_u32_e32 v0, vcc, s8, v0
	v_or_b32_e32 v2, v6, v9
	v_addc_co_u32_e32 v1, vcc, v3, v1, vcc
	global_store_short v[0:1], v2, off
.LBB32_28:
	s_endpgm
.LBB32_29:
	v_or_b32_e32 v11, v3, v9
	v_mov_b32_e32 v3, 0
	v_lshlrev_b64 v[2:3], 1, v[2:3]
	v_mov_b32_e32 v12, s9
	v_add_co_u32_e32 v2, vcc, s8, v2
	v_or_b32_e32 v0, 0x100, v0
	v_addc_co_u32_e32 v3, vcc, v12, v3, vcc
	global_store_short v[2:3], v11, off
	s_or_b64 exec, exec, s[0:1]
	v_cmp_gt_i32_e32 vcc, s6, v0
	s_and_saveexec_b64 s[0:1], vcc
	s_cbranch_execz .LBB32_21
.LBB32_30:
	v_add_u32_e32 v2, s2, v0
	v_mov_b32_e32 v3, 0
	v_lshlrev_b64 v[2:3], 1, v[2:3]
	v_mov_b32_e32 v11, s9
	v_add_co_u32_e32 v2, vcc, s8, v2
	v_or_b32_e32 v1, v1, v9
	v_addc_co_u32_e32 v3, vcc, v11, v3, vcc
	v_add_u32_e32 v0, 0x100, v0
	global_store_short v[2:3], v1, off
	s_or_b64 exec, exec, s[0:1]
	v_cmp_gt_i32_e32 vcc, s6, v0
	s_and_saveexec_b64 s[0:1], vcc
	s_cbranch_execz .LBB32_22
.LBB32_31:
	v_add_u32_e32 v2, s2, v0
	v_mov_b32_e32 v3, 0
	v_lshlrev_b64 v[2:3], 1, v[2:3]
	v_or_b32_e32 v1, v7, v9
	v_mov_b32_e32 v7, s9
	v_add_co_u32_e32 v2, vcc, s8, v2
	v_addc_co_u32_e32 v3, vcc, v7, v3, vcc
	v_add_u32_e32 v0, 0x100, v0
	global_store_short v[2:3], v1, off
	s_or_b64 exec, exec, s[0:1]
	v_cmp_gt_i32_e32 vcc, s6, v0
	s_and_saveexec_b64 s[0:1], vcc
	s_cbranch_execz .LBB32_23
.LBB32_32:
	v_add_u32_e32 v2, s2, v0
	v_mov_b32_e32 v3, 0
	v_lshlrev_b64 v[2:3], 1, v[2:3]
	v_or_b32_e32 v1, v4, v9
	v_mov_b32_e32 v4, s9
	v_add_co_u32_e32 v2, vcc, s8, v2
	v_addc_co_u32_e32 v3, vcc, v4, v3, vcc
	v_add_u32_e32 v0, 0x100, v0
	global_store_short v[2:3], v1, off
	s_or_b64 exec, exec, s[0:1]
	v_cmp_gt_i32_e32 vcc, s6, v0
	s_and_saveexec_b64 s[0:1], vcc
	s_cbranch_execz .LBB32_24
.LBB32_33:
	v_add_u32_e32 v2, s2, v0
	v_mov_b32_e32 v3, 0
	v_lshlrev_b64 v[2:3], 1, v[2:3]
	v_mov_b32_e32 v4, s9
	v_add_co_u32_e32 v2, vcc, s8, v2
	v_or_b32_e32 v1, v8, v9
	v_addc_co_u32_e32 v3, vcc, v4, v3, vcc
	v_add_u32_e32 v0, 0x100, v0
	global_store_short v[2:3], v1, off
	s_or_b64 exec, exec, s[0:1]
	v_cmp_gt_i32_e32 vcc, s6, v0
	s_and_saveexec_b64 s[0:1], vcc
	s_cbranch_execz .LBB32_25
.LBB32_34:
	v_add_u32_e32 v2, s2, v0
	v_mov_b32_e32 v3, 0
	v_lshlrev_b64 v[2:3], 1, v[2:3]
	v_mov_b32_e32 v4, s9
	v_add_co_u32_e32 v2, vcc, s8, v2
	v_or_b32_e32 v1, v5, v9
	v_addc_co_u32_e32 v3, vcc, v4, v3, vcc
	v_add_u32_e32 v0, 0x100, v0
	global_store_short v[2:3], v1, off
	s_or_b64 exec, exec, s[0:1]
	v_cmp_gt_i32_e32 vcc, s6, v0
	s_and_saveexec_b64 s[0:1], vcc
	s_cbranch_execz .LBB32_26
.LBB32_35:
	v_add_u32_e32 v2, s2, v0
	v_mov_b32_e32 v3, 0
	v_lshlrev_b64 v[2:3], 1, v[2:3]
	v_mov_b32_e32 v4, s9
	v_add_co_u32_e32 v2, vcc, s8, v2
	v_or_b32_e32 v1, v10, v9
	v_addc_co_u32_e32 v3, vcc, v4, v3, vcc
	v_add_u32_e32 v0, 0x100, v0
	global_store_short v[2:3], v1, off
	s_or_b64 exec, exec, s[0:1]
	v_cmp_gt_i32_e32 vcc, s6, v0
	s_and_saveexec_b64 s[0:1], vcc
	s_cbranch_execnz .LBB32_27
	s_branch .LBB32_28
	.section	.rodata,"a",@progbits
	.p2align	6, 0x0
	.amdhsa_kernel _ZN2at6native29vectorized_elementwise_kernelILi16ENS0_13BUnaryFunctorIN3c108BFloat16ES4_S4_ZNS0_20copysign_kernel_cudaERNS_18TensorIteratorBaseEEUlS4_S4_E_EESt5arrayIPcLm2EEEEviT0_T1_
		.amdhsa_group_segment_fixed_size 0
		.amdhsa_private_segment_fixed_size 0
		.amdhsa_kernarg_size 24
		.amdhsa_user_sgpr_count 6
		.amdhsa_user_sgpr_private_segment_buffer 1
		.amdhsa_user_sgpr_dispatch_ptr 0
		.amdhsa_user_sgpr_queue_ptr 0
		.amdhsa_user_sgpr_kernarg_segment_ptr 1
		.amdhsa_user_sgpr_dispatch_id 0
		.amdhsa_user_sgpr_flat_scratch_init 0
		.amdhsa_user_sgpr_kernarg_preload_length 0
		.amdhsa_user_sgpr_kernarg_preload_offset 0
		.amdhsa_user_sgpr_private_segment_size 0
		.amdhsa_uses_dynamic_stack 0
		.amdhsa_system_sgpr_private_segment_wavefront_offset 0
		.amdhsa_system_sgpr_workgroup_id_x 1
		.amdhsa_system_sgpr_workgroup_id_y 0
		.amdhsa_system_sgpr_workgroup_id_z 0
		.amdhsa_system_sgpr_workgroup_info 0
		.amdhsa_system_vgpr_workitem_id 0
		.amdhsa_next_free_vgpr 14
		.amdhsa_next_free_sgpr 12
		.amdhsa_accum_offset 16
		.amdhsa_reserve_vcc 1
		.amdhsa_reserve_flat_scratch 0
		.amdhsa_float_round_mode_32 0
		.amdhsa_float_round_mode_16_64 0
		.amdhsa_float_denorm_mode_32 3
		.amdhsa_float_denorm_mode_16_64 3
		.amdhsa_dx10_clamp 1
		.amdhsa_ieee_mode 1
		.amdhsa_fp16_overflow 0
		.amdhsa_tg_split 0
		.amdhsa_exception_fp_ieee_invalid_op 0
		.amdhsa_exception_fp_denorm_src 0
		.amdhsa_exception_fp_ieee_div_zero 0
		.amdhsa_exception_fp_ieee_overflow 0
		.amdhsa_exception_fp_ieee_underflow 0
		.amdhsa_exception_fp_ieee_inexact 0
		.amdhsa_exception_int_div_zero 0
	.end_amdhsa_kernel
	.section	.text._ZN2at6native29vectorized_elementwise_kernelILi16ENS0_13BUnaryFunctorIN3c108BFloat16ES4_S4_ZNS0_20copysign_kernel_cudaERNS_18TensorIteratorBaseEEUlS4_S4_E_EESt5arrayIPcLm2EEEEviT0_T1_,"axG",@progbits,_ZN2at6native29vectorized_elementwise_kernelILi16ENS0_13BUnaryFunctorIN3c108BFloat16ES4_S4_ZNS0_20copysign_kernel_cudaERNS_18TensorIteratorBaseEEUlS4_S4_E_EESt5arrayIPcLm2EEEEviT0_T1_,comdat
.Lfunc_end32:
	.size	_ZN2at6native29vectorized_elementwise_kernelILi16ENS0_13BUnaryFunctorIN3c108BFloat16ES4_S4_ZNS0_20copysign_kernel_cudaERNS_18TensorIteratorBaseEEUlS4_S4_E_EESt5arrayIPcLm2EEEEviT0_T1_, .Lfunc_end32-_ZN2at6native29vectorized_elementwise_kernelILi16ENS0_13BUnaryFunctorIN3c108BFloat16ES4_S4_ZNS0_20copysign_kernel_cudaERNS_18TensorIteratorBaseEEUlS4_S4_E_EESt5arrayIPcLm2EEEEviT0_T1_
                                        ; -- End function
	.section	.AMDGPU.csdata,"",@progbits
; Kernel info:
; codeLenInByte = 1576
; NumSgprs: 16
; NumVgprs: 14
; NumAgprs: 0
; TotalNumVgprs: 14
; ScratchSize: 0
; MemoryBound: 0
; FloatMode: 240
; IeeeMode: 1
; LDSByteSize: 0 bytes/workgroup (compile time only)
; SGPRBlocks: 1
; VGPRBlocks: 1
; NumSGPRsForWavesPerEU: 16
; NumVGPRsForWavesPerEU: 14
; AccumOffset: 16
; Occupancy: 8
; WaveLimiterHint : 0
; COMPUTE_PGM_RSRC2:SCRATCH_EN: 0
; COMPUTE_PGM_RSRC2:USER_SGPR: 6
; COMPUTE_PGM_RSRC2:TRAP_HANDLER: 0
; COMPUTE_PGM_RSRC2:TGID_X_EN: 1
; COMPUTE_PGM_RSRC2:TGID_Y_EN: 0
; COMPUTE_PGM_RSRC2:TGID_Z_EN: 0
; COMPUTE_PGM_RSRC2:TIDIG_COMP_CNT: 0
; COMPUTE_PGM_RSRC3_GFX90A:ACCUM_OFFSET: 3
; COMPUTE_PGM_RSRC3_GFX90A:TG_SPLIT: 0
	.section	.text._ZN2at6native29vectorized_elementwise_kernelILi8ENS0_13BUnaryFunctorIN3c108BFloat16ES4_S4_ZNS0_20copysign_kernel_cudaERNS_18TensorIteratorBaseEEUlS4_S4_E_EESt5arrayIPcLm2EEEEviT0_T1_,"axG",@progbits,_ZN2at6native29vectorized_elementwise_kernelILi8ENS0_13BUnaryFunctorIN3c108BFloat16ES4_S4_ZNS0_20copysign_kernel_cudaERNS_18TensorIteratorBaseEEUlS4_S4_E_EESt5arrayIPcLm2EEEEviT0_T1_,comdat
	.globl	_ZN2at6native29vectorized_elementwise_kernelILi8ENS0_13BUnaryFunctorIN3c108BFloat16ES4_S4_ZNS0_20copysign_kernel_cudaERNS_18TensorIteratorBaseEEUlS4_S4_E_EESt5arrayIPcLm2EEEEviT0_T1_ ; -- Begin function _ZN2at6native29vectorized_elementwise_kernelILi8ENS0_13BUnaryFunctorIN3c108BFloat16ES4_S4_ZNS0_20copysign_kernel_cudaERNS_18TensorIteratorBaseEEUlS4_S4_E_EESt5arrayIPcLm2EEEEviT0_T1_
	.p2align	8
	.type	_ZN2at6native29vectorized_elementwise_kernelILi8ENS0_13BUnaryFunctorIN3c108BFloat16ES4_S4_ZNS0_20copysign_kernel_cudaERNS_18TensorIteratorBaseEEUlS4_S4_E_EESt5arrayIPcLm2EEEEviT0_T1_,@function
_ZN2at6native29vectorized_elementwise_kernelILi8ENS0_13BUnaryFunctorIN3c108BFloat16ES4_S4_ZNS0_20copysign_kernel_cudaERNS_18TensorIteratorBaseEEUlS4_S4_E_EESt5arrayIPcLm2EEEEviT0_T1_: ; @_ZN2at6native29vectorized_elementwise_kernelILi8ENS0_13BUnaryFunctorIN3c108BFloat16ES4_S4_ZNS0_20copysign_kernel_cudaERNS_18TensorIteratorBaseEEUlS4_S4_E_EESt5arrayIPcLm2EEEEviT0_T1_
; %bb.0:
	s_load_dwordx2 s[0:1], s[4:5], 0x0
	s_load_dwordx4 s[8:11], s[4:5], 0x8
	s_lshl_b32 s2, s6, 11
	s_waitcnt lgkmcnt(0)
	s_sub_i32 s6, s0, s2
	s_lshr_b32 s7, s1, 16
	s_cmpk_gt_i32 s6, 0x7ff
	s_mov_b64 s[0:1], -1
	s_cbranch_scc0 .LBB33_2
; %bb.1:
	s_ashr_i32 s3, s2, 31
	s_lshl_b64 s[0:1], s[2:3], 1
	s_add_u32 s4, s10, s0
	s_addc_u32 s5, s11, s1
	v_lshlrev_b32_e32 v1, 4, v0
	global_load_dwordx4 v[2:5], v1, s[4:5]
	v_mov_b32_e32 v6, 0xffff8000
	s_movk_i32 s3, 0x7fff
	v_and_b32_e32 v6, s7, v6
	s_mov_b32 s4, 0x5040100
	s_add_u32 s0, s8, s0
	s_addc_u32 s1, s9, s1
	s_waitcnt vmcnt(0)
	v_and_b32_sdwa v7, v3, s3 dst_sel:DWORD dst_unused:UNUSED_PAD src0_sel:WORD_1 src1_sel:DWORD
	v_and_b32_e32 v3, 0x7fff, v3
	v_and_b32_sdwa v8, v2, s3 dst_sel:DWORD dst_unused:UNUSED_PAD src0_sel:WORD_1 src1_sel:DWORD
	v_and_b32_e32 v2, 0x7fff, v2
	;; [unrolled: 2-line block ×4, first 2 shown]
	v_or_b32_e32 v2, v2, v6
	v_or_b32_e32 v8, v8, v6
	;; [unrolled: 1-line block ×8, first 2 shown]
	v_perm_b32 v5, v6, v5, s4
	v_perm_b32 v4, v10, v4, s4
	v_perm_b32 v3, v7, v3, s4
	v_perm_b32 v2, v8, v2, s4
	global_store_dwordx4 v1, v[2:5], s[0:1]
	s_mov_b64 s[0:1], 0
.LBB33_2:
	s_andn2_b64 vcc, exec, s[0:1]
	s_cbranch_vccnz .LBB33_28
; %bb.3:
	v_cmp_gt_i32_e32 vcc, s6, v0
	v_mov_b32_e32 v1, 0
	v_or_b32_e32 v2, s2, v0
	v_mov_b32_e32 v3, 0
	v_mov_b32_e32 v9, v0
	s_and_saveexec_b64 s[4:5], vcc
	s_cbranch_execz .LBB33_5
; %bb.4:
	v_mov_b32_e32 v3, 0
	v_lshlrev_b64 v[4:5], 1, v[2:3]
	v_mov_b32_e32 v3, s11
	v_add_co_u32_e64 v4, s[0:1], s10, v4
	v_addc_co_u32_e64 v5, s[0:1], v3, v5, s[0:1]
	global_load_ushort v3, v[4:5], off
	v_or_b32_e32 v9, 0x100, v0
	s_waitcnt vmcnt(0)
	v_and_b32_e32 v3, 0x7fff, v3
.LBB33_5:
	s_or_b64 exec, exec, s[4:5]
	v_cmp_gt_i32_e64 s[0:1], s6, v9
	s_and_saveexec_b64 s[4:5], s[0:1]
	s_cbranch_execz .LBB33_7
; %bb.6:
	v_add_u32_e32 v4, s2, v9
	v_mov_b32_e32 v5, 0
	v_lshlrev_b64 v[4:5], 1, v[4:5]
	v_mov_b32_e32 v1, s11
	v_add_co_u32_e64 v4, s[0:1], s10, v4
	v_addc_co_u32_e64 v5, s[0:1], v1, v5, s[0:1]
	global_load_ushort v1, v[4:5], off
	v_add_u32_e32 v9, 0x100, v9
	s_waitcnt vmcnt(0)
	v_and_b32_e32 v1, 0x7fff, v1
.LBB33_7:
	s_or_b64 exec, exec, s[4:5]
	v_cmp_gt_i32_e64 s[0:1], s6, v9
	v_mov_b32_e32 v4, 0
	v_mov_b32_e32 v7, 0
	s_and_saveexec_b64 s[4:5], s[0:1]
	s_cbranch_execz .LBB33_9
; %bb.8:
	v_add_u32_e32 v6, s2, v9
	v_mov_b32_e32 v7, 0
	v_lshlrev_b64 v[6:7], 1, v[6:7]
	v_mov_b32_e32 v5, s11
	v_add_co_u32_e64 v6, s[0:1], s10, v6
	v_addc_co_u32_e64 v7, s[0:1], v5, v7, s[0:1]
	global_load_ushort v5, v[6:7], off
	v_add_u32_e32 v9, 0x100, v9
	s_waitcnt vmcnt(0)
	v_and_b32_e32 v7, 0x7fff, v5
.LBB33_9:
	s_or_b64 exec, exec, s[4:5]
	v_cmp_gt_i32_e64 s[0:1], s6, v9
	s_and_saveexec_b64 s[4:5], s[0:1]
	s_cbranch_execz .LBB33_11
; %bb.10:
	v_add_u32_e32 v4, s2, v9
	v_mov_b32_e32 v5, 0
	v_lshlrev_b64 v[4:5], 1, v[4:5]
	v_mov_b32_e32 v6, s11
	v_add_co_u32_e64 v4, s[0:1], s10, v4
	v_addc_co_u32_e64 v5, s[0:1], v6, v5, s[0:1]
	global_load_ushort v4, v[4:5], off
	v_add_u32_e32 v9, 0x100, v9
	s_waitcnt vmcnt(0)
	v_and_b32_e32 v4, 0x7fff, v4
.LBB33_11:
	s_or_b64 exec, exec, s[4:5]
	v_cmp_gt_i32_e64 s[0:1], s6, v9
	v_mov_b32_e32 v5, 0
	v_mov_b32_e32 v8, 0
	s_and_saveexec_b64 s[4:5], s[0:1]
	s_cbranch_execz .LBB33_13
; %bb.12:
	v_add_u32_e32 v10, s2, v9
	v_mov_b32_e32 v11, 0
	v_lshlrev_b64 v[10:11], 1, v[10:11]
	v_mov_b32_e32 v6, s11
	v_add_co_u32_e64 v10, s[0:1], s10, v10
	v_addc_co_u32_e64 v11, s[0:1], v6, v11, s[0:1]
	global_load_ushort v6, v[10:11], off
	v_add_u32_e32 v9, 0x100, v9
	s_waitcnt vmcnt(0)
	v_and_b32_e32 v8, 0x7fff, v6
.LBB33_13:
	;; [unrolled: 34-line block ×3, first 2 shown]
	s_or_b64 exec, exec, s[4:5]
	v_cmp_gt_i32_e64 s[0:1], s6, v9
	s_and_saveexec_b64 s[4:5], s[0:1]
	s_cbranch_execz .LBB33_19
; %bb.18:
	v_add_u32_e32 v12, s2, v9
	v_mov_b32_e32 v13, 0
	v_lshlrev_b64 v[12:13], 1, v[12:13]
	v_mov_b32_e32 v6, s11
	v_add_co_u32_e64 v12, s[0:1], s10, v12
	v_addc_co_u32_e64 v13, s[0:1], v6, v13, s[0:1]
	global_load_ushort v6, v[12:13], off
	s_waitcnt vmcnt(0)
	v_and_b32_e32 v6, 0x7fff, v6
.LBB33_19:
	s_or_b64 exec, exec, s[4:5]
	v_mov_b32_e32 v9, 0xffff8000
	v_and_b32_e32 v9, s7, v9
	s_and_saveexec_b64 s[0:1], vcc
	s_cbranch_execnz .LBB33_29
; %bb.20:
	s_or_b64 exec, exec, s[0:1]
	v_cmp_gt_i32_e32 vcc, s6, v0
	s_and_saveexec_b64 s[0:1], vcc
	s_cbranch_execnz .LBB33_30
.LBB33_21:
	s_or_b64 exec, exec, s[0:1]
	v_cmp_gt_i32_e32 vcc, s6, v0
	s_and_saveexec_b64 s[0:1], vcc
	s_cbranch_execnz .LBB33_31
.LBB33_22:
	s_or_b64 exec, exec, s[0:1]
	v_cmp_gt_i32_e32 vcc, s6, v0
	s_and_saveexec_b64 s[0:1], vcc
	s_cbranch_execnz .LBB33_32
.LBB33_23:
	s_or_b64 exec, exec, s[0:1]
	v_cmp_gt_i32_e32 vcc, s6, v0
	s_and_saveexec_b64 s[0:1], vcc
	s_cbranch_execnz .LBB33_33
.LBB33_24:
	s_or_b64 exec, exec, s[0:1]
	v_cmp_gt_i32_e32 vcc, s6, v0
	s_and_saveexec_b64 s[0:1], vcc
	s_cbranch_execnz .LBB33_34
.LBB33_25:
	s_or_b64 exec, exec, s[0:1]
	v_cmp_gt_i32_e32 vcc, s6, v0
	s_and_saveexec_b64 s[0:1], vcc
	s_cbranch_execnz .LBB33_35
.LBB33_26:
	s_or_b64 exec, exec, s[0:1]
	v_cmp_gt_i32_e32 vcc, s6, v0
	s_and_saveexec_b64 s[0:1], vcc
	s_cbranch_execz .LBB33_28
.LBB33_27:
	v_add_u32_e32 v0, s2, v0
	v_mov_b32_e32 v1, 0
	v_lshlrev_b64 v[0:1], 1, v[0:1]
	v_mov_b32_e32 v3, s9
	v_add_co_u32_e32 v0, vcc, s8, v0
	v_or_b32_e32 v2, v6, v9
	v_addc_co_u32_e32 v1, vcc, v3, v1, vcc
	global_store_short v[0:1], v2, off
.LBB33_28:
	s_endpgm
.LBB33_29:
	v_or_b32_e32 v11, v3, v9
	v_mov_b32_e32 v3, 0
	v_lshlrev_b64 v[2:3], 1, v[2:3]
	v_mov_b32_e32 v12, s9
	v_add_co_u32_e32 v2, vcc, s8, v2
	v_or_b32_e32 v0, 0x100, v0
	v_addc_co_u32_e32 v3, vcc, v12, v3, vcc
	global_store_short v[2:3], v11, off
	s_or_b64 exec, exec, s[0:1]
	v_cmp_gt_i32_e32 vcc, s6, v0
	s_and_saveexec_b64 s[0:1], vcc
	s_cbranch_execz .LBB33_21
.LBB33_30:
	v_add_u32_e32 v2, s2, v0
	v_mov_b32_e32 v3, 0
	v_lshlrev_b64 v[2:3], 1, v[2:3]
	v_mov_b32_e32 v11, s9
	v_add_co_u32_e32 v2, vcc, s8, v2
	v_or_b32_e32 v1, v1, v9
	v_addc_co_u32_e32 v3, vcc, v11, v3, vcc
	v_add_u32_e32 v0, 0x100, v0
	global_store_short v[2:3], v1, off
	s_or_b64 exec, exec, s[0:1]
	v_cmp_gt_i32_e32 vcc, s6, v0
	s_and_saveexec_b64 s[0:1], vcc
	s_cbranch_execz .LBB33_22
.LBB33_31:
	v_add_u32_e32 v2, s2, v0
	v_mov_b32_e32 v3, 0
	v_lshlrev_b64 v[2:3], 1, v[2:3]
	v_or_b32_e32 v1, v7, v9
	v_mov_b32_e32 v7, s9
	v_add_co_u32_e32 v2, vcc, s8, v2
	v_addc_co_u32_e32 v3, vcc, v7, v3, vcc
	v_add_u32_e32 v0, 0x100, v0
	global_store_short v[2:3], v1, off
	s_or_b64 exec, exec, s[0:1]
	v_cmp_gt_i32_e32 vcc, s6, v0
	s_and_saveexec_b64 s[0:1], vcc
	s_cbranch_execz .LBB33_23
.LBB33_32:
	v_add_u32_e32 v2, s2, v0
	v_mov_b32_e32 v3, 0
	v_lshlrev_b64 v[2:3], 1, v[2:3]
	v_or_b32_e32 v1, v4, v9
	v_mov_b32_e32 v4, s9
	v_add_co_u32_e32 v2, vcc, s8, v2
	v_addc_co_u32_e32 v3, vcc, v4, v3, vcc
	v_add_u32_e32 v0, 0x100, v0
	global_store_short v[2:3], v1, off
	s_or_b64 exec, exec, s[0:1]
	v_cmp_gt_i32_e32 vcc, s6, v0
	s_and_saveexec_b64 s[0:1], vcc
	s_cbranch_execz .LBB33_24
.LBB33_33:
	v_add_u32_e32 v2, s2, v0
	v_mov_b32_e32 v3, 0
	v_lshlrev_b64 v[2:3], 1, v[2:3]
	v_mov_b32_e32 v4, s9
	v_add_co_u32_e32 v2, vcc, s8, v2
	v_or_b32_e32 v1, v8, v9
	v_addc_co_u32_e32 v3, vcc, v4, v3, vcc
	v_add_u32_e32 v0, 0x100, v0
	global_store_short v[2:3], v1, off
	s_or_b64 exec, exec, s[0:1]
	v_cmp_gt_i32_e32 vcc, s6, v0
	s_and_saveexec_b64 s[0:1], vcc
	s_cbranch_execz .LBB33_25
.LBB33_34:
	v_add_u32_e32 v2, s2, v0
	v_mov_b32_e32 v3, 0
	v_lshlrev_b64 v[2:3], 1, v[2:3]
	v_mov_b32_e32 v4, s9
	v_add_co_u32_e32 v2, vcc, s8, v2
	v_or_b32_e32 v1, v5, v9
	v_addc_co_u32_e32 v3, vcc, v4, v3, vcc
	v_add_u32_e32 v0, 0x100, v0
	global_store_short v[2:3], v1, off
	s_or_b64 exec, exec, s[0:1]
	v_cmp_gt_i32_e32 vcc, s6, v0
	s_and_saveexec_b64 s[0:1], vcc
	s_cbranch_execz .LBB33_26
.LBB33_35:
	v_add_u32_e32 v2, s2, v0
	v_mov_b32_e32 v3, 0
	v_lshlrev_b64 v[2:3], 1, v[2:3]
	v_mov_b32_e32 v4, s9
	v_add_co_u32_e32 v2, vcc, s8, v2
	v_or_b32_e32 v1, v10, v9
	v_addc_co_u32_e32 v3, vcc, v4, v3, vcc
	v_add_u32_e32 v0, 0x100, v0
	global_store_short v[2:3], v1, off
	s_or_b64 exec, exec, s[0:1]
	v_cmp_gt_i32_e32 vcc, s6, v0
	s_and_saveexec_b64 s[0:1], vcc
	s_cbranch_execnz .LBB33_27
	s_branch .LBB33_28
	.section	.rodata,"a",@progbits
	.p2align	6, 0x0
	.amdhsa_kernel _ZN2at6native29vectorized_elementwise_kernelILi8ENS0_13BUnaryFunctorIN3c108BFloat16ES4_S4_ZNS0_20copysign_kernel_cudaERNS_18TensorIteratorBaseEEUlS4_S4_E_EESt5arrayIPcLm2EEEEviT0_T1_
		.amdhsa_group_segment_fixed_size 0
		.amdhsa_private_segment_fixed_size 0
		.amdhsa_kernarg_size 24
		.amdhsa_user_sgpr_count 6
		.amdhsa_user_sgpr_private_segment_buffer 1
		.amdhsa_user_sgpr_dispatch_ptr 0
		.amdhsa_user_sgpr_queue_ptr 0
		.amdhsa_user_sgpr_kernarg_segment_ptr 1
		.amdhsa_user_sgpr_dispatch_id 0
		.amdhsa_user_sgpr_flat_scratch_init 0
		.amdhsa_user_sgpr_kernarg_preload_length 0
		.amdhsa_user_sgpr_kernarg_preload_offset 0
		.amdhsa_user_sgpr_private_segment_size 0
		.amdhsa_uses_dynamic_stack 0
		.amdhsa_system_sgpr_private_segment_wavefront_offset 0
		.amdhsa_system_sgpr_workgroup_id_x 1
		.amdhsa_system_sgpr_workgroup_id_y 0
		.amdhsa_system_sgpr_workgroup_id_z 0
		.amdhsa_system_sgpr_workgroup_info 0
		.amdhsa_system_vgpr_workitem_id 0
		.amdhsa_next_free_vgpr 14
		.amdhsa_next_free_sgpr 12
		.amdhsa_accum_offset 16
		.amdhsa_reserve_vcc 1
		.amdhsa_reserve_flat_scratch 0
		.amdhsa_float_round_mode_32 0
		.amdhsa_float_round_mode_16_64 0
		.amdhsa_float_denorm_mode_32 3
		.amdhsa_float_denorm_mode_16_64 3
		.amdhsa_dx10_clamp 1
		.amdhsa_ieee_mode 1
		.amdhsa_fp16_overflow 0
		.amdhsa_tg_split 0
		.amdhsa_exception_fp_ieee_invalid_op 0
		.amdhsa_exception_fp_denorm_src 0
		.amdhsa_exception_fp_ieee_div_zero 0
		.amdhsa_exception_fp_ieee_overflow 0
		.amdhsa_exception_fp_ieee_underflow 0
		.amdhsa_exception_fp_ieee_inexact 0
		.amdhsa_exception_int_div_zero 0
	.end_amdhsa_kernel
	.section	.text._ZN2at6native29vectorized_elementwise_kernelILi8ENS0_13BUnaryFunctorIN3c108BFloat16ES4_S4_ZNS0_20copysign_kernel_cudaERNS_18TensorIteratorBaseEEUlS4_S4_E_EESt5arrayIPcLm2EEEEviT0_T1_,"axG",@progbits,_ZN2at6native29vectorized_elementwise_kernelILi8ENS0_13BUnaryFunctorIN3c108BFloat16ES4_S4_ZNS0_20copysign_kernel_cudaERNS_18TensorIteratorBaseEEUlS4_S4_E_EESt5arrayIPcLm2EEEEviT0_T1_,comdat
.Lfunc_end33:
	.size	_ZN2at6native29vectorized_elementwise_kernelILi8ENS0_13BUnaryFunctorIN3c108BFloat16ES4_S4_ZNS0_20copysign_kernel_cudaERNS_18TensorIteratorBaseEEUlS4_S4_E_EESt5arrayIPcLm2EEEEviT0_T1_, .Lfunc_end33-_ZN2at6native29vectorized_elementwise_kernelILi8ENS0_13BUnaryFunctorIN3c108BFloat16ES4_S4_ZNS0_20copysign_kernel_cudaERNS_18TensorIteratorBaseEEUlS4_S4_E_EESt5arrayIPcLm2EEEEviT0_T1_
                                        ; -- End function
	.section	.AMDGPU.csdata,"",@progbits
; Kernel info:
; codeLenInByte = 1576
; NumSgprs: 16
; NumVgprs: 14
; NumAgprs: 0
; TotalNumVgprs: 14
; ScratchSize: 0
; MemoryBound: 0
; FloatMode: 240
; IeeeMode: 1
; LDSByteSize: 0 bytes/workgroup (compile time only)
; SGPRBlocks: 1
; VGPRBlocks: 1
; NumSGPRsForWavesPerEU: 16
; NumVGPRsForWavesPerEU: 14
; AccumOffset: 16
; Occupancy: 8
; WaveLimiterHint : 0
; COMPUTE_PGM_RSRC2:SCRATCH_EN: 0
; COMPUTE_PGM_RSRC2:USER_SGPR: 6
; COMPUTE_PGM_RSRC2:TRAP_HANDLER: 0
; COMPUTE_PGM_RSRC2:TGID_X_EN: 1
; COMPUTE_PGM_RSRC2:TGID_Y_EN: 0
; COMPUTE_PGM_RSRC2:TGID_Z_EN: 0
; COMPUTE_PGM_RSRC2:TIDIG_COMP_CNT: 0
; COMPUTE_PGM_RSRC3_GFX90A:ACCUM_OFFSET: 3
; COMPUTE_PGM_RSRC3_GFX90A:TG_SPLIT: 0
	.section	.text._ZN2at6native29vectorized_elementwise_kernelILi4ENS0_13BUnaryFunctorIN3c108BFloat16ES4_S4_ZNS0_20copysign_kernel_cudaERNS_18TensorIteratorBaseEEUlS4_S4_E_EESt5arrayIPcLm2EEEEviT0_T1_,"axG",@progbits,_ZN2at6native29vectorized_elementwise_kernelILi4ENS0_13BUnaryFunctorIN3c108BFloat16ES4_S4_ZNS0_20copysign_kernel_cudaERNS_18TensorIteratorBaseEEUlS4_S4_E_EESt5arrayIPcLm2EEEEviT0_T1_,comdat
	.globl	_ZN2at6native29vectorized_elementwise_kernelILi4ENS0_13BUnaryFunctorIN3c108BFloat16ES4_S4_ZNS0_20copysign_kernel_cudaERNS_18TensorIteratorBaseEEUlS4_S4_E_EESt5arrayIPcLm2EEEEviT0_T1_ ; -- Begin function _ZN2at6native29vectorized_elementwise_kernelILi4ENS0_13BUnaryFunctorIN3c108BFloat16ES4_S4_ZNS0_20copysign_kernel_cudaERNS_18TensorIteratorBaseEEUlS4_S4_E_EESt5arrayIPcLm2EEEEviT0_T1_
	.p2align	8
	.type	_ZN2at6native29vectorized_elementwise_kernelILi4ENS0_13BUnaryFunctorIN3c108BFloat16ES4_S4_ZNS0_20copysign_kernel_cudaERNS_18TensorIteratorBaseEEUlS4_S4_E_EESt5arrayIPcLm2EEEEviT0_T1_,@function
_ZN2at6native29vectorized_elementwise_kernelILi4ENS0_13BUnaryFunctorIN3c108BFloat16ES4_S4_ZNS0_20copysign_kernel_cudaERNS_18TensorIteratorBaseEEUlS4_S4_E_EESt5arrayIPcLm2EEEEviT0_T1_: ; @_ZN2at6native29vectorized_elementwise_kernelILi4ENS0_13BUnaryFunctorIN3c108BFloat16ES4_S4_ZNS0_20copysign_kernel_cudaERNS_18TensorIteratorBaseEEUlS4_S4_E_EESt5arrayIPcLm2EEEEviT0_T1_
; %bb.0:
	s_load_dwordx2 s[0:1], s[4:5], 0x0
	s_load_dwordx4 s[8:11], s[4:5], 0x8
	s_lshl_b32 s2, s6, 11
	s_waitcnt lgkmcnt(0)
	s_sub_i32 s6, s0, s2
	s_lshr_b32 s7, s1, 16
	s_cmpk_gt_i32 s6, 0x7ff
	s_mov_b64 s[0:1], -1
	s_cbranch_scc0 .LBB34_2
; %bb.1:
	s_ashr_i32 s3, s2, 31
	s_lshl_b64 s[0:1], s[2:3], 1
	s_add_u32 s4, s10, s0
	s_addc_u32 s5, s11, s1
	v_lshlrev_b32_e32 v1, 3, v0
	global_load_dwordx2 v[2:3], v1, s[4:5]
	global_load_dwordx2 v[4:5], v1, s[4:5] offset:2048
	v_mov_b32_e32 v6, 0xffff8000
	s_movk_i32 s3, 0x7fff
	v_and_b32_e32 v6, s7, v6
	s_add_u32 s0, s8, s0
	s_addc_u32 s1, s9, s1
	s_waitcnt vmcnt(1)
	v_and_b32_e32 v7, 0x7fff, v2
	v_and_b32_sdwa v2, v2, s3 dst_sel:DWORD dst_unused:UNUSED_PAD src0_sel:WORD_1 src1_sel:DWORD
	v_and_b32_e32 v8, 0x7fff, v3
	s_waitcnt vmcnt(0)
	v_and_b32_e32 v9, 0x7fff, v4
	v_or_b32_e32 v7, v7, v6
	v_and_b32_sdwa v3, v3, s3 dst_sel:DWORD dst_unused:UNUSED_PAD src0_sel:WORD_1 src1_sel:DWORD
	v_and_b32_sdwa v4, v4, s3 dst_sel:DWORD dst_unused:UNUSED_PAD src0_sel:WORD_1 src1_sel:DWORD
	v_and_b32_e32 v10, 0x7fff, v5
	v_and_b32_sdwa v5, v5, s3 dst_sel:DWORD dst_unused:UNUSED_PAD src0_sel:WORD_1 src1_sel:DWORD
	v_or_b32_sdwa v2, v2, v6 dst_sel:WORD_1 dst_unused:UNUSED_PAD src0_sel:DWORD src1_sel:DWORD
	v_or_b32_e32 v8, v8, v6
	v_or_b32_e32 v9, v9, v6
	v_and_b32_e32 v7, 0xffff, v7
	v_or_b32_sdwa v3, v3, v6 dst_sel:WORD_1 dst_unused:UNUSED_PAD src0_sel:DWORD src1_sel:DWORD
	v_or_b32_sdwa v4, v4, v6 dst_sel:WORD_1 dst_unused:UNUSED_PAD src0_sel:DWORD src1_sel:DWORD
	v_or_b32_e32 v10, v10, v6
	v_or_b32_sdwa v5, v5, v6 dst_sel:WORD_1 dst_unused:UNUSED_PAD src0_sel:DWORD src1_sel:DWORD
	v_and_b32_e32 v6, 0xffff, v8
	v_and_b32_e32 v9, 0xffff, v9
	v_or_b32_e32 v2, v2, v7
	v_and_b32_e32 v8, 0xffff, v10
	v_or3_b32 v3, 0, v6, v3
	v_or_b32_e32 v4, v4, v9
	v_or3_b32 v2, v2, 0, 0
	v_or3_b32 v5, 0, v8, v5
	;; [unrolled: 1-line block ×3, first 2 shown]
	global_store_dwordx2 v1, v[2:3], s[0:1]
	global_store_dwordx2 v1, v[4:5], s[0:1] offset:2048
	s_mov_b64 s[0:1], 0
.LBB34_2:
	s_andn2_b64 vcc, exec, s[0:1]
	s_cbranch_vccnz .LBB34_28
; %bb.3:
	v_cmp_gt_i32_e32 vcc, s6, v0
	v_mov_b32_e32 v1, 0
	v_or_b32_e32 v2, s2, v0
	v_mov_b32_e32 v3, 0
	v_mov_b32_e32 v9, v0
	s_and_saveexec_b64 s[4:5], vcc
	s_cbranch_execz .LBB34_5
; %bb.4:
	v_mov_b32_e32 v3, 0
	v_lshlrev_b64 v[4:5], 1, v[2:3]
	v_mov_b32_e32 v3, s11
	v_add_co_u32_e64 v4, s[0:1], s10, v4
	v_addc_co_u32_e64 v5, s[0:1], v3, v5, s[0:1]
	global_load_ushort v3, v[4:5], off
	v_or_b32_e32 v9, 0x100, v0
	s_waitcnt vmcnt(0)
	v_and_b32_e32 v3, 0x7fff, v3
.LBB34_5:
	s_or_b64 exec, exec, s[4:5]
	v_cmp_gt_i32_e64 s[0:1], s6, v9
	s_and_saveexec_b64 s[4:5], s[0:1]
	s_cbranch_execz .LBB34_7
; %bb.6:
	v_add_u32_e32 v4, s2, v9
	v_mov_b32_e32 v5, 0
	v_lshlrev_b64 v[4:5], 1, v[4:5]
	v_mov_b32_e32 v1, s11
	v_add_co_u32_e64 v4, s[0:1], s10, v4
	v_addc_co_u32_e64 v5, s[0:1], v1, v5, s[0:1]
	global_load_ushort v1, v[4:5], off
	v_add_u32_e32 v9, 0x100, v9
	s_waitcnt vmcnt(0)
	v_and_b32_e32 v1, 0x7fff, v1
.LBB34_7:
	s_or_b64 exec, exec, s[4:5]
	v_cmp_gt_i32_e64 s[0:1], s6, v9
	v_mov_b32_e32 v4, 0
	v_mov_b32_e32 v7, 0
	s_and_saveexec_b64 s[4:5], s[0:1]
	s_cbranch_execz .LBB34_9
; %bb.8:
	v_add_u32_e32 v6, s2, v9
	v_mov_b32_e32 v7, 0
	v_lshlrev_b64 v[6:7], 1, v[6:7]
	v_mov_b32_e32 v5, s11
	v_add_co_u32_e64 v6, s[0:1], s10, v6
	v_addc_co_u32_e64 v7, s[0:1], v5, v7, s[0:1]
	global_load_ushort v5, v[6:7], off
	v_add_u32_e32 v9, 0x100, v9
	s_waitcnt vmcnt(0)
	v_and_b32_e32 v7, 0x7fff, v5
.LBB34_9:
	s_or_b64 exec, exec, s[4:5]
	v_cmp_gt_i32_e64 s[0:1], s6, v9
	s_and_saveexec_b64 s[4:5], s[0:1]
	s_cbranch_execz .LBB34_11
; %bb.10:
	v_add_u32_e32 v4, s2, v9
	v_mov_b32_e32 v5, 0
	v_lshlrev_b64 v[4:5], 1, v[4:5]
	v_mov_b32_e32 v6, s11
	v_add_co_u32_e64 v4, s[0:1], s10, v4
	v_addc_co_u32_e64 v5, s[0:1], v6, v5, s[0:1]
	global_load_ushort v4, v[4:5], off
	v_add_u32_e32 v9, 0x100, v9
	s_waitcnt vmcnt(0)
	v_and_b32_e32 v4, 0x7fff, v4
.LBB34_11:
	s_or_b64 exec, exec, s[4:5]
	v_cmp_gt_i32_e64 s[0:1], s6, v9
	v_mov_b32_e32 v5, 0
	v_mov_b32_e32 v8, 0
	s_and_saveexec_b64 s[4:5], s[0:1]
	s_cbranch_execz .LBB34_13
; %bb.12:
	v_add_u32_e32 v10, s2, v9
	v_mov_b32_e32 v11, 0
	v_lshlrev_b64 v[10:11], 1, v[10:11]
	v_mov_b32_e32 v6, s11
	v_add_co_u32_e64 v10, s[0:1], s10, v10
	v_addc_co_u32_e64 v11, s[0:1], v6, v11, s[0:1]
	global_load_ushort v6, v[10:11], off
	v_add_u32_e32 v9, 0x100, v9
	s_waitcnt vmcnt(0)
	v_and_b32_e32 v8, 0x7fff, v6
.LBB34_13:
	;; [unrolled: 34-line block ×3, first 2 shown]
	s_or_b64 exec, exec, s[4:5]
	v_cmp_gt_i32_e64 s[0:1], s6, v9
	s_and_saveexec_b64 s[4:5], s[0:1]
	s_cbranch_execz .LBB34_19
; %bb.18:
	v_add_u32_e32 v12, s2, v9
	v_mov_b32_e32 v13, 0
	v_lshlrev_b64 v[12:13], 1, v[12:13]
	v_mov_b32_e32 v6, s11
	v_add_co_u32_e64 v12, s[0:1], s10, v12
	v_addc_co_u32_e64 v13, s[0:1], v6, v13, s[0:1]
	global_load_ushort v6, v[12:13], off
	s_waitcnt vmcnt(0)
	v_and_b32_e32 v6, 0x7fff, v6
.LBB34_19:
	s_or_b64 exec, exec, s[4:5]
	v_mov_b32_e32 v9, 0xffff8000
	v_and_b32_e32 v9, s7, v9
	s_and_saveexec_b64 s[0:1], vcc
	s_cbranch_execnz .LBB34_29
; %bb.20:
	s_or_b64 exec, exec, s[0:1]
	v_cmp_gt_i32_e32 vcc, s6, v0
	s_and_saveexec_b64 s[0:1], vcc
	s_cbranch_execnz .LBB34_30
.LBB34_21:
	s_or_b64 exec, exec, s[0:1]
	v_cmp_gt_i32_e32 vcc, s6, v0
	s_and_saveexec_b64 s[0:1], vcc
	s_cbranch_execnz .LBB34_31
.LBB34_22:
	s_or_b64 exec, exec, s[0:1]
	v_cmp_gt_i32_e32 vcc, s6, v0
	s_and_saveexec_b64 s[0:1], vcc
	s_cbranch_execnz .LBB34_32
.LBB34_23:
	s_or_b64 exec, exec, s[0:1]
	v_cmp_gt_i32_e32 vcc, s6, v0
	s_and_saveexec_b64 s[0:1], vcc
	s_cbranch_execnz .LBB34_33
.LBB34_24:
	s_or_b64 exec, exec, s[0:1]
	v_cmp_gt_i32_e32 vcc, s6, v0
	s_and_saveexec_b64 s[0:1], vcc
	s_cbranch_execnz .LBB34_34
.LBB34_25:
	s_or_b64 exec, exec, s[0:1]
	v_cmp_gt_i32_e32 vcc, s6, v0
	s_and_saveexec_b64 s[0:1], vcc
	s_cbranch_execnz .LBB34_35
.LBB34_26:
	s_or_b64 exec, exec, s[0:1]
	v_cmp_gt_i32_e32 vcc, s6, v0
	s_and_saveexec_b64 s[0:1], vcc
	s_cbranch_execz .LBB34_28
.LBB34_27:
	v_add_u32_e32 v0, s2, v0
	v_mov_b32_e32 v1, 0
	v_lshlrev_b64 v[0:1], 1, v[0:1]
	v_mov_b32_e32 v3, s9
	v_add_co_u32_e32 v0, vcc, s8, v0
	v_or_b32_e32 v2, v6, v9
	v_addc_co_u32_e32 v1, vcc, v3, v1, vcc
	global_store_short v[0:1], v2, off
.LBB34_28:
	s_endpgm
.LBB34_29:
	v_or_b32_e32 v11, v3, v9
	v_mov_b32_e32 v3, 0
	v_lshlrev_b64 v[2:3], 1, v[2:3]
	v_mov_b32_e32 v12, s9
	v_add_co_u32_e32 v2, vcc, s8, v2
	v_or_b32_e32 v0, 0x100, v0
	v_addc_co_u32_e32 v3, vcc, v12, v3, vcc
	global_store_short v[2:3], v11, off
	s_or_b64 exec, exec, s[0:1]
	v_cmp_gt_i32_e32 vcc, s6, v0
	s_and_saveexec_b64 s[0:1], vcc
	s_cbranch_execz .LBB34_21
.LBB34_30:
	v_add_u32_e32 v2, s2, v0
	v_mov_b32_e32 v3, 0
	v_lshlrev_b64 v[2:3], 1, v[2:3]
	v_mov_b32_e32 v11, s9
	v_add_co_u32_e32 v2, vcc, s8, v2
	v_or_b32_e32 v1, v1, v9
	v_addc_co_u32_e32 v3, vcc, v11, v3, vcc
	v_add_u32_e32 v0, 0x100, v0
	global_store_short v[2:3], v1, off
	s_or_b64 exec, exec, s[0:1]
	v_cmp_gt_i32_e32 vcc, s6, v0
	s_and_saveexec_b64 s[0:1], vcc
	s_cbranch_execz .LBB34_22
.LBB34_31:
	v_add_u32_e32 v2, s2, v0
	v_mov_b32_e32 v3, 0
	v_lshlrev_b64 v[2:3], 1, v[2:3]
	v_or_b32_e32 v1, v7, v9
	v_mov_b32_e32 v7, s9
	v_add_co_u32_e32 v2, vcc, s8, v2
	v_addc_co_u32_e32 v3, vcc, v7, v3, vcc
	v_add_u32_e32 v0, 0x100, v0
	global_store_short v[2:3], v1, off
	s_or_b64 exec, exec, s[0:1]
	v_cmp_gt_i32_e32 vcc, s6, v0
	s_and_saveexec_b64 s[0:1], vcc
	s_cbranch_execz .LBB34_23
.LBB34_32:
	v_add_u32_e32 v2, s2, v0
	v_mov_b32_e32 v3, 0
	v_lshlrev_b64 v[2:3], 1, v[2:3]
	v_or_b32_e32 v1, v4, v9
	v_mov_b32_e32 v4, s9
	v_add_co_u32_e32 v2, vcc, s8, v2
	v_addc_co_u32_e32 v3, vcc, v4, v3, vcc
	v_add_u32_e32 v0, 0x100, v0
	global_store_short v[2:3], v1, off
	s_or_b64 exec, exec, s[0:1]
	v_cmp_gt_i32_e32 vcc, s6, v0
	s_and_saveexec_b64 s[0:1], vcc
	s_cbranch_execz .LBB34_24
.LBB34_33:
	v_add_u32_e32 v2, s2, v0
	v_mov_b32_e32 v3, 0
	v_lshlrev_b64 v[2:3], 1, v[2:3]
	v_mov_b32_e32 v4, s9
	v_add_co_u32_e32 v2, vcc, s8, v2
	v_or_b32_e32 v1, v8, v9
	v_addc_co_u32_e32 v3, vcc, v4, v3, vcc
	v_add_u32_e32 v0, 0x100, v0
	global_store_short v[2:3], v1, off
	s_or_b64 exec, exec, s[0:1]
	v_cmp_gt_i32_e32 vcc, s6, v0
	s_and_saveexec_b64 s[0:1], vcc
	s_cbranch_execz .LBB34_25
.LBB34_34:
	v_add_u32_e32 v2, s2, v0
	v_mov_b32_e32 v3, 0
	v_lshlrev_b64 v[2:3], 1, v[2:3]
	v_mov_b32_e32 v4, s9
	v_add_co_u32_e32 v2, vcc, s8, v2
	v_or_b32_e32 v1, v5, v9
	v_addc_co_u32_e32 v3, vcc, v4, v3, vcc
	v_add_u32_e32 v0, 0x100, v0
	global_store_short v[2:3], v1, off
	s_or_b64 exec, exec, s[0:1]
	v_cmp_gt_i32_e32 vcc, s6, v0
	s_and_saveexec_b64 s[0:1], vcc
	s_cbranch_execz .LBB34_26
.LBB34_35:
	v_add_u32_e32 v2, s2, v0
	v_mov_b32_e32 v3, 0
	v_lshlrev_b64 v[2:3], 1, v[2:3]
	v_mov_b32_e32 v4, s9
	v_add_co_u32_e32 v2, vcc, s8, v2
	v_or_b32_e32 v1, v10, v9
	v_addc_co_u32_e32 v3, vcc, v4, v3, vcc
	v_add_u32_e32 v0, 0x100, v0
	global_store_short v[2:3], v1, off
	s_or_b64 exec, exec, s[0:1]
	v_cmp_gt_i32_e32 vcc, s6, v0
	s_and_saveexec_b64 s[0:1], vcc
	s_cbranch_execnz .LBB34_27
	s_branch .LBB34_28
	.section	.rodata,"a",@progbits
	.p2align	6, 0x0
	.amdhsa_kernel _ZN2at6native29vectorized_elementwise_kernelILi4ENS0_13BUnaryFunctorIN3c108BFloat16ES4_S4_ZNS0_20copysign_kernel_cudaERNS_18TensorIteratorBaseEEUlS4_S4_E_EESt5arrayIPcLm2EEEEviT0_T1_
		.amdhsa_group_segment_fixed_size 0
		.amdhsa_private_segment_fixed_size 0
		.amdhsa_kernarg_size 24
		.amdhsa_user_sgpr_count 6
		.amdhsa_user_sgpr_private_segment_buffer 1
		.amdhsa_user_sgpr_dispatch_ptr 0
		.amdhsa_user_sgpr_queue_ptr 0
		.amdhsa_user_sgpr_kernarg_segment_ptr 1
		.amdhsa_user_sgpr_dispatch_id 0
		.amdhsa_user_sgpr_flat_scratch_init 0
		.amdhsa_user_sgpr_kernarg_preload_length 0
		.amdhsa_user_sgpr_kernarg_preload_offset 0
		.amdhsa_user_sgpr_private_segment_size 0
		.amdhsa_uses_dynamic_stack 0
		.amdhsa_system_sgpr_private_segment_wavefront_offset 0
		.amdhsa_system_sgpr_workgroup_id_x 1
		.amdhsa_system_sgpr_workgroup_id_y 0
		.amdhsa_system_sgpr_workgroup_id_z 0
		.amdhsa_system_sgpr_workgroup_info 0
		.amdhsa_system_vgpr_workitem_id 0
		.amdhsa_next_free_vgpr 14
		.amdhsa_next_free_sgpr 12
		.amdhsa_accum_offset 16
		.amdhsa_reserve_vcc 1
		.amdhsa_reserve_flat_scratch 0
		.amdhsa_float_round_mode_32 0
		.amdhsa_float_round_mode_16_64 0
		.amdhsa_float_denorm_mode_32 3
		.amdhsa_float_denorm_mode_16_64 3
		.amdhsa_dx10_clamp 1
		.amdhsa_ieee_mode 1
		.amdhsa_fp16_overflow 0
		.amdhsa_tg_split 0
		.amdhsa_exception_fp_ieee_invalid_op 0
		.amdhsa_exception_fp_denorm_src 0
		.amdhsa_exception_fp_ieee_div_zero 0
		.amdhsa_exception_fp_ieee_overflow 0
		.amdhsa_exception_fp_ieee_underflow 0
		.amdhsa_exception_fp_ieee_inexact 0
		.amdhsa_exception_int_div_zero 0
	.end_amdhsa_kernel
	.section	.text._ZN2at6native29vectorized_elementwise_kernelILi4ENS0_13BUnaryFunctorIN3c108BFloat16ES4_S4_ZNS0_20copysign_kernel_cudaERNS_18TensorIteratorBaseEEUlS4_S4_E_EESt5arrayIPcLm2EEEEviT0_T1_,"axG",@progbits,_ZN2at6native29vectorized_elementwise_kernelILi4ENS0_13BUnaryFunctorIN3c108BFloat16ES4_S4_ZNS0_20copysign_kernel_cudaERNS_18TensorIteratorBaseEEUlS4_S4_E_EESt5arrayIPcLm2EEEEviT0_T1_,comdat
.Lfunc_end34:
	.size	_ZN2at6native29vectorized_elementwise_kernelILi4ENS0_13BUnaryFunctorIN3c108BFloat16ES4_S4_ZNS0_20copysign_kernel_cudaERNS_18TensorIteratorBaseEEUlS4_S4_E_EESt5arrayIPcLm2EEEEviT0_T1_, .Lfunc_end34-_ZN2at6native29vectorized_elementwise_kernelILi4ENS0_13BUnaryFunctorIN3c108BFloat16ES4_S4_ZNS0_20copysign_kernel_cudaERNS_18TensorIteratorBaseEEUlS4_S4_E_EESt5arrayIPcLm2EEEEviT0_T1_
                                        ; -- End function
	.section	.AMDGPU.csdata,"",@progbits
; Kernel info:
; codeLenInByte = 1644
; NumSgprs: 16
; NumVgprs: 14
; NumAgprs: 0
; TotalNumVgprs: 14
; ScratchSize: 0
; MemoryBound: 0
; FloatMode: 240
; IeeeMode: 1
; LDSByteSize: 0 bytes/workgroup (compile time only)
; SGPRBlocks: 1
; VGPRBlocks: 1
; NumSGPRsForWavesPerEU: 16
; NumVGPRsForWavesPerEU: 14
; AccumOffset: 16
; Occupancy: 8
; WaveLimiterHint : 1
; COMPUTE_PGM_RSRC2:SCRATCH_EN: 0
; COMPUTE_PGM_RSRC2:USER_SGPR: 6
; COMPUTE_PGM_RSRC2:TRAP_HANDLER: 0
; COMPUTE_PGM_RSRC2:TGID_X_EN: 1
; COMPUTE_PGM_RSRC2:TGID_Y_EN: 0
; COMPUTE_PGM_RSRC2:TGID_Z_EN: 0
; COMPUTE_PGM_RSRC2:TIDIG_COMP_CNT: 0
; COMPUTE_PGM_RSRC3_GFX90A:ACCUM_OFFSET: 3
; COMPUTE_PGM_RSRC3_GFX90A:TG_SPLIT: 0
	.section	.text._ZN2at6native29vectorized_elementwise_kernelILi2ENS0_13BUnaryFunctorIN3c108BFloat16ES4_S4_ZNS0_20copysign_kernel_cudaERNS_18TensorIteratorBaseEEUlS4_S4_E_EESt5arrayIPcLm2EEEEviT0_T1_,"axG",@progbits,_ZN2at6native29vectorized_elementwise_kernelILi2ENS0_13BUnaryFunctorIN3c108BFloat16ES4_S4_ZNS0_20copysign_kernel_cudaERNS_18TensorIteratorBaseEEUlS4_S4_E_EESt5arrayIPcLm2EEEEviT0_T1_,comdat
	.globl	_ZN2at6native29vectorized_elementwise_kernelILi2ENS0_13BUnaryFunctorIN3c108BFloat16ES4_S4_ZNS0_20copysign_kernel_cudaERNS_18TensorIteratorBaseEEUlS4_S4_E_EESt5arrayIPcLm2EEEEviT0_T1_ ; -- Begin function _ZN2at6native29vectorized_elementwise_kernelILi2ENS0_13BUnaryFunctorIN3c108BFloat16ES4_S4_ZNS0_20copysign_kernel_cudaERNS_18TensorIteratorBaseEEUlS4_S4_E_EESt5arrayIPcLm2EEEEviT0_T1_
	.p2align	8
	.type	_ZN2at6native29vectorized_elementwise_kernelILi2ENS0_13BUnaryFunctorIN3c108BFloat16ES4_S4_ZNS0_20copysign_kernel_cudaERNS_18TensorIteratorBaseEEUlS4_S4_E_EESt5arrayIPcLm2EEEEviT0_T1_,@function
_ZN2at6native29vectorized_elementwise_kernelILi2ENS0_13BUnaryFunctorIN3c108BFloat16ES4_S4_ZNS0_20copysign_kernel_cudaERNS_18TensorIteratorBaseEEUlS4_S4_E_EESt5arrayIPcLm2EEEEviT0_T1_: ; @_ZN2at6native29vectorized_elementwise_kernelILi2ENS0_13BUnaryFunctorIN3c108BFloat16ES4_S4_ZNS0_20copysign_kernel_cudaERNS_18TensorIteratorBaseEEUlS4_S4_E_EESt5arrayIPcLm2EEEEviT0_T1_
; %bb.0:
	s_load_dwordx2 s[0:1], s[4:5], 0x0
	s_load_dwordx4 s[8:11], s[4:5], 0x8
	s_lshl_b32 s2, s6, 11
	s_waitcnt lgkmcnt(0)
	s_sub_i32 s6, s0, s2
	s_lshr_b32 s7, s1, 16
	s_cmpk_gt_i32 s6, 0x7ff
	s_mov_b64 s[0:1], -1
	s_cbranch_scc0 .LBB35_2
; %bb.1:
	s_ashr_i32 s3, s2, 31
	s_lshl_b64 s[0:1], s[2:3], 1
	s_add_u32 s4, s10, s0
	s_addc_u32 s5, s11, s1
	v_lshlrev_b32_e32 v1, 2, v0
	global_load_dword v2, v1, s[4:5]
	global_load_dword v3, v1, s[4:5] offset:1024
	global_load_dword v4, v1, s[4:5] offset:2048
	;; [unrolled: 1-line block ×3, first 2 shown]
	v_mov_b32_e32 v6, 0xffff8000
	s_movk_i32 s3, 0x7fff
	v_and_b32_e32 v6, s7, v6
	s_add_u32 s0, s8, s0
	s_addc_u32 s1, s9, s1
	s_waitcnt vmcnt(3)
	v_and_b32_e32 v7, 0x7fff, v2
	v_and_b32_sdwa v2, v2, s3 dst_sel:DWORD dst_unused:UNUSED_PAD src0_sel:WORD_1 src1_sel:DWORD
	s_waitcnt vmcnt(2)
	v_and_b32_e32 v8, 0x7fff, v3
	v_and_b32_sdwa v3, v3, s3 dst_sel:DWORD dst_unused:UNUSED_PAD src0_sel:WORD_1 src1_sel:DWORD
	;; [unrolled: 3-line block ×4, first 2 shown]
	v_or_b32_e32 v7, v7, v6
	v_or_b32_sdwa v2, v2, v6 dst_sel:WORD_1 dst_unused:UNUSED_PAD src0_sel:DWORD src1_sel:DWORD
	v_or_b32_e32 v8, v8, v6
	v_or_b32_sdwa v3, v3, v6 dst_sel:WORD_1 dst_unused:UNUSED_PAD src0_sel:DWORD src1_sel:DWORD
	;; [unrolled: 2-line block ×4, first 2 shown]
	v_or_b32_sdwa v2, v2, v7 dst_sel:DWORD dst_unused:UNUSED_PAD src0_sel:DWORD src1_sel:WORD_0
	v_or_b32_sdwa v3, v3, v8 dst_sel:DWORD dst_unused:UNUSED_PAD src0_sel:DWORD src1_sel:WORD_0
	;; [unrolled: 1-line block ×4, first 2 shown]
	global_store_dword v1, v2, s[0:1]
	global_store_dword v1, v3, s[0:1] offset:1024
	global_store_dword v1, v4, s[0:1] offset:2048
	;; [unrolled: 1-line block ×3, first 2 shown]
	s_mov_b64 s[0:1], 0
.LBB35_2:
	s_andn2_b64 vcc, exec, s[0:1]
	s_cbranch_vccnz .LBB35_28
; %bb.3:
	v_cmp_gt_i32_e32 vcc, s6, v0
	v_mov_b32_e32 v1, 0
	v_or_b32_e32 v2, s2, v0
	v_mov_b32_e32 v3, 0
	v_mov_b32_e32 v9, v0
	s_and_saveexec_b64 s[4:5], vcc
	s_cbranch_execz .LBB35_5
; %bb.4:
	v_mov_b32_e32 v3, 0
	v_lshlrev_b64 v[4:5], 1, v[2:3]
	v_mov_b32_e32 v3, s11
	v_add_co_u32_e64 v4, s[0:1], s10, v4
	v_addc_co_u32_e64 v5, s[0:1], v3, v5, s[0:1]
	global_load_ushort v3, v[4:5], off
	v_or_b32_e32 v9, 0x100, v0
	s_waitcnt vmcnt(0)
	v_and_b32_e32 v3, 0x7fff, v3
.LBB35_5:
	s_or_b64 exec, exec, s[4:5]
	v_cmp_gt_i32_e64 s[0:1], s6, v9
	s_and_saveexec_b64 s[4:5], s[0:1]
	s_cbranch_execz .LBB35_7
; %bb.6:
	v_add_u32_e32 v4, s2, v9
	v_mov_b32_e32 v5, 0
	v_lshlrev_b64 v[4:5], 1, v[4:5]
	v_mov_b32_e32 v1, s11
	v_add_co_u32_e64 v4, s[0:1], s10, v4
	v_addc_co_u32_e64 v5, s[0:1], v1, v5, s[0:1]
	global_load_ushort v1, v[4:5], off
	v_add_u32_e32 v9, 0x100, v9
	s_waitcnt vmcnt(0)
	v_and_b32_e32 v1, 0x7fff, v1
.LBB35_7:
	s_or_b64 exec, exec, s[4:5]
	v_cmp_gt_i32_e64 s[0:1], s6, v9
	v_mov_b32_e32 v4, 0
	v_mov_b32_e32 v7, 0
	s_and_saveexec_b64 s[4:5], s[0:1]
	s_cbranch_execz .LBB35_9
; %bb.8:
	v_add_u32_e32 v6, s2, v9
	v_mov_b32_e32 v7, 0
	v_lshlrev_b64 v[6:7], 1, v[6:7]
	v_mov_b32_e32 v5, s11
	v_add_co_u32_e64 v6, s[0:1], s10, v6
	v_addc_co_u32_e64 v7, s[0:1], v5, v7, s[0:1]
	global_load_ushort v5, v[6:7], off
	v_add_u32_e32 v9, 0x100, v9
	s_waitcnt vmcnt(0)
	v_and_b32_e32 v7, 0x7fff, v5
.LBB35_9:
	s_or_b64 exec, exec, s[4:5]
	v_cmp_gt_i32_e64 s[0:1], s6, v9
	s_and_saveexec_b64 s[4:5], s[0:1]
	s_cbranch_execz .LBB35_11
; %bb.10:
	v_add_u32_e32 v4, s2, v9
	v_mov_b32_e32 v5, 0
	v_lshlrev_b64 v[4:5], 1, v[4:5]
	v_mov_b32_e32 v6, s11
	v_add_co_u32_e64 v4, s[0:1], s10, v4
	v_addc_co_u32_e64 v5, s[0:1], v6, v5, s[0:1]
	global_load_ushort v4, v[4:5], off
	v_add_u32_e32 v9, 0x100, v9
	s_waitcnt vmcnt(0)
	v_and_b32_e32 v4, 0x7fff, v4
.LBB35_11:
	s_or_b64 exec, exec, s[4:5]
	v_cmp_gt_i32_e64 s[0:1], s6, v9
	v_mov_b32_e32 v5, 0
	v_mov_b32_e32 v8, 0
	s_and_saveexec_b64 s[4:5], s[0:1]
	s_cbranch_execz .LBB35_13
; %bb.12:
	v_add_u32_e32 v10, s2, v9
	v_mov_b32_e32 v11, 0
	v_lshlrev_b64 v[10:11], 1, v[10:11]
	v_mov_b32_e32 v6, s11
	v_add_co_u32_e64 v10, s[0:1], s10, v10
	v_addc_co_u32_e64 v11, s[0:1], v6, v11, s[0:1]
	global_load_ushort v6, v[10:11], off
	v_add_u32_e32 v9, 0x100, v9
	s_waitcnt vmcnt(0)
	v_and_b32_e32 v8, 0x7fff, v6
.LBB35_13:
	;; [unrolled: 34-line block ×3, first 2 shown]
	s_or_b64 exec, exec, s[4:5]
	v_cmp_gt_i32_e64 s[0:1], s6, v9
	s_and_saveexec_b64 s[4:5], s[0:1]
	s_cbranch_execz .LBB35_19
; %bb.18:
	v_add_u32_e32 v12, s2, v9
	v_mov_b32_e32 v13, 0
	v_lshlrev_b64 v[12:13], 1, v[12:13]
	v_mov_b32_e32 v6, s11
	v_add_co_u32_e64 v12, s[0:1], s10, v12
	v_addc_co_u32_e64 v13, s[0:1], v6, v13, s[0:1]
	global_load_ushort v6, v[12:13], off
	s_waitcnt vmcnt(0)
	v_and_b32_e32 v6, 0x7fff, v6
.LBB35_19:
	s_or_b64 exec, exec, s[4:5]
	v_mov_b32_e32 v9, 0xffff8000
	v_and_b32_e32 v9, s7, v9
	s_and_saveexec_b64 s[0:1], vcc
	s_cbranch_execnz .LBB35_29
; %bb.20:
	s_or_b64 exec, exec, s[0:1]
	v_cmp_gt_i32_e32 vcc, s6, v0
	s_and_saveexec_b64 s[0:1], vcc
	s_cbranch_execnz .LBB35_30
.LBB35_21:
	s_or_b64 exec, exec, s[0:1]
	v_cmp_gt_i32_e32 vcc, s6, v0
	s_and_saveexec_b64 s[0:1], vcc
	s_cbranch_execnz .LBB35_31
.LBB35_22:
	s_or_b64 exec, exec, s[0:1]
	v_cmp_gt_i32_e32 vcc, s6, v0
	s_and_saveexec_b64 s[0:1], vcc
	s_cbranch_execnz .LBB35_32
.LBB35_23:
	s_or_b64 exec, exec, s[0:1]
	v_cmp_gt_i32_e32 vcc, s6, v0
	s_and_saveexec_b64 s[0:1], vcc
	s_cbranch_execnz .LBB35_33
.LBB35_24:
	s_or_b64 exec, exec, s[0:1]
	v_cmp_gt_i32_e32 vcc, s6, v0
	s_and_saveexec_b64 s[0:1], vcc
	s_cbranch_execnz .LBB35_34
.LBB35_25:
	s_or_b64 exec, exec, s[0:1]
	v_cmp_gt_i32_e32 vcc, s6, v0
	s_and_saveexec_b64 s[0:1], vcc
	s_cbranch_execnz .LBB35_35
.LBB35_26:
	s_or_b64 exec, exec, s[0:1]
	v_cmp_gt_i32_e32 vcc, s6, v0
	s_and_saveexec_b64 s[0:1], vcc
	s_cbranch_execz .LBB35_28
.LBB35_27:
	v_add_u32_e32 v0, s2, v0
	v_mov_b32_e32 v1, 0
	v_lshlrev_b64 v[0:1], 1, v[0:1]
	v_mov_b32_e32 v3, s9
	v_add_co_u32_e32 v0, vcc, s8, v0
	v_or_b32_e32 v2, v6, v9
	v_addc_co_u32_e32 v1, vcc, v3, v1, vcc
	global_store_short v[0:1], v2, off
.LBB35_28:
	s_endpgm
.LBB35_29:
	v_or_b32_e32 v11, v3, v9
	v_mov_b32_e32 v3, 0
	v_lshlrev_b64 v[2:3], 1, v[2:3]
	v_mov_b32_e32 v12, s9
	v_add_co_u32_e32 v2, vcc, s8, v2
	v_or_b32_e32 v0, 0x100, v0
	v_addc_co_u32_e32 v3, vcc, v12, v3, vcc
	global_store_short v[2:3], v11, off
	s_or_b64 exec, exec, s[0:1]
	v_cmp_gt_i32_e32 vcc, s6, v0
	s_and_saveexec_b64 s[0:1], vcc
	s_cbranch_execz .LBB35_21
.LBB35_30:
	v_add_u32_e32 v2, s2, v0
	v_mov_b32_e32 v3, 0
	v_lshlrev_b64 v[2:3], 1, v[2:3]
	v_mov_b32_e32 v11, s9
	v_add_co_u32_e32 v2, vcc, s8, v2
	v_or_b32_e32 v1, v1, v9
	v_addc_co_u32_e32 v3, vcc, v11, v3, vcc
	v_add_u32_e32 v0, 0x100, v0
	global_store_short v[2:3], v1, off
	s_or_b64 exec, exec, s[0:1]
	v_cmp_gt_i32_e32 vcc, s6, v0
	s_and_saveexec_b64 s[0:1], vcc
	s_cbranch_execz .LBB35_22
.LBB35_31:
	v_add_u32_e32 v2, s2, v0
	v_mov_b32_e32 v3, 0
	v_lshlrev_b64 v[2:3], 1, v[2:3]
	v_or_b32_e32 v1, v7, v9
	v_mov_b32_e32 v7, s9
	v_add_co_u32_e32 v2, vcc, s8, v2
	v_addc_co_u32_e32 v3, vcc, v7, v3, vcc
	v_add_u32_e32 v0, 0x100, v0
	global_store_short v[2:3], v1, off
	s_or_b64 exec, exec, s[0:1]
	v_cmp_gt_i32_e32 vcc, s6, v0
	s_and_saveexec_b64 s[0:1], vcc
	s_cbranch_execz .LBB35_23
.LBB35_32:
	v_add_u32_e32 v2, s2, v0
	v_mov_b32_e32 v3, 0
	v_lshlrev_b64 v[2:3], 1, v[2:3]
	v_or_b32_e32 v1, v4, v9
	v_mov_b32_e32 v4, s9
	v_add_co_u32_e32 v2, vcc, s8, v2
	v_addc_co_u32_e32 v3, vcc, v4, v3, vcc
	v_add_u32_e32 v0, 0x100, v0
	global_store_short v[2:3], v1, off
	s_or_b64 exec, exec, s[0:1]
	v_cmp_gt_i32_e32 vcc, s6, v0
	s_and_saveexec_b64 s[0:1], vcc
	s_cbranch_execz .LBB35_24
.LBB35_33:
	v_add_u32_e32 v2, s2, v0
	v_mov_b32_e32 v3, 0
	v_lshlrev_b64 v[2:3], 1, v[2:3]
	v_mov_b32_e32 v4, s9
	v_add_co_u32_e32 v2, vcc, s8, v2
	v_or_b32_e32 v1, v8, v9
	v_addc_co_u32_e32 v3, vcc, v4, v3, vcc
	v_add_u32_e32 v0, 0x100, v0
	global_store_short v[2:3], v1, off
	s_or_b64 exec, exec, s[0:1]
	v_cmp_gt_i32_e32 vcc, s6, v0
	s_and_saveexec_b64 s[0:1], vcc
	s_cbranch_execz .LBB35_25
.LBB35_34:
	v_add_u32_e32 v2, s2, v0
	v_mov_b32_e32 v3, 0
	v_lshlrev_b64 v[2:3], 1, v[2:3]
	v_mov_b32_e32 v4, s9
	v_add_co_u32_e32 v2, vcc, s8, v2
	v_or_b32_e32 v1, v5, v9
	v_addc_co_u32_e32 v3, vcc, v4, v3, vcc
	v_add_u32_e32 v0, 0x100, v0
	global_store_short v[2:3], v1, off
	s_or_b64 exec, exec, s[0:1]
	v_cmp_gt_i32_e32 vcc, s6, v0
	s_and_saveexec_b64 s[0:1], vcc
	s_cbranch_execz .LBB35_26
.LBB35_35:
	v_add_u32_e32 v2, s2, v0
	v_mov_b32_e32 v3, 0
	v_lshlrev_b64 v[2:3], 1, v[2:3]
	v_mov_b32_e32 v4, s9
	v_add_co_u32_e32 v2, vcc, s8, v2
	v_or_b32_e32 v1, v10, v9
	v_addc_co_u32_e32 v3, vcc, v4, v3, vcc
	v_add_u32_e32 v0, 0x100, v0
	global_store_short v[2:3], v1, off
	s_or_b64 exec, exec, s[0:1]
	v_cmp_gt_i32_e32 vcc, s6, v0
	s_and_saveexec_b64 s[0:1], vcc
	s_cbranch_execnz .LBB35_27
	s_branch .LBB35_28
	.section	.rodata,"a",@progbits
	.p2align	6, 0x0
	.amdhsa_kernel _ZN2at6native29vectorized_elementwise_kernelILi2ENS0_13BUnaryFunctorIN3c108BFloat16ES4_S4_ZNS0_20copysign_kernel_cudaERNS_18TensorIteratorBaseEEUlS4_S4_E_EESt5arrayIPcLm2EEEEviT0_T1_
		.amdhsa_group_segment_fixed_size 0
		.amdhsa_private_segment_fixed_size 0
		.amdhsa_kernarg_size 24
		.amdhsa_user_sgpr_count 6
		.amdhsa_user_sgpr_private_segment_buffer 1
		.amdhsa_user_sgpr_dispatch_ptr 0
		.amdhsa_user_sgpr_queue_ptr 0
		.amdhsa_user_sgpr_kernarg_segment_ptr 1
		.amdhsa_user_sgpr_dispatch_id 0
		.amdhsa_user_sgpr_flat_scratch_init 0
		.amdhsa_user_sgpr_kernarg_preload_length 0
		.amdhsa_user_sgpr_kernarg_preload_offset 0
		.amdhsa_user_sgpr_private_segment_size 0
		.amdhsa_uses_dynamic_stack 0
		.amdhsa_system_sgpr_private_segment_wavefront_offset 0
		.amdhsa_system_sgpr_workgroup_id_x 1
		.amdhsa_system_sgpr_workgroup_id_y 0
		.amdhsa_system_sgpr_workgroup_id_z 0
		.amdhsa_system_sgpr_workgroup_info 0
		.amdhsa_system_vgpr_workitem_id 0
		.amdhsa_next_free_vgpr 14
		.amdhsa_next_free_sgpr 12
		.amdhsa_accum_offset 16
		.amdhsa_reserve_vcc 1
		.amdhsa_reserve_flat_scratch 0
		.amdhsa_float_round_mode_32 0
		.amdhsa_float_round_mode_16_64 0
		.amdhsa_float_denorm_mode_32 3
		.amdhsa_float_denorm_mode_16_64 3
		.amdhsa_dx10_clamp 1
		.amdhsa_ieee_mode 1
		.amdhsa_fp16_overflow 0
		.amdhsa_tg_split 0
		.amdhsa_exception_fp_ieee_invalid_op 0
		.amdhsa_exception_fp_denorm_src 0
		.amdhsa_exception_fp_ieee_div_zero 0
		.amdhsa_exception_fp_ieee_overflow 0
		.amdhsa_exception_fp_ieee_underflow 0
		.amdhsa_exception_fp_ieee_inexact 0
		.amdhsa_exception_int_div_zero 0
	.end_amdhsa_kernel
	.section	.text._ZN2at6native29vectorized_elementwise_kernelILi2ENS0_13BUnaryFunctorIN3c108BFloat16ES4_S4_ZNS0_20copysign_kernel_cudaERNS_18TensorIteratorBaseEEUlS4_S4_E_EESt5arrayIPcLm2EEEEviT0_T1_,"axG",@progbits,_ZN2at6native29vectorized_elementwise_kernelILi2ENS0_13BUnaryFunctorIN3c108BFloat16ES4_S4_ZNS0_20copysign_kernel_cudaERNS_18TensorIteratorBaseEEUlS4_S4_E_EESt5arrayIPcLm2EEEEviT0_T1_,comdat
.Lfunc_end35:
	.size	_ZN2at6native29vectorized_elementwise_kernelILi2ENS0_13BUnaryFunctorIN3c108BFloat16ES4_S4_ZNS0_20copysign_kernel_cudaERNS_18TensorIteratorBaseEEUlS4_S4_E_EESt5arrayIPcLm2EEEEviT0_T1_, .Lfunc_end35-_ZN2at6native29vectorized_elementwise_kernelILi2ENS0_13BUnaryFunctorIN3c108BFloat16ES4_S4_ZNS0_20copysign_kernel_cudaERNS_18TensorIteratorBaseEEUlS4_S4_E_EESt5arrayIPcLm2EEEEviT0_T1_
                                        ; -- End function
	.section	.AMDGPU.csdata,"",@progbits
; Kernel info:
; codeLenInByte = 1644
; NumSgprs: 16
; NumVgprs: 14
; NumAgprs: 0
; TotalNumVgprs: 14
; ScratchSize: 0
; MemoryBound: 0
; FloatMode: 240
; IeeeMode: 1
; LDSByteSize: 0 bytes/workgroup (compile time only)
; SGPRBlocks: 1
; VGPRBlocks: 1
; NumSGPRsForWavesPerEU: 16
; NumVGPRsForWavesPerEU: 14
; AccumOffset: 16
; Occupancy: 8
; WaveLimiterHint : 1
; COMPUTE_PGM_RSRC2:SCRATCH_EN: 0
; COMPUTE_PGM_RSRC2:USER_SGPR: 6
; COMPUTE_PGM_RSRC2:TRAP_HANDLER: 0
; COMPUTE_PGM_RSRC2:TGID_X_EN: 1
; COMPUTE_PGM_RSRC2:TGID_Y_EN: 0
; COMPUTE_PGM_RSRC2:TGID_Z_EN: 0
; COMPUTE_PGM_RSRC2:TIDIG_COMP_CNT: 0
; COMPUTE_PGM_RSRC3_GFX90A:ACCUM_OFFSET: 3
; COMPUTE_PGM_RSRC3_GFX90A:TG_SPLIT: 0
	.section	.text._ZN2at6native27unrolled_elementwise_kernelINS0_13BUnaryFunctorIN3c108BFloat16ES4_S4_ZNS0_20copysign_kernel_cudaERNS_18TensorIteratorBaseEEUlS4_S4_E_EESt5arrayIPcLm2EELi4E23TrivialOffsetCalculatorILi1EjESD_NS0_6memory15LoadWithoutCastENSE_16StoreWithoutCastEEEviT_T0_T2_T3_T4_T5_,"axG",@progbits,_ZN2at6native27unrolled_elementwise_kernelINS0_13BUnaryFunctorIN3c108BFloat16ES4_S4_ZNS0_20copysign_kernel_cudaERNS_18TensorIteratorBaseEEUlS4_S4_E_EESt5arrayIPcLm2EELi4E23TrivialOffsetCalculatorILi1EjESD_NS0_6memory15LoadWithoutCastENSE_16StoreWithoutCastEEEviT_T0_T2_T3_T4_T5_,comdat
	.globl	_ZN2at6native27unrolled_elementwise_kernelINS0_13BUnaryFunctorIN3c108BFloat16ES4_S4_ZNS0_20copysign_kernel_cudaERNS_18TensorIteratorBaseEEUlS4_S4_E_EESt5arrayIPcLm2EELi4E23TrivialOffsetCalculatorILi1EjESD_NS0_6memory15LoadWithoutCastENSE_16StoreWithoutCastEEEviT_T0_T2_T3_T4_T5_ ; -- Begin function _ZN2at6native27unrolled_elementwise_kernelINS0_13BUnaryFunctorIN3c108BFloat16ES4_S4_ZNS0_20copysign_kernel_cudaERNS_18TensorIteratorBaseEEUlS4_S4_E_EESt5arrayIPcLm2EELi4E23TrivialOffsetCalculatorILi1EjESD_NS0_6memory15LoadWithoutCastENSE_16StoreWithoutCastEEEviT_T0_T2_T3_T4_T5_
	.p2align	8
	.type	_ZN2at6native27unrolled_elementwise_kernelINS0_13BUnaryFunctorIN3c108BFloat16ES4_S4_ZNS0_20copysign_kernel_cudaERNS_18TensorIteratorBaseEEUlS4_S4_E_EESt5arrayIPcLm2EELi4E23TrivialOffsetCalculatorILi1EjESD_NS0_6memory15LoadWithoutCastENSE_16StoreWithoutCastEEEviT_T0_T2_T3_T4_T5_,@function
_ZN2at6native27unrolled_elementwise_kernelINS0_13BUnaryFunctorIN3c108BFloat16ES4_S4_ZNS0_20copysign_kernel_cudaERNS_18TensorIteratorBaseEEUlS4_S4_E_EESt5arrayIPcLm2EELi4E23TrivialOffsetCalculatorILi1EjESD_NS0_6memory15LoadWithoutCastENSE_16StoreWithoutCastEEEviT_T0_T2_T3_T4_T5_: ; @_ZN2at6native27unrolled_elementwise_kernelINS0_13BUnaryFunctorIN3c108BFloat16ES4_S4_ZNS0_20copysign_kernel_cudaERNS_18TensorIteratorBaseEEUlS4_S4_E_EESt5arrayIPcLm2EELi4E23TrivialOffsetCalculatorILi1EjESD_NS0_6memory15LoadWithoutCastENSE_16StoreWithoutCastEEEviT_T0_T2_T3_T4_T5_
; %bb.0:
	s_load_dwordx2 s[2:3], s[4:5], 0x0
	s_load_dwordx4 s[8:11], s[4:5], 0x8
	s_lshl_b32 s6, s6, 10
	v_mov_b32_e32 v1, 0
	v_or_b32_e32 v2, s6, v0
	s_waitcnt lgkmcnt(0)
	s_sub_i32 s2, s2, s6
	v_cmp_gt_i32_e32 vcc, s2, v0
	v_mov_b32_e32 v5, 0
	v_mov_b32_e32 v3, v0
	s_and_saveexec_b64 s[4:5], vcc
	s_cbranch_execz .LBB36_2
; %bb.1:
	v_mov_b32_e32 v3, 0
	v_lshlrev_b64 v[4:5], 1, v[2:3]
	v_mov_b32_e32 v3, s11
	v_add_co_u32_e64 v4, s[0:1], s10, v4
	v_addc_co_u32_e64 v5, s[0:1], v3, v5, s[0:1]
	global_load_ushort v4, v[4:5], off
	v_or_b32_e32 v3, 0x100, v0
	s_waitcnt vmcnt(0)
	v_and_b32_e32 v5, 0x7fff, v4
.LBB36_2:
	s_or_b64 exec, exec, s[4:5]
	v_cmp_gt_i32_e64 s[0:1], s2, v3
	s_and_saveexec_b64 s[4:5], s[0:1]
	s_cbranch_execz .LBB36_4
; %bb.3:
	v_add_u32_e32 v6, s6, v3
	v_mov_b32_e32 v7, 0
	v_lshlrev_b64 v[6:7], 1, v[6:7]
	v_mov_b32_e32 v1, s11
	v_add_co_u32_e64 v6, s[0:1], s10, v6
	v_addc_co_u32_e64 v7, s[0:1], v1, v7, s[0:1]
	global_load_ushort v1, v[6:7], off
	v_add_u32_e32 v3, 0x100, v3
	s_waitcnt vmcnt(0)
	v_and_b32_e32 v1, 0x7fff, v1
.LBB36_4:
	s_or_b64 exec, exec, s[4:5]
	v_cmp_gt_i32_e64 s[0:1], s2, v3
	v_mov_b32_e32 v4, 0
	v_mov_b32_e32 v6, 0
	s_and_saveexec_b64 s[4:5], s[0:1]
	s_cbranch_execz .LBB36_6
; %bb.5:
	v_add_u32_e32 v6, s6, v3
	v_mov_b32_e32 v7, 0
	v_lshlrev_b64 v[6:7], 1, v[6:7]
	v_mov_b32_e32 v8, s11
	v_add_co_u32_e64 v6, s[0:1], s10, v6
	v_addc_co_u32_e64 v7, s[0:1], v8, v7, s[0:1]
	global_load_ushort v6, v[6:7], off
	v_add_u32_e32 v3, 0x100, v3
	s_waitcnt vmcnt(0)
	v_and_b32_e32 v6, 0x7fff, v6
.LBB36_6:
	s_or_b64 exec, exec, s[4:5]
	v_cmp_gt_i32_e64 s[0:1], s2, v3
	s_and_saveexec_b64 s[4:5], s[0:1]
	s_cbranch_execz .LBB36_8
; %bb.7:
	v_add_u32_e32 v8, s6, v3
	v_mov_b32_e32 v9, 0
	v_lshlrev_b64 v[8:9], 1, v[8:9]
	v_mov_b32_e32 v3, s11
	v_add_co_u32_e64 v8, s[0:1], s10, v8
	v_addc_co_u32_e64 v9, s[0:1], v3, v9, s[0:1]
	global_load_ushort v3, v[8:9], off
	s_waitcnt vmcnt(0)
	v_and_b32_e32 v4, 0x7fff, v3
.LBB36_8:
	s_or_b64 exec, exec, s[4:5]
	s_lshr_b32 s0, s3, 16
	v_mov_b32_e32 v3, 0xffff8000
	v_and_b32_e32 v7, s0, v3
	s_and_saveexec_b64 s[0:1], vcc
	s_cbranch_execnz .LBB36_13
; %bb.9:
	s_or_b64 exec, exec, s[0:1]
	v_cmp_gt_i32_e32 vcc, s2, v0
	s_and_saveexec_b64 s[0:1], vcc
	s_cbranch_execnz .LBB36_14
.LBB36_10:
	s_or_b64 exec, exec, s[0:1]
	v_cmp_gt_i32_e32 vcc, s2, v0
	s_and_saveexec_b64 s[0:1], vcc
	s_cbranch_execnz .LBB36_15
.LBB36_11:
	s_or_b64 exec, exec, s[0:1]
	v_cmp_gt_i32_e32 vcc, s2, v0
	s_and_saveexec_b64 s[0:1], vcc
	s_cbranch_execnz .LBB36_16
.LBB36_12:
	s_endpgm
.LBB36_13:
	v_mov_b32_e32 v3, 0
	v_lshlrev_b64 v[2:3], 1, v[2:3]
	v_mov_b32_e32 v8, s9
	v_add_co_u32_e32 v2, vcc, s8, v2
	v_or_b32_e32 v0, 0x100, v0
	v_addc_co_u32_e32 v3, vcc, v8, v3, vcc
	v_or_b32_e32 v5, v5, v7
	global_store_short v[2:3], v5, off
	s_or_b64 exec, exec, s[0:1]
	v_cmp_gt_i32_e32 vcc, s2, v0
	s_and_saveexec_b64 s[0:1], vcc
	s_cbranch_execz .LBB36_10
.LBB36_14:
	v_or_b32_e32 v2, v1, v7
	v_add_u32_e32 v3, 0x100, v0
	v_add_u32_e32 v0, s6, v0
	v_mov_b32_e32 v1, 0
	v_lshlrev_b64 v[0:1], 1, v[0:1]
	v_mov_b32_e32 v5, s9
	v_add_co_u32_e32 v0, vcc, s8, v0
	v_addc_co_u32_e32 v1, vcc, v5, v1, vcc
	global_store_short v[0:1], v2, off
	v_mov_b32_e32 v0, v3
	s_or_b64 exec, exec, s[0:1]
	v_cmp_gt_i32_e32 vcc, s2, v0
	s_and_saveexec_b64 s[0:1], vcc
	s_cbranch_execz .LBB36_11
.LBB36_15:
	v_add_u32_e32 v3, 0x100, v0
	v_add_u32_e32 v0, s6, v0
	v_mov_b32_e32 v1, 0
	v_lshlrev_b64 v[0:1], 1, v[0:1]
	v_mov_b32_e32 v5, s9
	v_add_co_u32_e32 v0, vcc, s8, v0
	v_or_b32_e32 v2, v6, v7
	v_addc_co_u32_e32 v1, vcc, v5, v1, vcc
	global_store_short v[0:1], v2, off
	v_mov_b32_e32 v0, v3
	s_or_b64 exec, exec, s[0:1]
	v_cmp_gt_i32_e32 vcc, s2, v0
	s_and_saveexec_b64 s[0:1], vcc
	s_cbranch_execz .LBB36_12
.LBB36_16:
	v_add_u32_e32 v0, s6, v0
	v_mov_b32_e32 v1, 0
	v_lshlrev_b64 v[0:1], 1, v[0:1]
	v_mov_b32_e32 v3, s9
	v_add_co_u32_e32 v0, vcc, s8, v0
	v_or_b32_e32 v2, v4, v7
	v_addc_co_u32_e32 v1, vcc, v3, v1, vcc
	global_store_short v[0:1], v2, off
	s_endpgm
	.section	.rodata,"a",@progbits
	.p2align	6, 0x0
	.amdhsa_kernel _ZN2at6native27unrolled_elementwise_kernelINS0_13BUnaryFunctorIN3c108BFloat16ES4_S4_ZNS0_20copysign_kernel_cudaERNS_18TensorIteratorBaseEEUlS4_S4_E_EESt5arrayIPcLm2EELi4E23TrivialOffsetCalculatorILi1EjESD_NS0_6memory15LoadWithoutCastENSE_16StoreWithoutCastEEEviT_T0_T2_T3_T4_T5_
		.amdhsa_group_segment_fixed_size 0
		.amdhsa_private_segment_fixed_size 0
		.amdhsa_kernarg_size 28
		.amdhsa_user_sgpr_count 6
		.amdhsa_user_sgpr_private_segment_buffer 1
		.amdhsa_user_sgpr_dispatch_ptr 0
		.amdhsa_user_sgpr_queue_ptr 0
		.amdhsa_user_sgpr_kernarg_segment_ptr 1
		.amdhsa_user_sgpr_dispatch_id 0
		.amdhsa_user_sgpr_flat_scratch_init 0
		.amdhsa_user_sgpr_kernarg_preload_length 0
		.amdhsa_user_sgpr_kernarg_preload_offset 0
		.amdhsa_user_sgpr_private_segment_size 0
		.amdhsa_uses_dynamic_stack 0
		.amdhsa_system_sgpr_private_segment_wavefront_offset 0
		.amdhsa_system_sgpr_workgroup_id_x 1
		.amdhsa_system_sgpr_workgroup_id_y 0
		.amdhsa_system_sgpr_workgroup_id_z 0
		.amdhsa_system_sgpr_workgroup_info 0
		.amdhsa_system_vgpr_workitem_id 0
		.amdhsa_next_free_vgpr 10
		.amdhsa_next_free_sgpr 12
		.amdhsa_accum_offset 12
		.amdhsa_reserve_vcc 1
		.amdhsa_reserve_flat_scratch 0
		.amdhsa_float_round_mode_32 0
		.amdhsa_float_round_mode_16_64 0
		.amdhsa_float_denorm_mode_32 3
		.amdhsa_float_denorm_mode_16_64 3
		.amdhsa_dx10_clamp 1
		.amdhsa_ieee_mode 1
		.amdhsa_fp16_overflow 0
		.amdhsa_tg_split 0
		.amdhsa_exception_fp_ieee_invalid_op 0
		.amdhsa_exception_fp_denorm_src 0
		.amdhsa_exception_fp_ieee_div_zero 0
		.amdhsa_exception_fp_ieee_overflow 0
		.amdhsa_exception_fp_ieee_underflow 0
		.amdhsa_exception_fp_ieee_inexact 0
		.amdhsa_exception_int_div_zero 0
	.end_amdhsa_kernel
	.section	.text._ZN2at6native27unrolled_elementwise_kernelINS0_13BUnaryFunctorIN3c108BFloat16ES4_S4_ZNS0_20copysign_kernel_cudaERNS_18TensorIteratorBaseEEUlS4_S4_E_EESt5arrayIPcLm2EELi4E23TrivialOffsetCalculatorILi1EjESD_NS0_6memory15LoadWithoutCastENSE_16StoreWithoutCastEEEviT_T0_T2_T3_T4_T5_,"axG",@progbits,_ZN2at6native27unrolled_elementwise_kernelINS0_13BUnaryFunctorIN3c108BFloat16ES4_S4_ZNS0_20copysign_kernel_cudaERNS_18TensorIteratorBaseEEUlS4_S4_E_EESt5arrayIPcLm2EELi4E23TrivialOffsetCalculatorILi1EjESD_NS0_6memory15LoadWithoutCastENSE_16StoreWithoutCastEEEviT_T0_T2_T3_T4_T5_,comdat
.Lfunc_end36:
	.size	_ZN2at6native27unrolled_elementwise_kernelINS0_13BUnaryFunctorIN3c108BFloat16ES4_S4_ZNS0_20copysign_kernel_cudaERNS_18TensorIteratorBaseEEUlS4_S4_E_EESt5arrayIPcLm2EELi4E23TrivialOffsetCalculatorILi1EjESD_NS0_6memory15LoadWithoutCastENSE_16StoreWithoutCastEEEviT_T0_T2_T3_T4_T5_, .Lfunc_end36-_ZN2at6native27unrolled_elementwise_kernelINS0_13BUnaryFunctorIN3c108BFloat16ES4_S4_ZNS0_20copysign_kernel_cudaERNS_18TensorIteratorBaseEEUlS4_S4_E_EESt5arrayIPcLm2EELi4E23TrivialOffsetCalculatorILi1EjESD_NS0_6memory15LoadWithoutCastENSE_16StoreWithoutCastEEEviT_T0_T2_T3_T4_T5_
                                        ; -- End function
	.section	.AMDGPU.csdata,"",@progbits
; Kernel info:
; codeLenInByte = 688
; NumSgprs: 16
; NumVgprs: 10
; NumAgprs: 0
; TotalNumVgprs: 10
; ScratchSize: 0
; MemoryBound: 0
; FloatMode: 240
; IeeeMode: 1
; LDSByteSize: 0 bytes/workgroup (compile time only)
; SGPRBlocks: 1
; VGPRBlocks: 1
; NumSGPRsForWavesPerEU: 16
; NumVGPRsForWavesPerEU: 10
; AccumOffset: 12
; Occupancy: 8
; WaveLimiterHint : 0
; COMPUTE_PGM_RSRC2:SCRATCH_EN: 0
; COMPUTE_PGM_RSRC2:USER_SGPR: 6
; COMPUTE_PGM_RSRC2:TRAP_HANDLER: 0
; COMPUTE_PGM_RSRC2:TGID_X_EN: 1
; COMPUTE_PGM_RSRC2:TGID_Y_EN: 0
; COMPUTE_PGM_RSRC2:TGID_Z_EN: 0
; COMPUTE_PGM_RSRC2:TIDIG_COMP_CNT: 0
; COMPUTE_PGM_RSRC3_GFX90A:ACCUM_OFFSET: 2
; COMPUTE_PGM_RSRC3_GFX90A:TG_SPLIT: 0
	.section	.text._ZN2at6native32elementwise_kernel_manual_unrollILi128ELi8EZNS0_22gpu_kernel_impl_nocastINS0_13BUnaryFunctorIN3c108BFloat16ES5_S5_ZNS0_20copysign_kernel_cudaERNS_18TensorIteratorBaseEEUlS5_S5_E_EEEEvS7_RKT_EUlibE_EEviT1_,"axG",@progbits,_ZN2at6native32elementwise_kernel_manual_unrollILi128ELi8EZNS0_22gpu_kernel_impl_nocastINS0_13BUnaryFunctorIN3c108BFloat16ES5_S5_ZNS0_20copysign_kernel_cudaERNS_18TensorIteratorBaseEEUlS5_S5_E_EEEEvS7_RKT_EUlibE_EEviT1_,comdat
	.globl	_ZN2at6native32elementwise_kernel_manual_unrollILi128ELi8EZNS0_22gpu_kernel_impl_nocastINS0_13BUnaryFunctorIN3c108BFloat16ES5_S5_ZNS0_20copysign_kernel_cudaERNS_18TensorIteratorBaseEEUlS5_S5_E_EEEEvS7_RKT_EUlibE_EEviT1_ ; -- Begin function _ZN2at6native32elementwise_kernel_manual_unrollILi128ELi8EZNS0_22gpu_kernel_impl_nocastINS0_13BUnaryFunctorIN3c108BFloat16ES5_S5_ZNS0_20copysign_kernel_cudaERNS_18TensorIteratorBaseEEUlS5_S5_E_EEEEvS7_RKT_EUlibE_EEviT1_
	.p2align	8
	.type	_ZN2at6native32elementwise_kernel_manual_unrollILi128ELi8EZNS0_22gpu_kernel_impl_nocastINS0_13BUnaryFunctorIN3c108BFloat16ES5_S5_ZNS0_20copysign_kernel_cudaERNS_18TensorIteratorBaseEEUlS5_S5_E_EEEEvS7_RKT_EUlibE_EEviT1_,@function
_ZN2at6native32elementwise_kernel_manual_unrollILi128ELi8EZNS0_22gpu_kernel_impl_nocastINS0_13BUnaryFunctorIN3c108BFloat16ES5_S5_ZNS0_20copysign_kernel_cudaERNS_18TensorIteratorBaseEEUlS5_S5_E_EEEEvS7_RKT_EUlibE_EEviT1_: ; @_ZN2at6native32elementwise_kernel_manual_unrollILi128ELi8EZNS0_22gpu_kernel_impl_nocastINS0_13BUnaryFunctorIN3c108BFloat16ES5_S5_ZNS0_20copysign_kernel_cudaERNS_18TensorIteratorBaseEEUlS5_S5_E_EEEEvS7_RKT_EUlibE_EEviT1_
; %bb.0:
	s_load_dword s59, s[4:5], 0x0
	s_load_dword s33, s[4:5], 0x8
	s_or_b32 s34, s4, 8
	v_lshl_or_b32 v24, s6, 10, v0
	v_or_b32_e32 v31, 0x380, v24
	s_mov_b32 s35, s5
	s_waitcnt lgkmcnt(0)
	s_add_i32 s58, s33, -1
	s_cmp_gt_u32 s58, 1
	v_cmp_le_i32_e32 vcc, s59, v31
	s_cselect_b64 s[6:7], -1, 0
	s_and_saveexec_b64 s[0:1], vcc
	s_xor_b64 s[40:41], exec, s[0:1]
	s_cbranch_execz .LBB37_8
; %bb.1:
	s_load_dwordx4 s[24:27], s[34:35], 0x4
	s_load_dwordx2 s[42:43], s[34:35], 0x14
	s_load_dword s8, s[4:5], 0x160
	s_cmp_lg_u32 s33, 0
	s_cselect_b64 s[48:49], -1, 0
	s_add_u32 s46, s34, 0xc4
	s_load_dwordx4 s[28:31], s[34:35], 0xc4
	s_load_dwordx4 s[0:3], s[34:35], 0x148
	s_addc_u32 s47, s35, 0
	s_min_u32 s60, s58, 15
	s_cmp_gt_u32 s33, 1
	s_cselect_b64 s[44:45], -1, 0
	s_waitcnt lgkmcnt(0)
	s_lshr_b32 s8, s8, 16
	v_mov_b32_e32 v0, 0xffff8000
	v_and_b32_e32 v4, s8, v0
	v_cmp_gt_i32_e32 vcc, s59, v24
	s_and_saveexec_b64 s[50:51], vcc
	s_cbranch_execz .LBB37_16
; %bb.2:
	s_andn2_b64 vcc, exec, s[6:7]
	s_cbranch_vccnz .LBB37_24
; %bb.3:
	s_mov_b32 s52, 0
	s_andn2_b64 vcc, exec, s[48:49]
	v_mov_b32_e32 v2, 0
	v_mov_b32_e32 v0, 0
	s_cbranch_vccnz .LBB37_136
; %bb.4:
	s_add_i32 s61, s60, 1
	s_cmp_eq_u32 s58, 2
	s_cbranch_scc1 .LBB37_131
; %bb.5:
	s_and_b32 s52, s61, 28
	s_mov_b32 s53, 0
	v_mov_b32_e32 v0, 0
	s_mov_b64 s[54:55], s[34:35]
	s_mov_b64 s[56:57], s[46:47]
	v_mov_b32_e32 v3, v24
	v_mov_b32_e32 v2, 0
.LBB37_6:                               ; =>This Inner Loop Header: Depth=1
	s_load_dwordx8 s[16:23], s[54:55], 0x4
	s_load_dwordx4 s[36:39], s[54:55], 0x24
	s_load_dwordx8 s[8:15], s[56:57], 0x0
	s_add_u32 s54, s54, 48
	s_addc_u32 s55, s55, 0
	s_waitcnt lgkmcnt(0)
	v_mul_hi_u32 v1, s17, v3
	v_add_u32_e32 v1, v3, v1
	v_lshrrev_b32_e32 v1, s18, v1
	v_mul_lo_u32 v5, v1, s16
	v_mul_hi_u32 v6, s20, v1
	v_sub_u32_e32 v3, v3, v5
	v_add_u32_e32 v5, v1, v6
	v_lshrrev_b32_e32 v5, s21, v5
	v_mul_lo_u32 v7, v5, s19
	v_mul_hi_u32 v8, s23, v5
	v_sub_u32_e32 v1, v1, v7
	v_add_u32_e32 v7, v5, v8
	v_mul_lo_u32 v6, v3, s9
	v_mul_lo_u32 v3, v3, s8
	;; [unrolled: 1-line block ×4, first 2 shown]
	v_lshrrev_b32_e32 v7, s36, v7
	v_add3_u32 v0, v3, v0, v1
	v_mul_hi_u32 v3, s38, v7
	v_add_u32_e32 v3, v7, v3
	v_lshrrev_b32_e32 v3, s39, v3
	s_add_i32 s53, s53, 4
	v_add3_u32 v1, v6, v2, v8
	v_mul_lo_u32 v2, v7, s22
	v_mul_lo_u32 v6, v3, s37
	s_add_u32 s56, s56, 32
	v_sub_u32_e32 v2, v5, v2
	v_sub_u32_e32 v6, v7, v6
	s_addc_u32 s57, s57, 0
	v_mul_lo_u32 v5, v2, s12
	v_mul_lo_u32 v2, v2, s13
	;; [unrolled: 1-line block ×4, first 2 shown]
	s_cmp_lg_u32 s52, s53
	v_add3_u32 v2, v2, v1, v6
	v_add3_u32 v0, v5, v0, v7
	s_cbranch_scc1 .LBB37_6
; %bb.7:
	v_mov_b32_e32 v1, v2
	s_branch .LBB37_132
.LBB37_8:
	s_andn2_saveexec_b64 s[0:1], s[40:41]
	s_cbranch_execz .LBB37_227
.LBB37_9:
	v_cndmask_b32_e64 v0, 0, 1, s[6:7]
	v_cmp_ne_u32_e64 s[0:1], 1, v0
	s_andn2_b64 vcc, exec, s[6:7]
	s_cbranch_vccnz .LBB37_23
; %bb.10:
	s_mov_b32 s2, 0
	s_cmp_lg_u32 s33, 0
	v_mov_b32_e32 v2, 0
	v_mov_b32_e32 v0, 0
	s_cbranch_scc0 .LBB37_15
; %bb.11:
	s_min_u32 s30, s58, 15
	s_add_i32 s30, s30, 1
	s_cmp_eq_u32 s58, 2
	s_cbranch_scc1 .LBB37_26
; %bb.12:
	s_add_u32 s6, s34, 0xc4
	s_addc_u32 s7, s35, 0
	s_and_b32 s2, s30, 28
	s_mov_b32 s3, 0
	v_mov_b32_e32 v0, 0
	s_mov_b64 s[28:29], s[34:35]
	v_mov_b32_e32 v3, v24
	v_mov_b32_e32 v2, 0
.LBB37_13:                              ; =>This Inner Loop Header: Depth=1
	s_load_dwordx8 s[16:23], s[28:29], 0x4
	s_load_dwordx4 s[24:27], s[28:29], 0x24
	s_load_dwordx8 s[8:15], s[6:7], 0x0
	s_add_u32 s28, s28, 48
	s_addc_u32 s29, s29, 0
	s_waitcnt lgkmcnt(0)
	v_mul_hi_u32 v1, s17, v3
	v_add_u32_e32 v1, v3, v1
	v_lshrrev_b32_e32 v1, s18, v1
	v_mul_lo_u32 v4, v1, s16
	v_mul_hi_u32 v5, s20, v1
	v_sub_u32_e32 v3, v3, v4
	v_add_u32_e32 v4, v1, v5
	v_lshrrev_b32_e32 v4, s21, v4
	v_mul_lo_u32 v6, v4, s19
	v_mul_hi_u32 v7, s23, v4
	v_sub_u32_e32 v1, v1, v6
	v_add_u32_e32 v6, v4, v7
	v_mul_lo_u32 v5, v3, s9
	v_mul_lo_u32 v3, v3, s8
	;; [unrolled: 1-line block ×4, first 2 shown]
	v_lshrrev_b32_e32 v6, s24, v6
	v_add3_u32 v0, v3, v0, v1
	v_mul_hi_u32 v3, s26, v6
	v_add_u32_e32 v3, v6, v3
	v_lshrrev_b32_e32 v3, s27, v3
	s_add_i32 s3, s3, 4
	v_add3_u32 v1, v5, v2, v7
	v_mul_lo_u32 v2, v6, s22
	v_mul_lo_u32 v5, v3, s25
	s_add_u32 s6, s6, 32
	v_sub_u32_e32 v2, v4, v2
	v_sub_u32_e32 v5, v6, v5
	s_addc_u32 s7, s7, 0
	v_mul_lo_u32 v4, v2, s12
	v_mul_lo_u32 v2, v2, s13
	;; [unrolled: 1-line block ×4, first 2 shown]
	s_cmp_lg_u32 s2, s3
	v_add3_u32 v2, v2, v1, v5
	v_add3_u32 v0, v4, v0, v6
	s_cbranch_scc1 .LBB37_13
; %bb.14:
	v_mov_b32_e32 v1, v2
	s_and_b32 s8, s30, 3
	s_cmp_eq_u32 s8, 0
	s_cbranch_scc0 .LBB37_27
.LBB37_15:
	s_cbranch_execz .LBB37_30
	s_branch .LBB37_32
.LBB37_16:
	s_or_b64 exec, exec, s[50:51]
	v_cmp_gt_i32_e32 vcc, s59, v24
	s_and_saveexec_b64 s[50:51], vcc
	s_cbranch_execz .LBB37_140
.LBB37_17:
	s_andn2_b64 vcc, exec, s[6:7]
	s_cbranch_vccnz .LBB37_25
; %bb.18:
	s_mov_b32 s52, 0
	s_andn2_b64 vcc, exec, s[48:49]
	v_mov_b32_e32 v2, 0
	v_mov_b32_e32 v0, 0
	s_cbranch_vccnz .LBB37_153
; %bb.19:
	s_add_i32 s61, s60, 1
	s_cmp_eq_u32 s58, 2
	s_cbranch_scc1 .LBB37_148
; %bb.20:
	s_and_b32 s52, s61, 28
	s_mov_b32 s53, 0
	v_mov_b32_e32 v0, 0
	s_mov_b64 s[54:55], s[34:35]
	s_mov_b64 s[56:57], s[46:47]
	v_mov_b32_e32 v3, v24
	v_mov_b32_e32 v2, 0
.LBB37_21:                              ; =>This Inner Loop Header: Depth=1
	s_load_dwordx8 s[16:23], s[54:55], 0x4
	s_load_dwordx4 s[36:39], s[54:55], 0x24
	s_load_dwordx8 s[8:15], s[56:57], 0x0
	s_add_u32 s54, s54, 48
	s_addc_u32 s55, s55, 0
	s_waitcnt lgkmcnt(0)
	v_mul_hi_u32 v1, s17, v3
	v_add_u32_e32 v1, v3, v1
	v_lshrrev_b32_e32 v1, s18, v1
	v_mul_lo_u32 v5, v1, s16
	v_mul_hi_u32 v6, s20, v1
	v_sub_u32_e32 v3, v3, v5
	v_add_u32_e32 v5, v1, v6
	v_lshrrev_b32_e32 v5, s21, v5
	v_mul_lo_u32 v7, v5, s19
	v_mul_hi_u32 v8, s23, v5
	v_sub_u32_e32 v1, v1, v7
	v_add_u32_e32 v7, v5, v8
	v_mul_lo_u32 v6, v3, s9
	v_mul_lo_u32 v3, v3, s8
	;; [unrolled: 1-line block ×4, first 2 shown]
	v_lshrrev_b32_e32 v7, s36, v7
	v_add3_u32 v0, v3, v0, v1
	v_mul_hi_u32 v3, s38, v7
	v_add_u32_e32 v3, v7, v3
	v_lshrrev_b32_e32 v3, s39, v3
	s_add_i32 s53, s53, 4
	v_add3_u32 v1, v6, v2, v8
	v_mul_lo_u32 v2, v7, s22
	v_mul_lo_u32 v6, v3, s37
	s_add_u32 s56, s56, 32
	v_sub_u32_e32 v2, v5, v2
	v_sub_u32_e32 v6, v7, v6
	s_addc_u32 s57, s57, 0
	v_mul_lo_u32 v5, v2, s12
	v_mul_lo_u32 v2, v2, s13
	;; [unrolled: 1-line block ×4, first 2 shown]
	s_cmp_eq_u32 s52, s53
	v_add3_u32 v2, v2, v1, v6
	v_add3_u32 v0, v5, v0, v7
	s_cbranch_scc0 .LBB37_21
; %bb.22:
	v_mov_b32_e32 v1, v2
	s_branch .LBB37_149
.LBB37_23:
                                        ; implicit-def: $vgpr2
                                        ; implicit-def: $vgpr0
	s_branch .LBB37_30
.LBB37_24:
                                        ; implicit-def: $vgpr2
                                        ; implicit-def: $vgpr0
	s_branch .LBB37_137
.LBB37_25:
                                        ; implicit-def: $vgpr2
                                        ; implicit-def: $vgpr0
	s_branch .LBB37_154
.LBB37_26:
	s_mov_b32 s3, s2
	v_pk_mov_b32 v[0:1], s[2:3], s[2:3] op_sel:[0,1]
                                        ; implicit-def: $vgpr2
	v_mov_b32_e32 v3, v24
	s_and_b32 s8, s30, 3
	s_cmp_eq_u32 s8, 0
	s_cbranch_scc1 .LBB37_15
.LBB37_27:
	s_lshl_b32 s3, s2, 3
	s_add_u32 s3, s3, s34
	s_addc_u32 s7, 0, s35
	s_add_u32 s6, s3, 0xc4
	s_addc_u32 s7, s7, 0
	s_mul_i32 s2, s2, 12
	s_add_u32 s2, s34, s2
	s_addc_u32 s3, 0, s35
.LBB37_28:                              ; =>This Inner Loop Header: Depth=1
	s_load_dwordx2 s[10:11], s[2:3], 0x4
	s_load_dword s9, s[2:3], 0xc
	s_load_dwordx2 s[12:13], s[6:7], 0x0
	v_mov_b32_e32 v2, v1
	s_add_u32 s2, s2, 12
	s_waitcnt lgkmcnt(0)
	v_mul_hi_u32 v1, s11, v3
	v_add_u32_e32 v1, v3, v1
	v_lshrrev_b32_e32 v1, s9, v1
	s_addc_u32 s3, s3, 0
	v_mul_lo_u32 v4, v1, s10
	s_add_u32 s6, s6, 8
	v_sub_u32_e32 v6, v3, v4
	v_mov_b32_e32 v3, v1
	s_addc_u32 s7, s7, 0
	s_add_i32 s8, s8, -1
	v_mad_u64_u32 v[4:5], s[10:11], v6, s13, v[2:3]
	v_mad_u64_u32 v[0:1], s[10:11], v6, s12, v[0:1]
	s_cmp_lg_u32 s8, 0
	v_mov_b32_e32 v1, v4
	s_cbranch_scc1 .LBB37_28
; %bb.29:
	v_mov_b32_e32 v2, v1
	s_cbranch_execnz .LBB37_32
.LBB37_30:
	s_load_dwordx4 s[8:11], s[34:35], 0x4
	s_load_dwordx2 s[2:3], s[34:35], 0xc4
	s_cmp_lt_u32 s33, 2
	s_waitcnt lgkmcnt(0)
	v_mul_hi_u32 v0, s9, v24
	v_add_u32_e32 v0, v24, v0
	v_lshrrev_b32_e32 v1, s10, v0
	v_mul_lo_u32 v0, v1, s8
	v_sub_u32_e32 v0, v24, v0
	v_mul_lo_u32 v2, v0, s3
	v_mul_lo_u32 v0, v0, s2
	s_cbranch_scc1 .LBB37_32
; %bb.31:
	s_load_dwordx4 s[8:11], s[34:35], 0x10
	s_load_dwordx2 s[2:3], s[34:35], 0xcc
	s_waitcnt lgkmcnt(0)
	v_mul_hi_u32 v3, s9, v1
	v_add_u32_e32 v3, v1, v3
	v_lshrrev_b32_e32 v3, s10, v3
	v_mul_lo_u32 v3, v3, s8
	v_sub_u32_e32 v3, v1, v3
	v_mad_u64_u32 v[0:1], s[6:7], v3, s2, v[0:1]
	v_mad_u64_u32 v[2:3], s[2:3], v3, s3, v[2:3]
.LBB37_32:
	s_and_b64 vcc, exec, s[0:1]
	v_add_u32_e32 v1, 0x80, v24
	s_cbranch_vccnz .LBB37_39
; %bb.33:
	s_mov_b32 s2, 0
	s_cmp_lg_u32 s33, 0
	v_mov_b32_e32 v6, 0
	v_mov_b32_e32 v4, 0
	s_cbranch_scc0 .LBB37_38
; %bb.34:
	s_min_u32 s30, s58, 15
	s_add_i32 s30, s30, 1
	s_cmp_eq_u32 s58, 2
	s_cbranch_scc1 .LBB37_40
; %bb.35:
	s_add_u32 s6, s34, 0xc4
	s_addc_u32 s7, s35, 0
	s_and_b32 s2, s30, 28
	s_mov_b32 s3, 0
	v_mov_b32_e32 v4, 0
	s_mov_b64 s[28:29], s[34:35]
	v_mov_b32_e32 v3, v1
	v_mov_b32_e32 v6, 0
.LBB37_36:                              ; =>This Inner Loop Header: Depth=1
	s_load_dwordx8 s[16:23], s[28:29], 0x4
	s_load_dwordx4 s[24:27], s[28:29], 0x24
	s_load_dwordx8 s[8:15], s[6:7], 0x0
	s_add_u32 s28, s28, 48
	s_addc_u32 s29, s29, 0
	s_waitcnt lgkmcnt(0)
	v_mul_hi_u32 v5, s17, v3
	v_add_u32_e32 v5, v3, v5
	v_lshrrev_b32_e32 v5, s18, v5
	v_mul_lo_u32 v7, v5, s16
	v_mul_hi_u32 v8, s20, v5
	v_sub_u32_e32 v3, v3, v7
	v_add_u32_e32 v7, v5, v8
	v_lshrrev_b32_e32 v7, s21, v7
	v_mul_lo_u32 v9, v7, s19
	v_mul_hi_u32 v10, s23, v7
	v_sub_u32_e32 v5, v5, v9
	v_add_u32_e32 v9, v7, v10
	v_mul_lo_u32 v8, v3, s9
	v_mul_lo_u32 v3, v3, s8
	;; [unrolled: 1-line block ×4, first 2 shown]
	v_lshrrev_b32_e32 v9, s24, v9
	v_add3_u32 v4, v3, v4, v5
	v_add3_u32 v5, v8, v6, v10
	v_mul_lo_u32 v3, v9, s22
	v_mul_hi_u32 v6, s26, v9
	v_sub_u32_e32 v3, v7, v3
	v_add_u32_e32 v6, v9, v6
	v_mul_lo_u32 v7, v3, s12
	v_mul_lo_u32 v8, v3, s13
	v_lshrrev_b32_e32 v3, s27, v6
	s_add_i32 s3, s3, 4
	v_mul_lo_u32 v6, v3, s25
	s_add_u32 s6, s6, 32
	v_sub_u32_e32 v6, v9, v6
	s_addc_u32 s7, s7, 0
	v_mul_lo_u32 v9, v6, s14
	v_mul_lo_u32 v6, v6, s15
	s_cmp_lg_u32 s2, s3
	v_add3_u32 v6, v8, v5, v6
	v_add3_u32 v4, v7, v4, v9
	s_cbranch_scc1 .LBB37_36
; %bb.37:
	v_mov_b32_e32 v5, v6
	s_and_b32 s8, s30, 3
	s_cmp_eq_u32 s8, 0
	s_cbranch_scc0 .LBB37_41
.LBB37_38:
	s_cbranch_execz .LBB37_44
	s_branch .LBB37_46
.LBB37_39:
                                        ; implicit-def: $vgpr6
                                        ; implicit-def: $vgpr4
	s_branch .LBB37_44
.LBB37_40:
	s_mov_b32 s3, s2
	v_pk_mov_b32 v[4:5], s[2:3], s[2:3] op_sel:[0,1]
                                        ; implicit-def: $vgpr6
	v_mov_b32_e32 v3, v1
	s_and_b32 s8, s30, 3
	s_cmp_eq_u32 s8, 0
	s_cbranch_scc1 .LBB37_38
.LBB37_41:
	s_lshl_b32 s3, s2, 3
	s_add_u32 s3, s3, s34
	s_addc_u32 s7, 0, s35
	s_add_u32 s6, s3, 0xc4
	s_addc_u32 s7, s7, 0
	s_mul_i32 s2, s2, 12
	s_add_u32 s2, s34, s2
	s_addc_u32 s3, 0, s35
.LBB37_42:                              ; =>This Inner Loop Header: Depth=1
	s_load_dwordx2 s[10:11], s[2:3], 0x4
	s_load_dword s9, s[2:3], 0xc
	s_load_dwordx2 s[12:13], s[6:7], 0x0
	v_mov_b32_e32 v6, v5
	s_add_u32 s2, s2, 12
	s_waitcnt lgkmcnt(0)
	v_mul_hi_u32 v5, s11, v3
	v_add_u32_e32 v5, v3, v5
	v_lshrrev_b32_e32 v5, s9, v5
	s_addc_u32 s3, s3, 0
	v_mul_lo_u32 v7, v5, s10
	s_add_u32 s6, s6, 8
	v_sub_u32_e32 v8, v3, v7
	s_addc_u32 s7, s7, 0
	s_add_i32 s8, s8, -1
	v_mov_b32_e32 v3, v5
	v_mad_u64_u32 v[6:7], s[10:11], v8, s13, v[6:7]
	v_mad_u64_u32 v[4:5], s[10:11], v8, s12, v[4:5]
	s_cmp_lg_u32 s8, 0
	v_mov_b32_e32 v5, v6
	s_cbranch_scc1 .LBB37_42
; %bb.43:
	v_mov_b32_e32 v6, v5
	s_cbranch_execnz .LBB37_46
.LBB37_44:
	s_load_dwordx4 s[8:11], s[34:35], 0x4
	s_load_dwordx2 s[2:3], s[34:35], 0xc4
	s_cmp_lt_u32 s33, 2
	s_waitcnt lgkmcnt(0)
	v_mul_hi_u32 v3, s9, v1
	v_add_u32_e32 v3, v1, v3
	v_lshrrev_b32_e32 v3, s10, v3
	v_mul_lo_u32 v4, v3, s8
	v_sub_u32_e32 v1, v1, v4
	v_mul_lo_u32 v6, v1, s3
	v_mul_lo_u32 v4, v1, s2
	s_cbranch_scc1 .LBB37_46
; %bb.45:
	s_load_dwordx4 s[8:11], s[34:35], 0x10
	s_load_dwordx2 s[2:3], s[34:35], 0xcc
	s_waitcnt lgkmcnt(0)
	v_mul_hi_u32 v1, s9, v3
	v_add_u32_e32 v1, v3, v1
	v_lshrrev_b32_e32 v1, s10, v1
	v_mul_lo_u32 v1, v1, s8
	v_sub_u32_e32 v1, v3, v1
	v_mad_u64_u32 v[4:5], s[6:7], v1, s2, v[4:5]
	v_mad_u64_u32 v[6:7], s[2:3], v1, s3, v[6:7]
.LBB37_46:
	s_and_b64 vcc, exec, s[0:1]
	v_add_u32_e32 v1, 0x100, v24
	s_cbranch_vccnz .LBB37_53
; %bb.47:
	s_mov_b32 s2, 0
	s_cmp_lg_u32 s33, 0
	v_mov_b32_e32 v10, 0
	v_mov_b32_e32 v8, 0
	s_cbranch_scc0 .LBB37_52
; %bb.48:
	s_min_u32 s30, s58, 15
	s_add_i32 s30, s30, 1
	s_cmp_eq_u32 s58, 2
	s_cbranch_scc1 .LBB37_54
; %bb.49:
	s_add_u32 s6, s34, 0xc4
	s_addc_u32 s7, s35, 0
	s_and_b32 s2, s30, 28
	s_mov_b32 s3, 0
	v_mov_b32_e32 v8, 0
	s_mov_b64 s[28:29], s[34:35]
	v_mov_b32_e32 v3, v1
	v_mov_b32_e32 v10, 0
.LBB37_50:                              ; =>This Inner Loop Header: Depth=1
	s_load_dwordx8 s[16:23], s[28:29], 0x4
	s_load_dwordx4 s[24:27], s[28:29], 0x24
	s_load_dwordx8 s[8:15], s[6:7], 0x0
	s_add_u32 s28, s28, 48
	s_addc_u32 s29, s29, 0
	s_waitcnt lgkmcnt(0)
	v_mul_hi_u32 v5, s17, v3
	v_add_u32_e32 v5, v3, v5
	v_lshrrev_b32_e32 v5, s18, v5
	v_mul_lo_u32 v7, v5, s16
	v_mul_hi_u32 v9, s20, v5
	v_sub_u32_e32 v3, v3, v7
	v_add_u32_e32 v7, v5, v9
	v_lshrrev_b32_e32 v7, s21, v7
	v_mul_lo_u32 v11, v7, s19
	v_mul_hi_u32 v12, s23, v7
	v_sub_u32_e32 v5, v5, v11
	v_add_u32_e32 v11, v7, v12
	v_mul_lo_u32 v9, v3, s9
	v_mul_lo_u32 v3, v3, s8
	;; [unrolled: 1-line block ×4, first 2 shown]
	v_lshrrev_b32_e32 v11, s24, v11
	v_add3_u32 v5, v3, v8, v5
	v_add3_u32 v8, v9, v10, v12
	v_mul_lo_u32 v3, v11, s22
	v_mul_hi_u32 v9, s26, v11
	v_sub_u32_e32 v3, v7, v3
	v_add_u32_e32 v7, v11, v9
	v_mul_lo_u32 v9, v3, s12
	v_mul_lo_u32 v10, v3, s13
	v_lshrrev_b32_e32 v3, s27, v7
	s_add_i32 s3, s3, 4
	v_mul_lo_u32 v7, v3, s25
	s_add_u32 s6, s6, 32
	v_sub_u32_e32 v7, v11, v7
	s_addc_u32 s7, s7, 0
	v_mul_lo_u32 v11, v7, s14
	v_mul_lo_u32 v7, v7, s15
	s_cmp_lg_u32 s2, s3
	v_add3_u32 v10, v10, v8, v7
	v_add3_u32 v8, v9, v5, v11
	s_cbranch_scc1 .LBB37_50
; %bb.51:
	v_mov_b32_e32 v9, v10
	s_and_b32 s8, s30, 3
	s_cmp_eq_u32 s8, 0
	s_cbranch_scc0 .LBB37_55
.LBB37_52:
	s_cbranch_execz .LBB37_58
	s_branch .LBB37_60
.LBB37_53:
                                        ; implicit-def: $vgpr10
                                        ; implicit-def: $vgpr8
	s_branch .LBB37_58
.LBB37_54:
	s_mov_b32 s3, s2
	v_pk_mov_b32 v[8:9], s[2:3], s[2:3] op_sel:[0,1]
                                        ; implicit-def: $vgpr10
	v_mov_b32_e32 v3, v1
	s_and_b32 s8, s30, 3
	s_cmp_eq_u32 s8, 0
	s_cbranch_scc1 .LBB37_52
.LBB37_55:
	s_lshl_b32 s3, s2, 3
	s_add_u32 s3, s3, s34
	s_addc_u32 s7, 0, s35
	s_add_u32 s6, s3, 0xc4
	s_addc_u32 s7, s7, 0
	s_mul_i32 s2, s2, 12
	s_add_u32 s2, s34, s2
	s_addc_u32 s3, 0, s35
.LBB37_56:                              ; =>This Inner Loop Header: Depth=1
	s_load_dwordx2 s[10:11], s[2:3], 0x4
	s_load_dword s9, s[2:3], 0xc
	s_load_dwordx2 s[12:13], s[6:7], 0x0
	s_add_u32 s2, s2, 12
	s_addc_u32 s3, s3, 0
	s_waitcnt lgkmcnt(0)
	v_mul_hi_u32 v5, s11, v3
	v_add_u32_e32 v5, v3, v5
	v_lshrrev_b32_e32 v5, s9, v5
	v_mul_lo_u32 v7, v5, s10
	v_mov_b32_e32 v10, v9
	s_add_u32 s6, s6, 8
	v_sub_u32_e32 v7, v3, v7
	s_addc_u32 s7, s7, 0
	s_add_i32 s8, s8, -1
	v_mad_u64_u32 v[10:11], s[10:11], v7, s13, v[10:11]
	v_mad_u64_u32 v[8:9], s[10:11], v7, s12, v[8:9]
	s_cmp_lg_u32 s8, 0
	v_mov_b32_e32 v3, v5
	v_mov_b32_e32 v9, v10
	s_cbranch_scc1 .LBB37_56
; %bb.57:
	v_mov_b32_e32 v10, v9
	s_cbranch_execnz .LBB37_60
.LBB37_58:
	s_load_dwordx4 s[8:11], s[34:35], 0x4
	s_load_dwordx2 s[2:3], s[34:35], 0xc4
	s_cmp_lt_u32 s33, 2
	s_waitcnt lgkmcnt(0)
	v_mul_hi_u32 v3, s9, v1
	v_add_u32_e32 v3, v1, v3
	v_lshrrev_b32_e32 v3, s10, v3
	v_mul_lo_u32 v5, v3, s8
	v_sub_u32_e32 v1, v1, v5
	v_mul_lo_u32 v10, v1, s3
	v_mul_lo_u32 v8, v1, s2
	s_cbranch_scc1 .LBB37_60
; %bb.59:
	s_load_dwordx4 s[8:11], s[34:35], 0x10
	s_load_dwordx2 s[2:3], s[34:35], 0xcc
	s_waitcnt lgkmcnt(0)
	v_mul_hi_u32 v1, s9, v3
	v_add_u32_e32 v1, v3, v1
	v_lshrrev_b32_e32 v1, s10, v1
	v_mul_lo_u32 v1, v1, s8
	v_sub_u32_e32 v1, v3, v1
	v_mad_u64_u32 v[8:9], s[6:7], v1, s2, v[8:9]
	v_mad_u64_u32 v[10:11], s[2:3], v1, s3, v[10:11]
.LBB37_60:
	s_and_b64 vcc, exec, s[0:1]
	v_add_u32_e32 v1, 0x180, v24
	s_cbranch_vccnz .LBB37_67
; %bb.61:
	s_mov_b32 s2, 0
	s_cmp_lg_u32 s33, 0
	v_mov_b32_e32 v14, 0
	v_mov_b32_e32 v12, 0
	s_cbranch_scc0 .LBB37_66
; %bb.62:
	s_min_u32 s30, s58, 15
	s_add_i32 s30, s30, 1
	s_cmp_eq_u32 s58, 2
	s_cbranch_scc1 .LBB37_68
; %bb.63:
	s_add_u32 s6, s34, 0xc4
	s_addc_u32 s7, s35, 0
	s_and_b32 s2, s30, 28
	s_mov_b32 s3, 0
	v_mov_b32_e32 v12, 0
	s_mov_b64 s[28:29], s[34:35]
	v_mov_b32_e32 v3, v1
	v_mov_b32_e32 v14, 0
.LBB37_64:                              ; =>This Inner Loop Header: Depth=1
	s_load_dwordx8 s[16:23], s[28:29], 0x4
	s_load_dwordx4 s[24:27], s[28:29], 0x24
	s_load_dwordx8 s[8:15], s[6:7], 0x0
	s_add_u32 s28, s28, 48
	s_addc_u32 s29, s29, 0
	s_waitcnt lgkmcnt(0)
	v_mul_hi_u32 v5, s17, v3
	v_add_u32_e32 v5, v3, v5
	v_lshrrev_b32_e32 v5, s18, v5
	v_mul_lo_u32 v7, v5, s16
	v_mul_hi_u32 v9, s20, v5
	v_sub_u32_e32 v3, v3, v7
	v_add_u32_e32 v7, v5, v9
	v_lshrrev_b32_e32 v7, s21, v7
	v_mul_lo_u32 v11, v7, s19
	v_mul_hi_u32 v13, s23, v7
	v_sub_u32_e32 v5, v5, v11
	v_add_u32_e32 v11, v7, v13
	v_mul_lo_u32 v9, v3, s9
	v_mul_lo_u32 v3, v3, s8
	;; [unrolled: 1-line block ×4, first 2 shown]
	v_lshrrev_b32_e32 v11, s24, v11
	v_add3_u32 v5, v3, v12, v5
	v_mul_lo_u32 v3, v11, s22
	v_mul_hi_u32 v12, s26, v11
	v_sub_u32_e32 v3, v7, v3
	v_add_u32_e32 v7, v11, v12
	v_add3_u32 v9, v9, v14, v13
	v_mul_lo_u32 v12, v3, s12
	v_mul_lo_u32 v13, v3, s13
	v_lshrrev_b32_e32 v3, s27, v7
	s_add_i32 s3, s3, 4
	v_mul_lo_u32 v7, v3, s25
	s_add_u32 s6, s6, 32
	v_sub_u32_e32 v7, v11, v7
	s_addc_u32 s7, s7, 0
	v_mul_lo_u32 v11, v7, s14
	v_mul_lo_u32 v7, v7, s15
	s_cmp_lg_u32 s2, s3
	v_add3_u32 v14, v13, v9, v7
	v_add3_u32 v12, v12, v5, v11
	s_cbranch_scc1 .LBB37_64
; %bb.65:
	v_mov_b32_e32 v13, v14
	s_and_b32 s8, s30, 3
	s_cmp_eq_u32 s8, 0
	s_cbranch_scc0 .LBB37_69
.LBB37_66:
	s_cbranch_execz .LBB37_72
	s_branch .LBB37_74
.LBB37_67:
                                        ; implicit-def: $vgpr14
                                        ; implicit-def: $vgpr12
	s_branch .LBB37_72
.LBB37_68:
	s_mov_b32 s3, s2
	v_pk_mov_b32 v[12:13], s[2:3], s[2:3] op_sel:[0,1]
                                        ; implicit-def: $vgpr14
	v_mov_b32_e32 v3, v1
	s_and_b32 s8, s30, 3
	s_cmp_eq_u32 s8, 0
	s_cbranch_scc1 .LBB37_66
.LBB37_69:
	s_lshl_b32 s3, s2, 3
	s_add_u32 s3, s3, s34
	s_addc_u32 s7, 0, s35
	s_add_u32 s6, s3, 0xc4
	s_addc_u32 s7, s7, 0
	s_mul_i32 s2, s2, 12
	s_add_u32 s2, s34, s2
	s_addc_u32 s3, 0, s35
.LBB37_70:                              ; =>This Inner Loop Header: Depth=1
	s_load_dwordx2 s[10:11], s[2:3], 0x4
	s_load_dword s9, s[2:3], 0xc
	s_load_dwordx2 s[12:13], s[6:7], 0x0
	s_add_u32 s2, s2, 12
	s_addc_u32 s3, s3, 0
	s_waitcnt lgkmcnt(0)
	v_mul_hi_u32 v5, s11, v3
	v_add_u32_e32 v5, v3, v5
	v_lshrrev_b32_e32 v5, s9, v5
	v_mul_lo_u32 v7, v5, s10
	v_mov_b32_e32 v14, v13
	s_add_u32 s6, s6, 8
	v_sub_u32_e32 v7, v3, v7
	s_addc_u32 s7, s7, 0
	s_add_i32 s8, s8, -1
	v_mad_u64_u32 v[14:15], s[10:11], v7, s13, v[14:15]
	v_mad_u64_u32 v[12:13], s[10:11], v7, s12, v[12:13]
	s_cmp_lg_u32 s8, 0
	v_mov_b32_e32 v3, v5
	v_mov_b32_e32 v13, v14
	s_cbranch_scc1 .LBB37_70
; %bb.71:
	v_mov_b32_e32 v14, v13
	s_cbranch_execnz .LBB37_74
.LBB37_72:
	s_load_dwordx4 s[8:11], s[34:35], 0x4
	s_load_dwordx2 s[2:3], s[34:35], 0xc4
	s_cmp_lt_u32 s33, 2
	s_waitcnt lgkmcnt(0)
	v_mul_hi_u32 v3, s9, v1
	v_add_u32_e32 v3, v1, v3
	v_lshrrev_b32_e32 v3, s10, v3
	v_mul_lo_u32 v5, v3, s8
	v_sub_u32_e32 v1, v1, v5
	v_mul_lo_u32 v14, v1, s3
	v_mul_lo_u32 v12, v1, s2
	s_cbranch_scc1 .LBB37_74
; %bb.73:
	s_load_dwordx4 s[8:11], s[34:35], 0x10
	s_load_dwordx2 s[2:3], s[34:35], 0xcc
	s_waitcnt lgkmcnt(0)
	v_mul_hi_u32 v1, s9, v3
	v_add_u32_e32 v1, v3, v1
	v_lshrrev_b32_e32 v1, s10, v1
	v_mul_lo_u32 v1, v1, s8
	v_sub_u32_e32 v1, v3, v1
	v_mad_u64_u32 v[12:13], s[6:7], v1, s2, v[12:13]
	v_mad_u64_u32 v[14:15], s[2:3], v1, s3, v[14:15]
.LBB37_74:
	s_and_b64 vcc, exec, s[0:1]
	v_add_u32_e32 v1, 0x200, v24
	s_cbranch_vccnz .LBB37_81
; %bb.75:
	s_mov_b32 s2, 0
	s_cmp_lg_u32 s33, 0
	v_mov_b32_e32 v18, 0
	v_mov_b32_e32 v16, 0
	s_cbranch_scc0 .LBB37_80
; %bb.76:
	s_min_u32 s30, s58, 15
	s_add_i32 s30, s30, 1
	s_cmp_eq_u32 s58, 2
	s_cbranch_scc1 .LBB37_82
; %bb.77:
	s_add_u32 s6, s34, 0xc4
	s_addc_u32 s7, s35, 0
	s_and_b32 s2, s30, 28
	s_mov_b32 s3, 0
	v_mov_b32_e32 v16, 0
	s_mov_b64 s[28:29], s[34:35]
	v_mov_b32_e32 v3, v1
	v_mov_b32_e32 v18, 0
.LBB37_78:                              ; =>This Inner Loop Header: Depth=1
	s_load_dwordx8 s[16:23], s[28:29], 0x4
	s_load_dwordx4 s[24:27], s[28:29], 0x24
	s_load_dwordx8 s[8:15], s[6:7], 0x0
	s_add_u32 s28, s28, 48
	s_addc_u32 s29, s29, 0
	s_waitcnt lgkmcnt(0)
	v_mul_hi_u32 v5, s17, v3
	v_add_u32_e32 v5, v3, v5
	v_lshrrev_b32_e32 v5, s18, v5
	v_mul_lo_u32 v7, v5, s16
	v_mul_hi_u32 v9, s20, v5
	v_sub_u32_e32 v3, v3, v7
	v_add_u32_e32 v7, v5, v9
	v_lshrrev_b32_e32 v7, s21, v7
	v_mul_lo_u32 v11, v7, s19
	v_mul_hi_u32 v13, s23, v7
	v_sub_u32_e32 v5, v5, v11
	v_add_u32_e32 v11, v7, v13
	v_mul_lo_u32 v9, v3, s9
	v_mul_lo_u32 v3, v3, s8
	;; [unrolled: 1-line block ×4, first 2 shown]
	v_lshrrev_b32_e32 v11, s24, v11
	v_add3_u32 v5, v3, v16, v5
	v_add3_u32 v9, v9, v18, v13
	v_mul_lo_u32 v3, v11, s22
	v_mul_hi_u32 v13, s26, v11
	v_sub_u32_e32 v3, v7, v3
	v_add_u32_e32 v7, v11, v13
	v_mul_lo_u32 v13, v3, s12
	v_mul_lo_u32 v15, v3, s13
	v_lshrrev_b32_e32 v3, s27, v7
	s_add_i32 s3, s3, 4
	v_mul_lo_u32 v7, v3, s25
	s_add_u32 s6, s6, 32
	v_sub_u32_e32 v7, v11, v7
	s_addc_u32 s7, s7, 0
	v_mul_lo_u32 v11, v7, s14
	v_mul_lo_u32 v7, v7, s15
	s_cmp_lg_u32 s2, s3
	v_add3_u32 v18, v15, v9, v7
	v_add3_u32 v16, v13, v5, v11
	s_cbranch_scc1 .LBB37_78
; %bb.79:
	v_mov_b32_e32 v17, v18
	s_and_b32 s8, s30, 3
	s_cmp_eq_u32 s8, 0
	s_cbranch_scc0 .LBB37_83
.LBB37_80:
	s_cbranch_execz .LBB37_86
	s_branch .LBB37_88
.LBB37_81:
                                        ; implicit-def: $vgpr18
                                        ; implicit-def: $vgpr16
	s_branch .LBB37_86
.LBB37_82:
	s_mov_b32 s3, s2
	v_pk_mov_b32 v[16:17], s[2:3], s[2:3] op_sel:[0,1]
                                        ; implicit-def: $vgpr18
	v_mov_b32_e32 v3, v1
	s_and_b32 s8, s30, 3
	s_cmp_eq_u32 s8, 0
	s_cbranch_scc1 .LBB37_80
.LBB37_83:
	s_lshl_b32 s3, s2, 3
	s_add_u32 s3, s3, s34
	s_addc_u32 s7, 0, s35
	s_add_u32 s6, s3, 0xc4
	s_addc_u32 s7, s7, 0
	s_mul_i32 s2, s2, 12
	s_add_u32 s2, s34, s2
	s_addc_u32 s3, 0, s35
.LBB37_84:                              ; =>This Inner Loop Header: Depth=1
	s_load_dwordx2 s[10:11], s[2:3], 0x4
	s_load_dword s9, s[2:3], 0xc
	s_load_dwordx2 s[12:13], s[6:7], 0x0
	s_add_u32 s2, s2, 12
	s_addc_u32 s3, s3, 0
	s_waitcnt lgkmcnt(0)
	v_mul_hi_u32 v5, s11, v3
	v_add_u32_e32 v5, v3, v5
	v_lshrrev_b32_e32 v5, s9, v5
	v_mul_lo_u32 v7, v5, s10
	v_mov_b32_e32 v18, v17
	s_add_u32 s6, s6, 8
	v_sub_u32_e32 v7, v3, v7
	s_addc_u32 s7, s7, 0
	s_add_i32 s8, s8, -1
	v_mad_u64_u32 v[18:19], s[10:11], v7, s13, v[18:19]
	v_mad_u64_u32 v[16:17], s[10:11], v7, s12, v[16:17]
	s_cmp_lg_u32 s8, 0
	v_mov_b32_e32 v3, v5
	v_mov_b32_e32 v17, v18
	s_cbranch_scc1 .LBB37_84
; %bb.85:
	v_mov_b32_e32 v18, v17
	s_cbranch_execnz .LBB37_88
.LBB37_86:
	s_load_dwordx4 s[8:11], s[34:35], 0x4
	s_load_dwordx2 s[2:3], s[34:35], 0xc4
	s_cmp_lt_u32 s33, 2
	s_waitcnt lgkmcnt(0)
	v_mul_hi_u32 v3, s9, v1
	v_add_u32_e32 v3, v1, v3
	v_lshrrev_b32_e32 v3, s10, v3
	v_mul_lo_u32 v5, v3, s8
	v_sub_u32_e32 v1, v1, v5
	v_mul_lo_u32 v18, v1, s3
	v_mul_lo_u32 v16, v1, s2
	s_cbranch_scc1 .LBB37_88
; %bb.87:
	s_load_dwordx4 s[8:11], s[34:35], 0x10
	s_load_dwordx2 s[2:3], s[34:35], 0xcc
	s_waitcnt lgkmcnt(0)
	v_mul_hi_u32 v1, s9, v3
	v_add_u32_e32 v1, v3, v1
	v_lshrrev_b32_e32 v1, s10, v1
	v_mul_lo_u32 v1, v1, s8
	v_sub_u32_e32 v1, v3, v1
	v_mad_u64_u32 v[16:17], s[6:7], v1, s2, v[16:17]
	v_mad_u64_u32 v[18:19], s[2:3], v1, s3, v[18:19]
.LBB37_88:
	s_and_b64 vcc, exec, s[0:1]
	v_add_u32_e32 v1, 0x280, v24
	s_cbranch_vccnz .LBB37_95
; %bb.89:
	s_mov_b32 s2, 0
	s_cmp_lg_u32 s33, 0
	v_mov_b32_e32 v22, 0
	v_mov_b32_e32 v20, 0
	s_cbranch_scc0 .LBB37_94
; %bb.90:
	s_min_u32 s30, s58, 15
	s_add_i32 s30, s30, 1
	s_cmp_eq_u32 s58, 2
	s_cbranch_scc1 .LBB37_96
; %bb.91:
	s_add_u32 s6, s34, 0xc4
	s_addc_u32 s7, s35, 0
	s_and_b32 s2, s30, 28
	s_mov_b32 s3, 0
	v_mov_b32_e32 v20, 0
	s_mov_b64 s[28:29], s[34:35]
	v_mov_b32_e32 v3, v1
	v_mov_b32_e32 v22, 0
.LBB37_92:                              ; =>This Inner Loop Header: Depth=1
	s_load_dwordx8 s[16:23], s[28:29], 0x4
	s_load_dwordx4 s[24:27], s[28:29], 0x24
	s_load_dwordx8 s[8:15], s[6:7], 0x0
	s_add_u32 s28, s28, 48
	s_addc_u32 s29, s29, 0
	s_waitcnt lgkmcnt(0)
	v_mul_hi_u32 v5, s17, v3
	v_add_u32_e32 v5, v3, v5
	v_lshrrev_b32_e32 v5, s18, v5
	v_mul_lo_u32 v7, v5, s16
	v_mul_hi_u32 v9, s20, v5
	v_sub_u32_e32 v3, v3, v7
	v_add_u32_e32 v7, v5, v9
	v_lshrrev_b32_e32 v7, s21, v7
	v_mul_lo_u32 v11, v7, s19
	v_mul_hi_u32 v13, s23, v7
	v_sub_u32_e32 v5, v5, v11
	v_add_u32_e32 v11, v7, v13
	v_mul_lo_u32 v9, v3, s9
	v_mul_lo_u32 v3, v3, s8
	;; [unrolled: 1-line block ×4, first 2 shown]
	v_lshrrev_b32_e32 v11, s24, v11
	v_add3_u32 v5, v3, v20, v5
	v_add3_u32 v9, v9, v22, v13
	v_mul_lo_u32 v3, v11, s22
	v_mul_hi_u32 v13, s26, v11
	v_sub_u32_e32 v3, v7, v3
	v_add_u32_e32 v7, v11, v13
	v_mul_lo_u32 v13, v3, s12
	v_mul_lo_u32 v15, v3, s13
	v_lshrrev_b32_e32 v3, s27, v7
	s_add_i32 s3, s3, 4
	v_mul_lo_u32 v7, v3, s25
	s_add_u32 s6, s6, 32
	v_sub_u32_e32 v7, v11, v7
	s_addc_u32 s7, s7, 0
	v_mul_lo_u32 v11, v7, s14
	v_mul_lo_u32 v7, v7, s15
	s_cmp_lg_u32 s2, s3
	v_add3_u32 v22, v15, v9, v7
	v_add3_u32 v20, v13, v5, v11
	s_cbranch_scc1 .LBB37_92
; %bb.93:
	v_mov_b32_e32 v21, v22
	s_and_b32 s8, s30, 3
	s_cmp_eq_u32 s8, 0
	s_cbranch_scc0 .LBB37_97
.LBB37_94:
	s_cbranch_execz .LBB37_100
	s_branch .LBB37_102
.LBB37_95:
                                        ; implicit-def: $vgpr22
                                        ; implicit-def: $vgpr20
	s_branch .LBB37_100
.LBB37_96:
	s_mov_b32 s3, s2
	v_pk_mov_b32 v[20:21], s[2:3], s[2:3] op_sel:[0,1]
                                        ; implicit-def: $vgpr22
	v_mov_b32_e32 v3, v1
	s_and_b32 s8, s30, 3
	s_cmp_eq_u32 s8, 0
	s_cbranch_scc1 .LBB37_94
.LBB37_97:
	s_lshl_b32 s3, s2, 3
	s_add_u32 s3, s3, s34
	s_addc_u32 s7, 0, s35
	s_add_u32 s6, s3, 0xc4
	s_addc_u32 s7, s7, 0
	s_mul_i32 s2, s2, 12
	s_add_u32 s2, s34, s2
	s_addc_u32 s3, 0, s35
.LBB37_98:                              ; =>This Inner Loop Header: Depth=1
	s_load_dwordx2 s[10:11], s[2:3], 0x4
	s_load_dword s9, s[2:3], 0xc
	s_load_dwordx2 s[12:13], s[6:7], 0x0
	s_add_u32 s2, s2, 12
	s_addc_u32 s3, s3, 0
	s_waitcnt lgkmcnt(0)
	v_mul_hi_u32 v5, s11, v3
	v_add_u32_e32 v5, v3, v5
	v_lshrrev_b32_e32 v5, s9, v5
	v_mul_lo_u32 v7, v5, s10
	v_mov_b32_e32 v22, v21
	s_add_u32 s6, s6, 8
	v_sub_u32_e32 v7, v3, v7
	s_addc_u32 s7, s7, 0
	s_add_i32 s8, s8, -1
	v_mad_u64_u32 v[22:23], s[10:11], v7, s13, v[22:23]
	v_mad_u64_u32 v[20:21], s[10:11], v7, s12, v[20:21]
	s_cmp_lg_u32 s8, 0
	v_mov_b32_e32 v3, v5
	v_mov_b32_e32 v21, v22
	s_cbranch_scc1 .LBB37_98
; %bb.99:
	v_mov_b32_e32 v22, v21
	s_cbranch_execnz .LBB37_102
.LBB37_100:
	s_load_dwordx4 s[8:11], s[34:35], 0x4
	s_load_dwordx2 s[2:3], s[34:35], 0xc4
	s_cmp_lt_u32 s33, 2
	s_waitcnt lgkmcnt(0)
	v_mul_hi_u32 v3, s9, v1
	v_add_u32_e32 v3, v1, v3
	v_lshrrev_b32_e32 v3, s10, v3
	v_mul_lo_u32 v5, v3, s8
	v_sub_u32_e32 v1, v1, v5
	v_mul_lo_u32 v22, v1, s3
	v_mul_lo_u32 v20, v1, s2
	s_cbranch_scc1 .LBB37_102
; %bb.101:
	s_load_dwordx4 s[8:11], s[34:35], 0x10
	s_load_dwordx2 s[2:3], s[34:35], 0xcc
	s_waitcnt lgkmcnt(0)
	v_mul_hi_u32 v1, s9, v3
	v_add_u32_e32 v1, v3, v1
	v_lshrrev_b32_e32 v1, s10, v1
	v_mul_lo_u32 v1, v1, s8
	v_sub_u32_e32 v1, v3, v1
	v_mad_u64_u32 v[20:21], s[6:7], v1, s2, v[20:21]
	v_mad_u64_u32 v[22:23], s[2:3], v1, s3, v[22:23]
.LBB37_102:
	s_and_b64 vcc, exec, s[0:1]
	v_add_u32_e32 v1, 0x300, v24
	s_cbranch_vccnz .LBB37_109
; %bb.103:
	s_mov_b32 s2, 0
	s_cmp_lg_u32 s33, 0
	v_mov_b32_e32 v26, 0
	v_mov_b32_e32 v24, 0
	s_cbranch_scc0 .LBB37_108
; %bb.104:
	s_min_u32 s30, s58, 15
	s_add_i32 s30, s30, 1
	s_cmp_eq_u32 s58, 2
	s_cbranch_scc1 .LBB37_110
; %bb.105:
	s_add_u32 s6, s34, 0xc4
	s_addc_u32 s7, s35, 0
	s_and_b32 s2, s30, 28
	s_mov_b32 s3, 0
	v_mov_b32_e32 v24, 0
	s_mov_b64 s[28:29], s[34:35]
	v_mov_b32_e32 v3, v1
	v_mov_b32_e32 v26, 0
.LBB37_106:                             ; =>This Inner Loop Header: Depth=1
	s_load_dwordx8 s[16:23], s[28:29], 0x4
	s_load_dwordx4 s[24:27], s[28:29], 0x24
	s_load_dwordx8 s[8:15], s[6:7], 0x0
	s_add_u32 s28, s28, 48
	s_addc_u32 s29, s29, 0
	s_waitcnt lgkmcnt(0)
	v_mul_hi_u32 v5, s17, v3
	v_add_u32_e32 v5, v3, v5
	v_lshrrev_b32_e32 v5, s18, v5
	v_mul_lo_u32 v7, v5, s16
	v_mul_hi_u32 v9, s20, v5
	v_sub_u32_e32 v3, v3, v7
	v_add_u32_e32 v7, v5, v9
	v_lshrrev_b32_e32 v7, s21, v7
	v_mul_lo_u32 v11, v7, s19
	v_mul_hi_u32 v13, s23, v7
	v_sub_u32_e32 v5, v5, v11
	v_add_u32_e32 v11, v7, v13
	v_mul_lo_u32 v9, v3, s9
	v_mul_lo_u32 v3, v3, s8
	;; [unrolled: 1-line block ×4, first 2 shown]
	v_lshrrev_b32_e32 v11, s24, v11
	v_add3_u32 v5, v3, v24, v5
	v_add3_u32 v9, v9, v26, v13
	v_mul_lo_u32 v3, v11, s22
	v_mul_hi_u32 v13, s26, v11
	v_sub_u32_e32 v3, v7, v3
	v_add_u32_e32 v7, v11, v13
	v_mul_lo_u32 v13, v3, s12
	v_mul_lo_u32 v15, v3, s13
	v_lshrrev_b32_e32 v3, s27, v7
	s_add_i32 s3, s3, 4
	v_mul_lo_u32 v7, v3, s25
	s_add_u32 s6, s6, 32
	v_sub_u32_e32 v7, v11, v7
	s_addc_u32 s7, s7, 0
	v_mul_lo_u32 v11, v7, s14
	v_mul_lo_u32 v7, v7, s15
	s_cmp_lg_u32 s2, s3
	v_add3_u32 v26, v15, v9, v7
	v_add3_u32 v24, v13, v5, v11
	s_cbranch_scc1 .LBB37_106
; %bb.107:
	v_mov_b32_e32 v25, v26
	s_and_b32 s8, s30, 3
	s_cmp_eq_u32 s8, 0
	s_cbranch_scc0 .LBB37_111
.LBB37_108:
	s_cbranch_execz .LBB37_114
	s_branch .LBB37_116
.LBB37_109:
                                        ; implicit-def: $vgpr26
                                        ; implicit-def: $vgpr24
	s_branch .LBB37_114
.LBB37_110:
	s_mov_b32 s3, s2
	v_pk_mov_b32 v[24:25], s[2:3], s[2:3] op_sel:[0,1]
                                        ; implicit-def: $vgpr26
	v_mov_b32_e32 v3, v1
	s_and_b32 s8, s30, 3
	s_cmp_eq_u32 s8, 0
	s_cbranch_scc1 .LBB37_108
.LBB37_111:
	s_lshl_b32 s3, s2, 3
	s_add_u32 s3, s3, s34
	s_addc_u32 s7, 0, s35
	s_add_u32 s6, s3, 0xc4
	s_addc_u32 s7, s7, 0
	s_mul_i32 s2, s2, 12
	s_add_u32 s2, s34, s2
	s_addc_u32 s3, 0, s35
.LBB37_112:                             ; =>This Inner Loop Header: Depth=1
	s_load_dwordx2 s[10:11], s[2:3], 0x4
	s_load_dword s9, s[2:3], 0xc
	s_load_dwordx2 s[12:13], s[6:7], 0x0
	s_add_u32 s2, s2, 12
	s_addc_u32 s3, s3, 0
	s_waitcnt lgkmcnt(0)
	v_mul_hi_u32 v5, s11, v3
	v_add_u32_e32 v5, v3, v5
	v_lshrrev_b32_e32 v5, s9, v5
	v_mul_lo_u32 v7, v5, s10
	v_mov_b32_e32 v26, v25
	s_add_u32 s6, s6, 8
	v_sub_u32_e32 v7, v3, v7
	s_addc_u32 s7, s7, 0
	s_add_i32 s8, s8, -1
	v_mad_u64_u32 v[26:27], s[10:11], v7, s13, v[26:27]
	v_mad_u64_u32 v[24:25], s[10:11], v7, s12, v[24:25]
	s_cmp_lg_u32 s8, 0
	v_mov_b32_e32 v3, v5
	v_mov_b32_e32 v25, v26
	s_cbranch_scc1 .LBB37_112
; %bb.113:
	v_mov_b32_e32 v26, v25
	s_cbranch_execnz .LBB37_116
.LBB37_114:
	s_load_dwordx4 s[8:11], s[34:35], 0x4
	s_load_dwordx2 s[2:3], s[34:35], 0xc4
	s_cmp_lt_u32 s33, 2
	s_waitcnt lgkmcnt(0)
	v_mul_hi_u32 v3, s9, v1
	v_add_u32_e32 v3, v1, v3
	v_lshrrev_b32_e32 v3, s10, v3
	v_mul_lo_u32 v5, v3, s8
	v_sub_u32_e32 v1, v1, v5
	v_mul_lo_u32 v26, v1, s3
	v_mul_lo_u32 v24, v1, s2
	s_cbranch_scc1 .LBB37_116
; %bb.115:
	s_load_dwordx4 s[8:11], s[34:35], 0x10
	s_load_dwordx2 s[2:3], s[34:35], 0xcc
	s_waitcnt lgkmcnt(0)
	v_mul_hi_u32 v1, s9, v3
	v_add_u32_e32 v1, v3, v1
	v_lshrrev_b32_e32 v1, s10, v1
	v_mul_lo_u32 v1, v1, s8
	v_sub_u32_e32 v1, v3, v1
	v_mad_u64_u32 v[24:25], s[6:7], v1, s2, v[24:25]
	v_mad_u64_u32 v[26:27], s[2:3], v1, s3, v[26:27]
.LBB37_116:
	s_and_b64 vcc, exec, s[0:1]
	s_cbranch_vccnz .LBB37_123
; %bb.117:
	s_mov_b32 s6, 0
	s_cmp_lg_u32 s33, 0
	v_mov_b32_e32 v30, 0
	v_mov_b32_e32 v28, 0
	s_cbranch_scc0 .LBB37_122
; %bb.118:
	s_min_u32 s28, s58, 15
	s_add_i32 s28, s28, 1
	s_cmp_eq_u32 s58, 2
	s_cbranch_scc1 .LBB37_124
; %bb.119:
	s_add_u32 s24, s34, 0xc4
	s_addc_u32 s25, s35, 0
	s_and_b32 s6, s28, 28
	s_mov_b32 s7, 0
	v_mov_b32_e32 v28, 0
	s_mov_b64 s[26:27], s[34:35]
	v_mov_b32_e32 v1, v31
	v_mov_b32_e32 v30, 0
.LBB37_120:                             ; =>This Inner Loop Header: Depth=1
	s_load_dwordx8 s[16:23], s[26:27], 0x4
	s_load_dwordx4 s[0:3], s[26:27], 0x24
	s_load_dwordx8 s[8:15], s[24:25], 0x0
	s_add_u32 s26, s26, 48
	s_addc_u32 s27, s27, 0
	s_waitcnt lgkmcnt(0)
	v_mul_hi_u32 v3, s17, v1
	v_add_u32_e32 v3, v1, v3
	v_lshrrev_b32_e32 v3, s18, v3
	v_mul_lo_u32 v5, v3, s16
	v_mul_hi_u32 v7, s20, v3
	v_sub_u32_e32 v1, v1, v5
	v_add_u32_e32 v5, v3, v7
	v_lshrrev_b32_e32 v5, s21, v5
	v_mul_lo_u32 v9, v5, s19
	v_mul_hi_u32 v11, s23, v5
	v_sub_u32_e32 v3, v3, v9
	v_add_u32_e32 v9, v5, v11
	v_mul_lo_u32 v7, v1, s9
	v_mul_lo_u32 v1, v1, s8
	;; [unrolled: 1-line block ×4, first 2 shown]
	v_lshrrev_b32_e32 v9, s0, v9
	v_add3_u32 v3, v1, v28, v3
	v_add3_u32 v7, v7, v30, v11
	v_mul_lo_u32 v1, v9, s22
	v_mul_hi_u32 v11, s2, v9
	v_sub_u32_e32 v1, v5, v1
	v_add_u32_e32 v5, v9, v11
	v_mul_lo_u32 v11, v1, s12
	v_mul_lo_u32 v13, v1, s13
	v_lshrrev_b32_e32 v1, s3, v5
	s_add_i32 s7, s7, 4
	v_mul_lo_u32 v5, v1, s1
	s_add_u32 s24, s24, 32
	v_sub_u32_e32 v5, v9, v5
	s_addc_u32 s25, s25, 0
	v_mul_lo_u32 v9, v5, s14
	v_mul_lo_u32 v5, v5, s15
	s_cmp_lg_u32 s6, s7
	v_add3_u32 v30, v13, v7, v5
	v_add3_u32 v28, v11, v3, v9
	s_cbranch_scc1 .LBB37_120
; %bb.121:
	v_mov_b32_e32 v29, v30
	s_and_b32 s7, s28, 3
	s_cmp_eq_u32 s7, 0
	s_cbranch_scc0 .LBB37_125
.LBB37_122:
	s_cbranch_execz .LBB37_128
	s_branch .LBB37_130
.LBB37_123:
                                        ; implicit-def: $vgpr30
                                        ; implicit-def: $vgpr28
	s_branch .LBB37_128
.LBB37_124:
	s_mov_b32 s7, s6
	v_pk_mov_b32 v[28:29], s[6:7], s[6:7] op_sel:[0,1]
                                        ; implicit-def: $vgpr30
	v_mov_b32_e32 v1, v31
	s_and_b32 s7, s28, 3
	s_cmp_eq_u32 s7, 0
	s_cbranch_scc1 .LBB37_122
.LBB37_125:
	s_lshl_b32 s0, s6, 3
	s_add_u32 s0, s0, s34
	s_addc_u32 s1, 0, s35
	s_add_u32 s0, s0, 0xc4
	s_addc_u32 s1, s1, 0
	s_mul_i32 s2, s6, 12
	s_add_u32 s2, s34, s2
	s_addc_u32 s3, 0, s35
.LBB37_126:                             ; =>This Inner Loop Header: Depth=1
	s_load_dwordx2 s[8:9], s[2:3], 0x4
	s_load_dword s6, s[2:3], 0xc
	s_load_dwordx2 s[10:11], s[0:1], 0x0
	s_add_u32 s2, s2, 12
	s_addc_u32 s3, s3, 0
	s_waitcnt lgkmcnt(0)
	v_mul_hi_u32 v3, s9, v1
	v_add_u32_e32 v3, v1, v3
	v_lshrrev_b32_e32 v3, s6, v3
	v_mul_lo_u32 v5, v3, s8
	v_mov_b32_e32 v30, v29
	s_add_u32 s0, s0, 8
	v_sub_u32_e32 v5, v1, v5
	s_addc_u32 s1, s1, 0
	s_add_i32 s7, s7, -1
	v_mad_u64_u32 v[32:33], s[8:9], v5, s11, v[30:31]
	v_mad_u64_u32 v[28:29], s[8:9], v5, s10, v[28:29]
	s_cmp_lg_u32 s7, 0
	v_mov_b32_e32 v1, v3
	v_mov_b32_e32 v29, v32
	s_cbranch_scc1 .LBB37_126
; %bb.127:
	v_mov_b32_e32 v30, v29
	s_cbranch_execnz .LBB37_130
.LBB37_128:
	s_load_dwordx4 s[0:3], s[34:35], 0x4
	s_load_dwordx2 s[6:7], s[34:35], 0xc4
	s_cmp_lt_u32 s33, 2
	s_waitcnt lgkmcnt(0)
	v_mul_hi_u32 v1, s1, v31
	v_add_u32_e32 v1, v31, v1
	v_lshrrev_b32_e32 v1, s2, v1
	v_mul_lo_u32 v3, v1, s0
	v_sub_u32_e32 v3, v31, v3
	v_mul_lo_u32 v30, v3, s7
	v_mul_lo_u32 v28, v3, s6
	s_cbranch_scc1 .LBB37_130
; %bb.129:
	s_load_dwordx4 s[0:3], s[34:35], 0x10
	s_load_dwordx2 s[6:7], s[34:35], 0xcc
	s_waitcnt lgkmcnt(0)
	v_mul_hi_u32 v3, s1, v1
	v_add_u32_e32 v3, v1, v3
	v_lshrrev_b32_e32 v3, s2, v3
	v_mul_lo_u32 v3, v3, s0
	v_sub_u32_e32 v1, v1, v3
	v_mad_u64_u32 v[28:29], s[0:1], v1, s6, v[28:29]
	v_mad_u64_u32 v[30:31], s[0:1], v1, s7, v[30:31]
.LBB37_130:
	s_load_dwordx4 s[0:3], s[34:35], 0x148
	s_load_dword s6, s[4:5], 0x160
	s_waitcnt lgkmcnt(0)
	global_load_ushort v1, v2, s[2:3]
	global_load_ushort v3, v6, s[2:3]
	;; [unrolled: 1-line block ×8, first 2 shown]
	v_mov_b32_e32 v2, 0xffff8000
	s_lshr_b32 s2, s6, 16
	v_and_b32_e32 v2, s2, v2
	s_waitcnt vmcnt(7)
	v_and_b32_e32 v1, 0x7fff, v1
	s_waitcnt vmcnt(6)
	;; [unrolled: 2-line block ×8, first 2 shown]
	v_and_b32_e32 v11, 0x7fff, v15
	v_or_b32_e32 v1, v1, v2
	v_or_b32_e32 v3, v3, v2
	;; [unrolled: 1-line block ×8, first 2 shown]
	global_store_short v0, v1, s[0:1]
	global_store_short v4, v3, s[0:1]
	;; [unrolled: 1-line block ×8, first 2 shown]
	s_endpgm
.LBB37_131:
	s_mov_b32 s53, s52
	v_pk_mov_b32 v[0:1], s[52:53], s[52:53] op_sel:[0,1]
                                        ; implicit-def: $vgpr2
	v_mov_b32_e32 v3, v24
.LBB37_132:
	s_and_b32 s12, s61, 3
	s_cmp_eq_u32 s12, 0
	s_cbranch_scc1 .LBB37_136
; %bb.133:
	s_lshl_b32 s8, s52, 3
	s_add_u32 s8, s8, s34
	s_addc_u32 s9, s35, 0
	s_add_u32 s8, s8, 0xc4
	s_addc_u32 s9, s9, 0
	s_mul_i32 s10, s52, 12
	s_add_u32 s10, s34, s10
	s_addc_u32 s11, s35, 0
.LBB37_134:                             ; =>This Inner Loop Header: Depth=1
	s_load_dwordx2 s[14:15], s[10:11], 0x4
	s_load_dword s13, s[10:11], 0xc
	s_load_dwordx2 s[16:17], s[8:9], 0x0
	v_mov_b32_e32 v2, v1
	s_add_u32 s10, s10, 12
	s_waitcnt lgkmcnt(0)
	v_mul_hi_u32 v1, s15, v3
	v_add_u32_e32 v1, v3, v1
	v_lshrrev_b32_e32 v1, s13, v1
	s_addc_u32 s11, s11, 0
	v_mul_lo_u32 v5, v1, s14
	s_add_u32 s8, s8, 8
	v_sub_u32_e32 v5, v3, v5
	v_mov_b32_e32 v3, v1
	s_addc_u32 s9, s9, 0
	s_add_i32 s12, s12, -1
	v_mad_u64_u32 v[6:7], s[14:15], v5, s17, v[2:3]
	v_mad_u64_u32 v[0:1], s[14:15], v5, s16, v[0:1]
	s_cmp_lg_u32 s12, 0
	v_mov_b32_e32 v1, v6
	s_cbranch_scc1 .LBB37_134
; %bb.135:
	v_mov_b32_e32 v2, v1
.LBB37_136:
	s_cbranch_execnz .LBB37_139
.LBB37_137:
	v_mul_hi_u32 v0, s25, v24
	v_add_u32_e32 v0, v24, v0
	v_lshrrev_b32_e32 v1, s26, v0
	v_mul_lo_u32 v0, v1, s24
	v_sub_u32_e32 v0, v24, v0
	v_mul_lo_u32 v2, v0, s29
	s_andn2_b64 vcc, exec, s[44:45]
	v_mul_lo_u32 v0, v0, s28
	s_cbranch_vccnz .LBB37_139
; %bb.138:
	v_mul_hi_u32 v3, s42, v1
	v_add_u32_e32 v3, v1, v3
	v_lshrrev_b32_e32 v3, s43, v3
	v_mul_lo_u32 v3, v3, s27
	v_sub_u32_e32 v3, v1, v3
	v_mad_u64_u32 v[0:1], s[8:9], v3, s30, v[0:1]
	v_mad_u64_u32 v[2:3], s[8:9], v3, s31, v[2:3]
.LBB37_139:
	global_load_ushort v1, v2, s[2:3]
	v_add_u32_e32 v24, 0x80, v24
	s_waitcnt vmcnt(0)
	v_and_b32_e32 v1, 0x7fff, v1
	v_or_b32_e32 v1, v1, v4
	global_store_short v0, v1, s[0:1]
	s_or_b64 exec, exec, s[50:51]
	v_cmp_gt_i32_e32 vcc, s59, v24
	s_and_saveexec_b64 s[50:51], vcc
	s_cbranch_execnz .LBB37_17
.LBB37_140:
	s_or_b64 exec, exec, s[50:51]
	v_cmp_gt_i32_e32 vcc, s59, v24
	s_and_saveexec_b64 s[50:51], vcc
	s_cbranch_execz .LBB37_157
.LBB37_141:
	s_andn2_b64 vcc, exec, s[6:7]
	s_cbranch_vccnz .LBB37_147
; %bb.142:
	s_mov_b32 s52, 0
	s_andn2_b64 vcc, exec, s[48:49]
	v_mov_b32_e32 v2, 0
	v_mov_b32_e32 v0, 0
	s_cbranch_vccnz .LBB37_170
; %bb.143:
	s_add_i32 s61, s60, 1
	s_cmp_eq_u32 s58, 2
	s_cbranch_scc1 .LBB37_165
; %bb.144:
	s_and_b32 s52, s61, 28
	s_mov_b32 s53, 0
	v_mov_b32_e32 v0, 0
	s_mov_b64 s[54:55], s[34:35]
	s_mov_b64 s[56:57], s[46:47]
	v_mov_b32_e32 v3, v24
	v_mov_b32_e32 v2, 0
.LBB37_145:                             ; =>This Inner Loop Header: Depth=1
	s_load_dwordx8 s[16:23], s[54:55], 0x4
	s_load_dwordx4 s[36:39], s[54:55], 0x24
	s_load_dwordx8 s[8:15], s[56:57], 0x0
	s_add_u32 s54, s54, 48
	s_addc_u32 s55, s55, 0
	s_waitcnt lgkmcnt(0)
	v_mul_hi_u32 v1, s17, v3
	v_add_u32_e32 v1, v3, v1
	v_lshrrev_b32_e32 v1, s18, v1
	v_mul_lo_u32 v5, v1, s16
	v_mul_hi_u32 v6, s20, v1
	v_sub_u32_e32 v3, v3, v5
	v_add_u32_e32 v5, v1, v6
	v_lshrrev_b32_e32 v5, s21, v5
	v_mul_lo_u32 v7, v5, s19
	v_mul_hi_u32 v8, s23, v5
	v_sub_u32_e32 v1, v1, v7
	v_add_u32_e32 v7, v5, v8
	v_mul_lo_u32 v6, v3, s9
	v_mul_lo_u32 v3, v3, s8
	;; [unrolled: 1-line block ×4, first 2 shown]
	v_lshrrev_b32_e32 v7, s36, v7
	v_add3_u32 v0, v3, v0, v1
	v_mul_hi_u32 v3, s38, v7
	v_add_u32_e32 v3, v7, v3
	v_lshrrev_b32_e32 v3, s39, v3
	s_add_i32 s53, s53, 4
	v_add3_u32 v1, v6, v2, v8
	v_mul_lo_u32 v2, v7, s22
	v_mul_lo_u32 v6, v3, s37
	s_add_u32 s56, s56, 32
	v_sub_u32_e32 v2, v5, v2
	v_sub_u32_e32 v6, v7, v6
	s_addc_u32 s57, s57, 0
	v_mul_lo_u32 v5, v2, s12
	v_mul_lo_u32 v2, v2, s13
	;; [unrolled: 1-line block ×4, first 2 shown]
	s_cmp_eq_u32 s52, s53
	v_add3_u32 v2, v2, v1, v6
	v_add3_u32 v0, v5, v0, v7
	s_cbranch_scc0 .LBB37_145
; %bb.146:
	v_mov_b32_e32 v1, v2
	s_branch .LBB37_166
.LBB37_147:
                                        ; implicit-def: $vgpr2
                                        ; implicit-def: $vgpr0
	s_branch .LBB37_171
.LBB37_148:
	s_mov_b32 s53, s52
	v_pk_mov_b32 v[0:1], s[52:53], s[52:53] op_sel:[0,1]
                                        ; implicit-def: $vgpr2
	v_mov_b32_e32 v3, v24
.LBB37_149:
	s_and_b32 s12, s61, 3
	s_cmp_eq_u32 s12, 0
	s_cbranch_scc1 .LBB37_153
; %bb.150:
	s_lshl_b32 s8, s52, 3
	s_add_u32 s8, s8, s34
	s_addc_u32 s9, s35, 0
	s_add_u32 s8, s8, 0xc4
	s_addc_u32 s9, s9, 0
	s_mul_i32 s10, s52, 12
	s_add_u32 s10, s34, s10
	s_addc_u32 s11, s35, 0
.LBB37_151:                             ; =>This Inner Loop Header: Depth=1
	s_load_dwordx2 s[14:15], s[10:11], 0x4
	s_load_dword s13, s[10:11], 0xc
	s_load_dwordx2 s[16:17], s[8:9], 0x0
	v_mov_b32_e32 v2, v1
	s_add_u32 s10, s10, 12
	s_waitcnt lgkmcnt(0)
	v_mul_hi_u32 v1, s15, v3
	v_add_u32_e32 v1, v3, v1
	v_lshrrev_b32_e32 v1, s13, v1
	s_addc_u32 s11, s11, 0
	v_mul_lo_u32 v5, v1, s14
	s_add_u32 s8, s8, 8
	v_sub_u32_e32 v5, v3, v5
	v_mov_b32_e32 v3, v1
	s_addc_u32 s9, s9, 0
	s_add_i32 s12, s12, -1
	v_mad_u64_u32 v[6:7], s[14:15], v5, s17, v[2:3]
	v_mad_u64_u32 v[0:1], s[14:15], v5, s16, v[0:1]
	s_cmp_lg_u32 s12, 0
	v_mov_b32_e32 v1, v6
	s_cbranch_scc1 .LBB37_151
; %bb.152:
	v_mov_b32_e32 v2, v1
.LBB37_153:
	s_cbranch_execnz .LBB37_156
.LBB37_154:
	v_mul_hi_u32 v0, s25, v24
	v_add_u32_e32 v0, v24, v0
	v_lshrrev_b32_e32 v1, s26, v0
	v_mul_lo_u32 v0, v1, s24
	v_sub_u32_e32 v0, v24, v0
	v_mul_lo_u32 v2, v0, s29
	s_andn2_b64 vcc, exec, s[44:45]
	v_mul_lo_u32 v0, v0, s28
	s_cbranch_vccnz .LBB37_156
; %bb.155:
	v_mul_hi_u32 v3, s42, v1
	v_add_u32_e32 v3, v1, v3
	v_lshrrev_b32_e32 v3, s43, v3
	v_mul_lo_u32 v3, v3, s27
	v_sub_u32_e32 v3, v1, v3
	v_mad_u64_u32 v[0:1], s[8:9], v3, s30, v[0:1]
	v_mad_u64_u32 v[2:3], s[8:9], v3, s31, v[2:3]
.LBB37_156:
	global_load_ushort v1, v2, s[2:3]
	v_add_u32_e32 v24, 0x80, v24
	s_waitcnt vmcnt(0)
	v_and_b32_e32 v1, 0x7fff, v1
	v_or_b32_e32 v1, v1, v4
	global_store_short v0, v1, s[0:1]
	s_or_b64 exec, exec, s[50:51]
	v_cmp_gt_i32_e32 vcc, s59, v24
	s_and_saveexec_b64 s[50:51], vcc
	s_cbranch_execnz .LBB37_141
.LBB37_157:
	s_or_b64 exec, exec, s[50:51]
	v_cmp_gt_i32_e32 vcc, s59, v24
	s_and_saveexec_b64 s[50:51], vcc
	s_cbranch_execz .LBB37_174
.LBB37_158:
	s_andn2_b64 vcc, exec, s[6:7]
	s_cbranch_vccnz .LBB37_164
; %bb.159:
	s_mov_b32 s52, 0
	s_andn2_b64 vcc, exec, s[48:49]
	v_mov_b32_e32 v2, 0
	v_mov_b32_e32 v0, 0
	s_cbranch_vccnz .LBB37_187
; %bb.160:
	s_add_i32 s61, s60, 1
	s_cmp_eq_u32 s58, 2
	s_cbranch_scc1 .LBB37_182
; %bb.161:
	s_and_b32 s52, s61, 28
	s_mov_b32 s53, 0
	v_mov_b32_e32 v0, 0
	s_mov_b64 s[54:55], s[34:35]
	s_mov_b64 s[56:57], s[46:47]
	v_mov_b32_e32 v3, v24
	v_mov_b32_e32 v2, 0
.LBB37_162:                             ; =>This Inner Loop Header: Depth=1
	s_load_dwordx8 s[16:23], s[54:55], 0x4
	s_load_dwordx4 s[36:39], s[54:55], 0x24
	s_load_dwordx8 s[8:15], s[56:57], 0x0
	s_add_u32 s54, s54, 48
	s_addc_u32 s55, s55, 0
	s_waitcnt lgkmcnt(0)
	v_mul_hi_u32 v1, s17, v3
	v_add_u32_e32 v1, v3, v1
	v_lshrrev_b32_e32 v1, s18, v1
	v_mul_lo_u32 v5, v1, s16
	v_mul_hi_u32 v6, s20, v1
	v_sub_u32_e32 v3, v3, v5
	v_add_u32_e32 v5, v1, v6
	v_lshrrev_b32_e32 v5, s21, v5
	v_mul_lo_u32 v7, v5, s19
	v_mul_hi_u32 v8, s23, v5
	v_sub_u32_e32 v1, v1, v7
	v_add_u32_e32 v7, v5, v8
	v_mul_lo_u32 v6, v3, s9
	v_mul_lo_u32 v3, v3, s8
	;; [unrolled: 1-line block ×4, first 2 shown]
	v_lshrrev_b32_e32 v7, s36, v7
	v_add3_u32 v0, v3, v0, v1
	v_mul_hi_u32 v3, s38, v7
	v_add_u32_e32 v3, v7, v3
	v_lshrrev_b32_e32 v3, s39, v3
	s_add_i32 s53, s53, 4
	v_add3_u32 v1, v6, v2, v8
	v_mul_lo_u32 v2, v7, s22
	v_mul_lo_u32 v6, v3, s37
	s_add_u32 s56, s56, 32
	v_sub_u32_e32 v2, v5, v2
	v_sub_u32_e32 v6, v7, v6
	s_addc_u32 s57, s57, 0
	v_mul_lo_u32 v5, v2, s12
	v_mul_lo_u32 v2, v2, s13
	;; [unrolled: 1-line block ×4, first 2 shown]
	s_cmp_eq_u32 s52, s53
	v_add3_u32 v2, v2, v1, v6
	v_add3_u32 v0, v5, v0, v7
	s_cbranch_scc0 .LBB37_162
; %bb.163:
	v_mov_b32_e32 v1, v2
	s_branch .LBB37_183
.LBB37_164:
                                        ; implicit-def: $vgpr2
                                        ; implicit-def: $vgpr0
	s_branch .LBB37_188
.LBB37_165:
	s_mov_b32 s53, s52
	v_pk_mov_b32 v[0:1], s[52:53], s[52:53] op_sel:[0,1]
                                        ; implicit-def: $vgpr2
	v_mov_b32_e32 v3, v24
.LBB37_166:
	s_and_b32 s12, s61, 3
	s_cmp_eq_u32 s12, 0
	s_cbranch_scc1 .LBB37_170
; %bb.167:
	s_lshl_b32 s8, s52, 3
	s_add_u32 s8, s8, s34
	s_addc_u32 s9, s35, 0
	s_add_u32 s8, s8, 0xc4
	s_addc_u32 s9, s9, 0
	s_mul_i32 s10, s52, 12
	s_add_u32 s10, s34, s10
	s_addc_u32 s11, s35, 0
.LBB37_168:                             ; =>This Inner Loop Header: Depth=1
	s_load_dwordx2 s[14:15], s[10:11], 0x4
	s_load_dword s13, s[10:11], 0xc
	s_load_dwordx2 s[16:17], s[8:9], 0x0
	v_mov_b32_e32 v2, v1
	s_add_u32 s10, s10, 12
	s_waitcnt lgkmcnt(0)
	v_mul_hi_u32 v1, s15, v3
	v_add_u32_e32 v1, v3, v1
	v_lshrrev_b32_e32 v1, s13, v1
	s_addc_u32 s11, s11, 0
	v_mul_lo_u32 v5, v1, s14
	s_add_u32 s8, s8, 8
	v_sub_u32_e32 v5, v3, v5
	v_mov_b32_e32 v3, v1
	s_addc_u32 s9, s9, 0
	s_add_i32 s12, s12, -1
	v_mad_u64_u32 v[6:7], s[14:15], v5, s17, v[2:3]
	v_mad_u64_u32 v[0:1], s[14:15], v5, s16, v[0:1]
	s_cmp_lg_u32 s12, 0
	v_mov_b32_e32 v1, v6
	s_cbranch_scc1 .LBB37_168
; %bb.169:
	v_mov_b32_e32 v2, v1
.LBB37_170:
	s_cbranch_execnz .LBB37_173
.LBB37_171:
	v_mul_hi_u32 v0, s25, v24
	v_add_u32_e32 v0, v24, v0
	v_lshrrev_b32_e32 v1, s26, v0
	v_mul_lo_u32 v0, v1, s24
	v_sub_u32_e32 v0, v24, v0
	v_mul_lo_u32 v2, v0, s29
	s_andn2_b64 vcc, exec, s[44:45]
	v_mul_lo_u32 v0, v0, s28
	s_cbranch_vccnz .LBB37_173
; %bb.172:
	v_mul_hi_u32 v3, s42, v1
	v_add_u32_e32 v3, v1, v3
	v_lshrrev_b32_e32 v3, s43, v3
	v_mul_lo_u32 v3, v3, s27
	v_sub_u32_e32 v3, v1, v3
	v_mad_u64_u32 v[0:1], s[8:9], v3, s30, v[0:1]
	v_mad_u64_u32 v[2:3], s[8:9], v3, s31, v[2:3]
.LBB37_173:
	global_load_ushort v1, v2, s[2:3]
	v_add_u32_e32 v24, 0x80, v24
	s_waitcnt vmcnt(0)
	v_and_b32_e32 v1, 0x7fff, v1
	v_or_b32_e32 v1, v1, v4
	global_store_short v0, v1, s[0:1]
	s_or_b64 exec, exec, s[50:51]
	v_cmp_gt_i32_e32 vcc, s59, v24
	s_and_saveexec_b64 s[50:51], vcc
	s_cbranch_execnz .LBB37_158
.LBB37_174:
	s_or_b64 exec, exec, s[50:51]
	v_cmp_gt_i32_e32 vcc, s59, v24
	s_and_saveexec_b64 s[50:51], vcc
	s_cbranch_execz .LBB37_191
.LBB37_175:
	s_andn2_b64 vcc, exec, s[6:7]
	s_cbranch_vccnz .LBB37_181
; %bb.176:
	s_mov_b32 s52, 0
	s_andn2_b64 vcc, exec, s[48:49]
	v_mov_b32_e32 v2, 0
	v_mov_b32_e32 v0, 0
	s_cbranch_vccnz .LBB37_204
; %bb.177:
	s_add_i32 s61, s60, 1
	s_cmp_eq_u32 s58, 2
	s_cbranch_scc1 .LBB37_199
; %bb.178:
	s_and_b32 s52, s61, 28
	s_mov_b32 s53, 0
	v_mov_b32_e32 v0, 0
	s_mov_b64 s[54:55], s[34:35]
	s_mov_b64 s[56:57], s[46:47]
	v_mov_b32_e32 v3, v24
	v_mov_b32_e32 v2, 0
.LBB37_179:                             ; =>This Inner Loop Header: Depth=1
	s_load_dwordx8 s[16:23], s[54:55], 0x4
	s_load_dwordx4 s[36:39], s[54:55], 0x24
	s_load_dwordx8 s[8:15], s[56:57], 0x0
	s_add_u32 s54, s54, 48
	s_addc_u32 s55, s55, 0
	s_waitcnt lgkmcnt(0)
	v_mul_hi_u32 v1, s17, v3
	v_add_u32_e32 v1, v3, v1
	v_lshrrev_b32_e32 v1, s18, v1
	v_mul_lo_u32 v5, v1, s16
	v_mul_hi_u32 v6, s20, v1
	v_sub_u32_e32 v3, v3, v5
	v_add_u32_e32 v5, v1, v6
	v_lshrrev_b32_e32 v5, s21, v5
	v_mul_lo_u32 v7, v5, s19
	v_mul_hi_u32 v8, s23, v5
	v_sub_u32_e32 v1, v1, v7
	v_add_u32_e32 v7, v5, v8
	v_mul_lo_u32 v6, v3, s9
	v_mul_lo_u32 v3, v3, s8
	v_mul_lo_u32 v8, v1, s11
	v_mul_lo_u32 v1, v1, s10
	v_lshrrev_b32_e32 v7, s36, v7
	v_add3_u32 v0, v3, v0, v1
	v_mul_hi_u32 v3, s38, v7
	v_add_u32_e32 v3, v7, v3
	v_lshrrev_b32_e32 v3, s39, v3
	s_add_i32 s53, s53, 4
	v_add3_u32 v1, v6, v2, v8
	v_mul_lo_u32 v2, v7, s22
	v_mul_lo_u32 v6, v3, s37
	s_add_u32 s56, s56, 32
	v_sub_u32_e32 v2, v5, v2
	v_sub_u32_e32 v6, v7, v6
	s_addc_u32 s57, s57, 0
	v_mul_lo_u32 v5, v2, s12
	v_mul_lo_u32 v2, v2, s13
	;; [unrolled: 1-line block ×4, first 2 shown]
	s_cmp_eq_u32 s52, s53
	v_add3_u32 v2, v2, v1, v6
	v_add3_u32 v0, v5, v0, v7
	s_cbranch_scc0 .LBB37_179
; %bb.180:
	v_mov_b32_e32 v1, v2
	s_branch .LBB37_200
.LBB37_181:
                                        ; implicit-def: $vgpr2
                                        ; implicit-def: $vgpr0
	s_branch .LBB37_205
.LBB37_182:
	s_mov_b32 s53, s52
	v_pk_mov_b32 v[0:1], s[52:53], s[52:53] op_sel:[0,1]
                                        ; implicit-def: $vgpr2
	v_mov_b32_e32 v3, v24
.LBB37_183:
	s_and_b32 s12, s61, 3
	s_cmp_eq_u32 s12, 0
	s_cbranch_scc1 .LBB37_187
; %bb.184:
	s_lshl_b32 s8, s52, 3
	s_add_u32 s8, s8, s34
	s_addc_u32 s9, s35, 0
	s_add_u32 s8, s8, 0xc4
	s_addc_u32 s9, s9, 0
	s_mul_i32 s10, s52, 12
	s_add_u32 s10, s34, s10
	s_addc_u32 s11, s35, 0
.LBB37_185:                             ; =>This Inner Loop Header: Depth=1
	s_load_dwordx2 s[14:15], s[10:11], 0x4
	s_load_dword s13, s[10:11], 0xc
	s_load_dwordx2 s[16:17], s[8:9], 0x0
	v_mov_b32_e32 v2, v1
	s_add_u32 s10, s10, 12
	s_waitcnt lgkmcnt(0)
	v_mul_hi_u32 v1, s15, v3
	v_add_u32_e32 v1, v3, v1
	v_lshrrev_b32_e32 v1, s13, v1
	s_addc_u32 s11, s11, 0
	v_mul_lo_u32 v5, v1, s14
	s_add_u32 s8, s8, 8
	v_sub_u32_e32 v5, v3, v5
	v_mov_b32_e32 v3, v1
	s_addc_u32 s9, s9, 0
	s_add_i32 s12, s12, -1
	v_mad_u64_u32 v[6:7], s[14:15], v5, s17, v[2:3]
	v_mad_u64_u32 v[0:1], s[14:15], v5, s16, v[0:1]
	s_cmp_lg_u32 s12, 0
	v_mov_b32_e32 v1, v6
	s_cbranch_scc1 .LBB37_185
; %bb.186:
	v_mov_b32_e32 v2, v1
.LBB37_187:
	s_cbranch_execnz .LBB37_190
.LBB37_188:
	v_mul_hi_u32 v0, s25, v24
	v_add_u32_e32 v0, v24, v0
	v_lshrrev_b32_e32 v1, s26, v0
	v_mul_lo_u32 v0, v1, s24
	v_sub_u32_e32 v0, v24, v0
	v_mul_lo_u32 v2, v0, s29
	s_andn2_b64 vcc, exec, s[44:45]
	v_mul_lo_u32 v0, v0, s28
	s_cbranch_vccnz .LBB37_190
; %bb.189:
	v_mul_hi_u32 v3, s42, v1
	v_add_u32_e32 v3, v1, v3
	v_lshrrev_b32_e32 v3, s43, v3
	v_mul_lo_u32 v3, v3, s27
	v_sub_u32_e32 v3, v1, v3
	v_mad_u64_u32 v[0:1], s[8:9], v3, s30, v[0:1]
	v_mad_u64_u32 v[2:3], s[8:9], v3, s31, v[2:3]
.LBB37_190:
	global_load_ushort v1, v2, s[2:3]
	v_add_u32_e32 v24, 0x80, v24
	s_waitcnt vmcnt(0)
	v_and_b32_e32 v1, 0x7fff, v1
	v_or_b32_e32 v1, v1, v4
	global_store_short v0, v1, s[0:1]
	s_or_b64 exec, exec, s[50:51]
	v_cmp_gt_i32_e32 vcc, s59, v24
	s_and_saveexec_b64 s[50:51], vcc
	s_cbranch_execnz .LBB37_175
.LBB37_191:
	s_or_b64 exec, exec, s[50:51]
	v_cmp_gt_i32_e32 vcc, s59, v24
	s_and_saveexec_b64 s[50:51], vcc
	s_cbranch_execz .LBB37_208
.LBB37_192:
	s_andn2_b64 vcc, exec, s[6:7]
	s_cbranch_vccnz .LBB37_198
; %bb.193:
	s_mov_b32 s52, 0
	s_andn2_b64 vcc, exec, s[48:49]
	v_mov_b32_e32 v2, 0
	v_mov_b32_e32 v0, 0
	s_cbranch_vccnz .LBB37_221
; %bb.194:
	s_add_i32 s61, s60, 1
	s_cmp_eq_u32 s58, 2
	s_cbranch_scc1 .LBB37_216
; %bb.195:
	s_and_b32 s52, s61, 28
	s_mov_b32 s53, 0
	v_mov_b32_e32 v0, 0
	s_mov_b64 s[54:55], s[34:35]
	s_mov_b64 s[56:57], s[46:47]
	v_mov_b32_e32 v3, v24
	v_mov_b32_e32 v2, 0
.LBB37_196:                             ; =>This Inner Loop Header: Depth=1
	s_load_dwordx8 s[16:23], s[54:55], 0x4
	s_load_dwordx4 s[36:39], s[54:55], 0x24
	s_load_dwordx8 s[8:15], s[56:57], 0x0
	s_add_u32 s54, s54, 48
	s_addc_u32 s55, s55, 0
	s_waitcnt lgkmcnt(0)
	v_mul_hi_u32 v1, s17, v3
	v_add_u32_e32 v1, v3, v1
	v_lshrrev_b32_e32 v1, s18, v1
	v_mul_lo_u32 v5, v1, s16
	v_mul_hi_u32 v6, s20, v1
	v_sub_u32_e32 v3, v3, v5
	v_add_u32_e32 v5, v1, v6
	v_lshrrev_b32_e32 v5, s21, v5
	v_mul_lo_u32 v7, v5, s19
	v_mul_hi_u32 v8, s23, v5
	v_sub_u32_e32 v1, v1, v7
	v_add_u32_e32 v7, v5, v8
	v_mul_lo_u32 v6, v3, s9
	v_mul_lo_u32 v3, v3, s8
	;; [unrolled: 1-line block ×4, first 2 shown]
	v_lshrrev_b32_e32 v7, s36, v7
	v_add3_u32 v0, v3, v0, v1
	v_mul_hi_u32 v3, s38, v7
	v_add_u32_e32 v3, v7, v3
	v_lshrrev_b32_e32 v3, s39, v3
	s_add_i32 s53, s53, 4
	v_add3_u32 v1, v6, v2, v8
	v_mul_lo_u32 v2, v7, s22
	v_mul_lo_u32 v6, v3, s37
	s_add_u32 s56, s56, 32
	v_sub_u32_e32 v2, v5, v2
	v_sub_u32_e32 v6, v7, v6
	s_addc_u32 s57, s57, 0
	v_mul_lo_u32 v5, v2, s12
	v_mul_lo_u32 v2, v2, s13
	;; [unrolled: 1-line block ×4, first 2 shown]
	s_cmp_eq_u32 s52, s53
	v_add3_u32 v2, v2, v1, v6
	v_add3_u32 v0, v5, v0, v7
	s_cbranch_scc0 .LBB37_196
; %bb.197:
	v_mov_b32_e32 v1, v2
	s_branch .LBB37_217
.LBB37_198:
                                        ; implicit-def: $vgpr2
                                        ; implicit-def: $vgpr0
	s_branch .LBB37_222
.LBB37_199:
	s_mov_b32 s53, s52
	v_pk_mov_b32 v[0:1], s[52:53], s[52:53] op_sel:[0,1]
                                        ; implicit-def: $vgpr2
	v_mov_b32_e32 v3, v24
.LBB37_200:
	s_and_b32 s12, s61, 3
	s_cmp_eq_u32 s12, 0
	s_cbranch_scc1 .LBB37_204
; %bb.201:
	s_lshl_b32 s8, s52, 3
	s_add_u32 s8, s8, s34
	s_addc_u32 s9, s35, 0
	s_add_u32 s8, s8, 0xc4
	s_addc_u32 s9, s9, 0
	s_mul_i32 s10, s52, 12
	s_add_u32 s10, s34, s10
	s_addc_u32 s11, s35, 0
.LBB37_202:                             ; =>This Inner Loop Header: Depth=1
	s_load_dwordx2 s[14:15], s[10:11], 0x4
	s_load_dword s13, s[10:11], 0xc
	s_load_dwordx2 s[16:17], s[8:9], 0x0
	v_mov_b32_e32 v2, v1
	s_add_u32 s10, s10, 12
	s_waitcnt lgkmcnt(0)
	v_mul_hi_u32 v1, s15, v3
	v_add_u32_e32 v1, v3, v1
	v_lshrrev_b32_e32 v1, s13, v1
	s_addc_u32 s11, s11, 0
	v_mul_lo_u32 v5, v1, s14
	s_add_u32 s8, s8, 8
	v_sub_u32_e32 v5, v3, v5
	v_mov_b32_e32 v3, v1
	s_addc_u32 s9, s9, 0
	s_add_i32 s12, s12, -1
	v_mad_u64_u32 v[6:7], s[14:15], v5, s17, v[2:3]
	v_mad_u64_u32 v[0:1], s[14:15], v5, s16, v[0:1]
	s_cmp_lg_u32 s12, 0
	v_mov_b32_e32 v1, v6
	s_cbranch_scc1 .LBB37_202
; %bb.203:
	v_mov_b32_e32 v2, v1
.LBB37_204:
	s_cbranch_execnz .LBB37_207
.LBB37_205:
	v_mul_hi_u32 v0, s25, v24
	v_add_u32_e32 v0, v24, v0
	v_lshrrev_b32_e32 v1, s26, v0
	v_mul_lo_u32 v0, v1, s24
	v_sub_u32_e32 v0, v24, v0
	v_mul_lo_u32 v2, v0, s29
	s_andn2_b64 vcc, exec, s[44:45]
	v_mul_lo_u32 v0, v0, s28
	s_cbranch_vccnz .LBB37_207
; %bb.206:
	v_mul_hi_u32 v3, s42, v1
	v_add_u32_e32 v3, v1, v3
	v_lshrrev_b32_e32 v3, s43, v3
	v_mul_lo_u32 v3, v3, s27
	v_sub_u32_e32 v3, v1, v3
	v_mad_u64_u32 v[0:1], s[8:9], v3, s30, v[0:1]
	v_mad_u64_u32 v[2:3], s[8:9], v3, s31, v[2:3]
.LBB37_207:
	global_load_ushort v1, v2, s[2:3]
	v_add_u32_e32 v24, 0x80, v24
	s_waitcnt vmcnt(0)
	v_and_b32_e32 v1, 0x7fff, v1
	v_or_b32_e32 v1, v1, v4
	global_store_short v0, v1, s[0:1]
	s_or_b64 exec, exec, s[50:51]
	v_cmp_gt_i32_e32 vcc, s59, v24
	s_and_saveexec_b64 s[50:51], vcc
	s_cbranch_execnz .LBB37_192
.LBB37_208:
	s_or_b64 exec, exec, s[50:51]
	v_cmp_gt_i32_e32 vcc, s59, v24
	s_and_saveexec_b64 s[50:51], vcc
	s_cbranch_execz .LBB37_225
.LBB37_209:
	s_andn2_b64 vcc, exec, s[6:7]
	s_cbranch_vccnz .LBB37_215
; %bb.210:
	s_mov_b32 s52, 0
	s_andn2_b64 vcc, exec, s[48:49]
	v_mov_b32_e32 v2, 0
	v_mov_b32_e32 v0, 0
	s_cbranch_vccnz .LBB37_233
; %bb.211:
	s_add_i32 s61, s60, 1
	s_cmp_eq_u32 s58, 2
	s_cbranch_scc1 .LBB37_228
; %bb.212:
	s_and_b32 s52, s61, 28
	s_mov_b32 s53, 0
	v_mov_b32_e32 v0, 0
	s_mov_b64 s[54:55], s[34:35]
	s_mov_b64 s[56:57], s[46:47]
	v_mov_b32_e32 v3, v24
	v_mov_b32_e32 v2, 0
.LBB37_213:                             ; =>This Inner Loop Header: Depth=1
	s_load_dwordx8 s[16:23], s[54:55], 0x4
	s_load_dwordx4 s[36:39], s[54:55], 0x24
	s_load_dwordx8 s[8:15], s[56:57], 0x0
	s_add_u32 s54, s54, 48
	s_addc_u32 s55, s55, 0
	s_waitcnt lgkmcnt(0)
	v_mul_hi_u32 v1, s17, v3
	v_add_u32_e32 v1, v3, v1
	v_lshrrev_b32_e32 v1, s18, v1
	v_mul_lo_u32 v5, v1, s16
	v_mul_hi_u32 v6, s20, v1
	v_sub_u32_e32 v3, v3, v5
	v_add_u32_e32 v5, v1, v6
	v_lshrrev_b32_e32 v5, s21, v5
	v_mul_lo_u32 v7, v5, s19
	v_mul_hi_u32 v8, s23, v5
	v_sub_u32_e32 v1, v1, v7
	v_add_u32_e32 v7, v5, v8
	v_mul_lo_u32 v6, v3, s9
	v_mul_lo_u32 v3, v3, s8
	;; [unrolled: 1-line block ×4, first 2 shown]
	v_lshrrev_b32_e32 v7, s36, v7
	v_add3_u32 v0, v3, v0, v1
	v_mul_hi_u32 v3, s38, v7
	v_add_u32_e32 v3, v7, v3
	v_lshrrev_b32_e32 v3, s39, v3
	s_add_i32 s53, s53, 4
	v_add3_u32 v1, v6, v2, v8
	v_mul_lo_u32 v2, v7, s22
	v_mul_lo_u32 v6, v3, s37
	s_add_u32 s56, s56, 32
	v_sub_u32_e32 v2, v5, v2
	v_sub_u32_e32 v6, v7, v6
	s_addc_u32 s57, s57, 0
	v_mul_lo_u32 v5, v2, s12
	v_mul_lo_u32 v2, v2, s13
	;; [unrolled: 1-line block ×4, first 2 shown]
	s_cmp_eq_u32 s52, s53
	v_add3_u32 v2, v2, v1, v6
	v_add3_u32 v0, v5, v0, v7
	s_cbranch_scc0 .LBB37_213
; %bb.214:
	v_mov_b32_e32 v1, v2
	s_branch .LBB37_229
.LBB37_215:
                                        ; implicit-def: $vgpr2
                                        ; implicit-def: $vgpr0
	s_branch .LBB37_234
.LBB37_216:
	s_mov_b32 s53, s52
	v_pk_mov_b32 v[0:1], s[52:53], s[52:53] op_sel:[0,1]
                                        ; implicit-def: $vgpr2
	v_mov_b32_e32 v3, v24
.LBB37_217:
	s_and_b32 s12, s61, 3
	s_cmp_eq_u32 s12, 0
	s_cbranch_scc1 .LBB37_221
; %bb.218:
	s_lshl_b32 s8, s52, 3
	s_add_u32 s8, s8, s34
	s_addc_u32 s9, s35, 0
	s_add_u32 s8, s8, 0xc4
	s_addc_u32 s9, s9, 0
	s_mul_i32 s10, s52, 12
	s_add_u32 s10, s34, s10
	s_addc_u32 s11, s35, 0
.LBB37_219:                             ; =>This Inner Loop Header: Depth=1
	s_load_dwordx2 s[14:15], s[10:11], 0x4
	s_load_dword s13, s[10:11], 0xc
	s_load_dwordx2 s[16:17], s[8:9], 0x0
	v_mov_b32_e32 v2, v1
	s_add_u32 s10, s10, 12
	s_waitcnt lgkmcnt(0)
	v_mul_hi_u32 v1, s15, v3
	v_add_u32_e32 v1, v3, v1
	v_lshrrev_b32_e32 v1, s13, v1
	s_addc_u32 s11, s11, 0
	v_mul_lo_u32 v5, v1, s14
	s_add_u32 s8, s8, 8
	v_sub_u32_e32 v5, v3, v5
	v_mov_b32_e32 v3, v1
	s_addc_u32 s9, s9, 0
	s_add_i32 s12, s12, -1
	v_mad_u64_u32 v[6:7], s[14:15], v5, s17, v[2:3]
	v_mad_u64_u32 v[0:1], s[14:15], v5, s16, v[0:1]
	s_cmp_lg_u32 s12, 0
	v_mov_b32_e32 v1, v6
	s_cbranch_scc1 .LBB37_219
; %bb.220:
	v_mov_b32_e32 v2, v1
.LBB37_221:
	s_cbranch_execnz .LBB37_224
.LBB37_222:
	v_mul_hi_u32 v0, s25, v24
	v_add_u32_e32 v0, v24, v0
	v_lshrrev_b32_e32 v1, s26, v0
	v_mul_lo_u32 v0, v1, s24
	v_sub_u32_e32 v0, v24, v0
	v_mul_lo_u32 v2, v0, s29
	s_andn2_b64 vcc, exec, s[44:45]
	v_mul_lo_u32 v0, v0, s28
	s_cbranch_vccnz .LBB37_224
; %bb.223:
	v_mul_hi_u32 v3, s42, v1
	v_add_u32_e32 v3, v1, v3
	v_lshrrev_b32_e32 v3, s43, v3
	v_mul_lo_u32 v3, v3, s27
	v_sub_u32_e32 v3, v1, v3
	v_mad_u64_u32 v[0:1], s[8:9], v3, s30, v[0:1]
	v_mad_u64_u32 v[2:3], s[8:9], v3, s31, v[2:3]
.LBB37_224:
	global_load_ushort v1, v2, s[2:3]
	v_add_u32_e32 v24, 0x80, v24
	s_waitcnt vmcnt(0)
	v_and_b32_e32 v1, 0x7fff, v1
	v_or_b32_e32 v1, v1, v4
	global_store_short v0, v1, s[0:1]
	s_or_b64 exec, exec, s[50:51]
	v_cmp_gt_i32_e32 vcc, s59, v24
	s_and_saveexec_b64 s[50:51], vcc
	s_cbranch_execnz .LBB37_209
.LBB37_225:
	s_or_b64 exec, exec, s[50:51]
	v_cmp_gt_i32_e32 vcc, s59, v24
	s_and_saveexec_b64 s[50:51], vcc
	s_cbranch_execnz .LBB37_237
.LBB37_226:
	s_or_b64 exec, exec, s[50:51]
                                        ; implicit-def: $vgpr31
                                        ; implicit-def: $vgpr24
	s_andn2_saveexec_b64 s[0:1], s[40:41]
	s_cbranch_execnz .LBB37_9
.LBB37_227:
	s_endpgm
.LBB37_228:
	s_mov_b32 s53, s52
	v_pk_mov_b32 v[0:1], s[52:53], s[52:53] op_sel:[0,1]
                                        ; implicit-def: $vgpr2
	v_mov_b32_e32 v3, v24
.LBB37_229:
	s_and_b32 s12, s61, 3
	s_cmp_eq_u32 s12, 0
	s_cbranch_scc1 .LBB37_233
; %bb.230:
	s_lshl_b32 s8, s52, 3
	s_add_u32 s8, s8, s34
	s_addc_u32 s9, s35, 0
	s_add_u32 s8, s8, 0xc4
	s_addc_u32 s9, s9, 0
	s_mul_i32 s10, s52, 12
	s_add_u32 s10, s34, s10
	s_addc_u32 s11, s35, 0
.LBB37_231:                             ; =>This Inner Loop Header: Depth=1
	s_load_dwordx2 s[14:15], s[10:11], 0x4
	s_load_dword s13, s[10:11], 0xc
	s_load_dwordx2 s[16:17], s[8:9], 0x0
	v_mov_b32_e32 v2, v1
	s_add_u32 s10, s10, 12
	s_waitcnt lgkmcnt(0)
	v_mul_hi_u32 v1, s15, v3
	v_add_u32_e32 v1, v3, v1
	v_lshrrev_b32_e32 v1, s13, v1
	s_addc_u32 s11, s11, 0
	v_mul_lo_u32 v5, v1, s14
	s_add_u32 s8, s8, 8
	v_sub_u32_e32 v5, v3, v5
	v_mov_b32_e32 v3, v1
	s_addc_u32 s9, s9, 0
	s_add_i32 s12, s12, -1
	v_mad_u64_u32 v[6:7], s[14:15], v5, s17, v[2:3]
	v_mad_u64_u32 v[0:1], s[14:15], v5, s16, v[0:1]
	s_cmp_lg_u32 s12, 0
	v_mov_b32_e32 v1, v6
	s_cbranch_scc1 .LBB37_231
; %bb.232:
	v_mov_b32_e32 v2, v1
.LBB37_233:
	s_cbranch_execnz .LBB37_236
.LBB37_234:
	v_mul_hi_u32 v0, s25, v24
	v_add_u32_e32 v0, v24, v0
	v_lshrrev_b32_e32 v1, s26, v0
	v_mul_lo_u32 v0, v1, s24
	v_sub_u32_e32 v0, v24, v0
	v_mul_lo_u32 v2, v0, s29
	s_andn2_b64 vcc, exec, s[44:45]
	v_mul_lo_u32 v0, v0, s28
	s_cbranch_vccnz .LBB37_236
; %bb.235:
	v_mul_hi_u32 v3, s42, v1
	v_add_u32_e32 v3, v1, v3
	v_lshrrev_b32_e32 v3, s43, v3
	v_mul_lo_u32 v3, v3, s27
	v_sub_u32_e32 v3, v1, v3
	v_mad_u64_u32 v[0:1], s[8:9], v3, s30, v[0:1]
	v_mad_u64_u32 v[2:3], s[8:9], v3, s31, v[2:3]
.LBB37_236:
	global_load_ushort v1, v2, s[2:3]
	v_add_u32_e32 v24, 0x80, v24
	s_waitcnt vmcnt(0)
	v_and_b32_e32 v1, 0x7fff, v1
	v_or_b32_e32 v1, v1, v4
	global_store_short v0, v1, s[0:1]
	s_or_b64 exec, exec, s[50:51]
	v_cmp_gt_i32_e32 vcc, s59, v24
	s_and_saveexec_b64 s[50:51], vcc
	s_cbranch_execz .LBB37_226
.LBB37_237:
	s_andn2_b64 vcc, exec, s[6:7]
	s_cbranch_vccnz .LBB37_243
; %bb.238:
	s_mov_b32 s52, 0
	s_andn2_b64 vcc, exec, s[48:49]
	v_mov_b32_e32 v2, 0
	v_mov_b32_e32 v0, 0
	s_cbranch_vccnz .LBB37_249
; %bb.239:
	s_add_i32 s60, s60, 1
	s_cmp_eq_u32 s58, 2
	s_cbranch_scc1 .LBB37_244
; %bb.240:
	s_and_b32 s52, s60, 28
	s_mov_b32 s53, 0
	v_mov_b32_e32 v0, 0
	s_mov_b64 s[48:49], s[34:35]
	v_mov_b32_e32 v3, v24
	v_mov_b32_e32 v2, 0
.LBB37_241:                             ; =>This Inner Loop Header: Depth=1
	s_load_dwordx8 s[16:23], s[48:49], 0x4
	s_load_dwordx4 s[36:39], s[48:49], 0x24
	s_load_dwordx8 s[8:15], s[46:47], 0x0
	s_add_u32 s48, s48, 48
	s_addc_u32 s49, s49, 0
	s_waitcnt lgkmcnt(0)
	v_mul_hi_u32 v1, s17, v3
	v_add_u32_e32 v1, v3, v1
	v_lshrrev_b32_e32 v1, s18, v1
	v_mul_lo_u32 v5, v1, s16
	v_mul_hi_u32 v6, s20, v1
	v_sub_u32_e32 v3, v3, v5
	v_add_u32_e32 v5, v1, v6
	v_lshrrev_b32_e32 v5, s21, v5
	v_mul_lo_u32 v7, v5, s19
	v_mul_hi_u32 v8, s23, v5
	v_sub_u32_e32 v1, v1, v7
	v_add_u32_e32 v7, v5, v8
	v_mul_lo_u32 v6, v3, s9
	v_mul_lo_u32 v3, v3, s8
	;; [unrolled: 1-line block ×4, first 2 shown]
	v_lshrrev_b32_e32 v7, s36, v7
	v_add3_u32 v0, v3, v0, v1
	v_mul_hi_u32 v3, s38, v7
	v_add_u32_e32 v3, v7, v3
	v_lshrrev_b32_e32 v3, s39, v3
	s_add_i32 s53, s53, 4
	v_add3_u32 v1, v6, v2, v8
	v_mul_lo_u32 v2, v7, s22
	v_mul_lo_u32 v6, v3, s37
	s_add_u32 s46, s46, 32
	v_sub_u32_e32 v2, v5, v2
	v_sub_u32_e32 v6, v7, v6
	s_addc_u32 s47, s47, 0
	v_mul_lo_u32 v5, v2, s12
	v_mul_lo_u32 v2, v2, s13
	;; [unrolled: 1-line block ×4, first 2 shown]
	s_cmp_eq_u32 s52, s53
	v_add3_u32 v2, v2, v1, v6
	v_add3_u32 v0, v5, v0, v7
	s_cbranch_scc0 .LBB37_241
; %bb.242:
	v_mov_b32_e32 v1, v2
	s_branch .LBB37_245
.LBB37_243:
                                        ; implicit-def: $vgpr2
                                        ; implicit-def: $vgpr0
	s_branch .LBB37_250
.LBB37_244:
	s_mov_b32 s53, s52
	v_pk_mov_b32 v[0:1], s[52:53], s[52:53] op_sel:[0,1]
                                        ; implicit-def: $vgpr2
	v_mov_b32_e32 v3, v24
.LBB37_245:
	s_and_b32 s12, s60, 3
	s_cmp_eq_u32 s12, 0
	s_cbranch_scc1 .LBB37_249
; %bb.246:
	s_lshl_b32 s8, s52, 3
	s_add_u32 s8, s8, s34
	s_addc_u32 s9, s35, 0
	s_add_u32 s8, s8, 0xc4
	s_addc_u32 s9, s9, 0
	s_mul_i32 s10, s52, 12
	s_add_u32 s10, s34, s10
	s_addc_u32 s11, s35, 0
.LBB37_247:                             ; =>This Inner Loop Header: Depth=1
	s_load_dwordx2 s[14:15], s[10:11], 0x4
	s_load_dword s13, s[10:11], 0xc
	s_load_dwordx2 s[16:17], s[8:9], 0x0
	v_mov_b32_e32 v2, v1
	s_add_u32 s10, s10, 12
	s_waitcnt lgkmcnt(0)
	v_mul_hi_u32 v1, s15, v3
	v_add_u32_e32 v1, v3, v1
	v_lshrrev_b32_e32 v1, s13, v1
	s_addc_u32 s11, s11, 0
	v_mul_lo_u32 v5, v1, s14
	s_add_u32 s8, s8, 8
	v_sub_u32_e32 v5, v3, v5
	v_mov_b32_e32 v3, v1
	s_addc_u32 s9, s9, 0
	s_add_i32 s12, s12, -1
	v_mad_u64_u32 v[6:7], s[14:15], v5, s17, v[2:3]
	v_mad_u64_u32 v[0:1], s[14:15], v5, s16, v[0:1]
	s_cmp_lg_u32 s12, 0
	v_mov_b32_e32 v1, v6
	s_cbranch_scc1 .LBB37_247
; %bb.248:
	v_mov_b32_e32 v2, v1
.LBB37_249:
	s_cbranch_execnz .LBB37_252
.LBB37_250:
	v_mul_hi_u32 v0, s25, v24
	v_add_u32_e32 v0, v24, v0
	v_lshrrev_b32_e32 v1, s26, v0
	v_mul_lo_u32 v0, v1, s24
	v_sub_u32_e32 v0, v24, v0
	v_mul_lo_u32 v2, v0, s29
	s_andn2_b64 vcc, exec, s[44:45]
	v_mul_lo_u32 v0, v0, s28
	s_cbranch_vccnz .LBB37_252
; %bb.251:
	v_mul_hi_u32 v3, s42, v1
	v_add_u32_e32 v3, v1, v3
	v_lshrrev_b32_e32 v3, s43, v3
	v_mul_lo_u32 v3, v3, s27
	v_sub_u32_e32 v3, v1, v3
	v_mad_u64_u32 v[0:1], s[8:9], v3, s30, v[0:1]
	v_mad_u64_u32 v[2:3], s[8:9], v3, s31, v[2:3]
.LBB37_252:
	global_load_ushort v1, v2, s[2:3]
	s_waitcnt vmcnt(0)
	v_and_b32_e32 v1, 0x7fff, v1
	v_or_b32_e32 v1, v1, v4
	global_store_short v0, v1, s[0:1]
	s_or_b64 exec, exec, s[50:51]
                                        ; implicit-def: $vgpr31
                                        ; implicit-def: $vgpr24
	s_andn2_saveexec_b64 s[0:1], s[40:41]
	s_cbranch_execz .LBB37_227
	s_branch .LBB37_9
	.section	.rodata,"a",@progbits
	.p2align	6, 0x0
	.amdhsa_kernel _ZN2at6native32elementwise_kernel_manual_unrollILi128ELi8EZNS0_22gpu_kernel_impl_nocastINS0_13BUnaryFunctorIN3c108BFloat16ES5_S5_ZNS0_20copysign_kernel_cudaERNS_18TensorIteratorBaseEEUlS5_S5_E_EEEEvS7_RKT_EUlibE_EEviT1_
		.amdhsa_group_segment_fixed_size 0
		.amdhsa_private_segment_fixed_size 0
		.amdhsa_kernarg_size 360
		.amdhsa_user_sgpr_count 6
		.amdhsa_user_sgpr_private_segment_buffer 1
		.amdhsa_user_sgpr_dispatch_ptr 0
		.amdhsa_user_sgpr_queue_ptr 0
		.amdhsa_user_sgpr_kernarg_segment_ptr 1
		.amdhsa_user_sgpr_dispatch_id 0
		.amdhsa_user_sgpr_flat_scratch_init 0
		.amdhsa_user_sgpr_kernarg_preload_length 0
		.amdhsa_user_sgpr_kernarg_preload_offset 0
		.amdhsa_user_sgpr_private_segment_size 0
		.amdhsa_uses_dynamic_stack 0
		.amdhsa_system_sgpr_private_segment_wavefront_offset 0
		.amdhsa_system_sgpr_workgroup_id_x 1
		.amdhsa_system_sgpr_workgroup_id_y 0
		.amdhsa_system_sgpr_workgroup_id_z 0
		.amdhsa_system_sgpr_workgroup_info 0
		.amdhsa_system_vgpr_workitem_id 0
		.amdhsa_next_free_vgpr 34
		.amdhsa_next_free_sgpr 62
		.amdhsa_accum_offset 36
		.amdhsa_reserve_vcc 1
		.amdhsa_reserve_flat_scratch 0
		.amdhsa_float_round_mode_32 0
		.amdhsa_float_round_mode_16_64 0
		.amdhsa_float_denorm_mode_32 3
		.amdhsa_float_denorm_mode_16_64 3
		.amdhsa_dx10_clamp 1
		.amdhsa_ieee_mode 1
		.amdhsa_fp16_overflow 0
		.amdhsa_tg_split 0
		.amdhsa_exception_fp_ieee_invalid_op 0
		.amdhsa_exception_fp_denorm_src 0
		.amdhsa_exception_fp_ieee_div_zero 0
		.amdhsa_exception_fp_ieee_overflow 0
		.amdhsa_exception_fp_ieee_underflow 0
		.amdhsa_exception_fp_ieee_inexact 0
		.amdhsa_exception_int_div_zero 0
	.end_amdhsa_kernel
	.section	.text._ZN2at6native32elementwise_kernel_manual_unrollILi128ELi8EZNS0_22gpu_kernel_impl_nocastINS0_13BUnaryFunctorIN3c108BFloat16ES5_S5_ZNS0_20copysign_kernel_cudaERNS_18TensorIteratorBaseEEUlS5_S5_E_EEEEvS7_RKT_EUlibE_EEviT1_,"axG",@progbits,_ZN2at6native32elementwise_kernel_manual_unrollILi128ELi8EZNS0_22gpu_kernel_impl_nocastINS0_13BUnaryFunctorIN3c108BFloat16ES5_S5_ZNS0_20copysign_kernel_cudaERNS_18TensorIteratorBaseEEUlS5_S5_E_EEEEvS7_RKT_EUlibE_EEviT1_,comdat
.Lfunc_end37:
	.size	_ZN2at6native32elementwise_kernel_manual_unrollILi128ELi8EZNS0_22gpu_kernel_impl_nocastINS0_13BUnaryFunctorIN3c108BFloat16ES5_S5_ZNS0_20copysign_kernel_cudaERNS_18TensorIteratorBaseEEUlS5_S5_E_EEEEvS7_RKT_EUlibE_EEviT1_, .Lfunc_end37-_ZN2at6native32elementwise_kernel_manual_unrollILi128ELi8EZNS0_22gpu_kernel_impl_nocastINS0_13BUnaryFunctorIN3c108BFloat16ES5_S5_ZNS0_20copysign_kernel_cudaERNS_18TensorIteratorBaseEEUlS5_S5_E_EEEEvS7_RKT_EUlibE_EEviT1_
                                        ; -- End function
	.section	.AMDGPU.csdata,"",@progbits
; Kernel info:
; codeLenInByte = 11636
; NumSgprs: 66
; NumVgprs: 34
; NumAgprs: 0
; TotalNumVgprs: 34
; ScratchSize: 0
; MemoryBound: 0
; FloatMode: 240
; IeeeMode: 1
; LDSByteSize: 0 bytes/workgroup (compile time only)
; SGPRBlocks: 8
; VGPRBlocks: 4
; NumSGPRsForWavesPerEU: 66
; NumVGPRsForWavesPerEU: 34
; AccumOffset: 36
; Occupancy: 8
; WaveLimiterHint : 1
; COMPUTE_PGM_RSRC2:SCRATCH_EN: 0
; COMPUTE_PGM_RSRC2:USER_SGPR: 6
; COMPUTE_PGM_RSRC2:TRAP_HANDLER: 0
; COMPUTE_PGM_RSRC2:TGID_X_EN: 1
; COMPUTE_PGM_RSRC2:TGID_Y_EN: 0
; COMPUTE_PGM_RSRC2:TGID_Z_EN: 0
; COMPUTE_PGM_RSRC2:TIDIG_COMP_CNT: 0
; COMPUTE_PGM_RSRC3_GFX90A:ACCUM_OFFSET: 8
; COMPUTE_PGM_RSRC3_GFX90A:TG_SPLIT: 0
	.section	.text._ZN2at6native32elementwise_kernel_manual_unrollILi128ELi4EZNS0_15gpu_kernel_implINS0_13BUnaryFunctorIN3c108BFloat16ES5_S5_ZNS0_20copysign_kernel_cudaERNS_18TensorIteratorBaseEEUlS5_S5_E_EEEEvS7_RKT_EUlibE_EEviT1_,"axG",@progbits,_ZN2at6native32elementwise_kernel_manual_unrollILi128ELi4EZNS0_15gpu_kernel_implINS0_13BUnaryFunctorIN3c108BFloat16ES5_S5_ZNS0_20copysign_kernel_cudaERNS_18TensorIteratorBaseEEUlS5_S5_E_EEEEvS7_RKT_EUlibE_EEviT1_,comdat
	.globl	_ZN2at6native32elementwise_kernel_manual_unrollILi128ELi4EZNS0_15gpu_kernel_implINS0_13BUnaryFunctorIN3c108BFloat16ES5_S5_ZNS0_20copysign_kernel_cudaERNS_18TensorIteratorBaseEEUlS5_S5_E_EEEEvS7_RKT_EUlibE_EEviT1_ ; -- Begin function _ZN2at6native32elementwise_kernel_manual_unrollILi128ELi4EZNS0_15gpu_kernel_implINS0_13BUnaryFunctorIN3c108BFloat16ES5_S5_ZNS0_20copysign_kernel_cudaERNS_18TensorIteratorBaseEEUlS5_S5_E_EEEEvS7_RKT_EUlibE_EEviT1_
	.p2align	8
	.type	_ZN2at6native32elementwise_kernel_manual_unrollILi128ELi4EZNS0_15gpu_kernel_implINS0_13BUnaryFunctorIN3c108BFloat16ES5_S5_ZNS0_20copysign_kernel_cudaERNS_18TensorIteratorBaseEEUlS5_S5_E_EEEEvS7_RKT_EUlibE_EEviT1_,@function
_ZN2at6native32elementwise_kernel_manual_unrollILi128ELi4EZNS0_15gpu_kernel_implINS0_13BUnaryFunctorIN3c108BFloat16ES5_S5_ZNS0_20copysign_kernel_cudaERNS_18TensorIteratorBaseEEUlS5_S5_E_EEEEvS7_RKT_EUlibE_EEviT1_: ; @_ZN2at6native32elementwise_kernel_manual_unrollILi128ELi4EZNS0_15gpu_kernel_implINS0_13BUnaryFunctorIN3c108BFloat16ES5_S5_ZNS0_20copysign_kernel_cudaERNS_18TensorIteratorBaseEEUlS5_S5_E_EEEEvS7_RKT_EUlibE_EEviT1_
; %bb.0:
	s_load_dwordx8 s[8:15], s[4:5], 0x8
	s_load_dword s33, s[4:5], 0x0
	v_lshl_or_b32 v2, s6, 9, v0
	v_or_b32_e32 v0, 0x180, v2
	s_mov_b64 s[2:3], 0
	s_waitcnt lgkmcnt(0)
	s_lshr_b32 s14, s14, 16
	v_lshrrev_b16_e64 v3, 8, s15
	v_cmp_le_i32_e32 vcc, s33, v0
	s_mov_b64 s[6:7], 0
	s_and_saveexec_b64 s[0:1], vcc
	s_xor_b64 s[4:5], exec, s[0:1]
	s_cbranch_execz .LBB38_1029
; %bb.1:
	v_mov_b32_e32 v0, 0xffff8000
	v_and_b32_e32 v4, s14, v0
	v_cmp_gt_i32_e32 vcc, s33, v2
	s_mov_b64 s[20:21], -1
	s_mov_b64 s[22:23], 0
	s_mov_b64 s[16:17], 0
	s_and_saveexec_b64 s[18:19], vcc
	s_cbranch_execz .LBB38_252
; %bb.2:
	v_mul_lo_u32 v0, v2, s13
	v_ashrrev_i32_e32 v1, 31, v0
	v_mov_b32_e32 v5, s11
	v_add_co_u32_e32 v0, vcc, s10, v0
	v_addc_co_u32_e32 v1, vcc, v5, v1, vcc
	v_cmp_gt_i16_e32 vcc, 11, v3
	s_cbranch_vccnz .LBB38_9
; %bb.3:
	v_cmp_lt_i16_e32 vcc, 25, v3
	s_cbranch_vccz .LBB38_18
; %bb.4:
	v_cmp_lt_i16_e32 vcc, 28, v3
	s_cbranch_vccz .LBB38_22
	;; [unrolled: 3-line block ×4, first 2 shown]
; %bb.7:
	v_cmp_eq_u16_e32 vcc, 46, v3
	s_cbranch_vccz .LBB38_28
; %bb.8:
	global_load_dword v5, v[0:1], off
	s_mov_b64 s[0:1], -1
	s_branch .LBB38_30
.LBB38_9:
                                        ; implicit-def: $vgpr5
	s_mov_b64 s[0:1], 0
	s_cbranch_execnz .LBB38_203
.LBB38_10:
	s_andn2_b64 vcc, exec, s[0:1]
	s_cbranch_vccnz .LBB38_250
.LBB38_11:
	v_mul_lo_u32 v0, v2, s12
	v_ashrrev_i32_e32 v1, 31, v0
	v_mov_b32_e32 v7, s9
	v_add_co_u32_e32 v0, vcc, s8, v0
	v_addc_co_u32_e32 v1, vcc, v7, v1, vcc
	v_mov_b32_e32 v7, 11
	s_waitcnt vmcnt(0)
	v_and_b32_e32 v6, 0x7fff, v5
	v_cmp_lt_i16_sdwa s[0:1], s15, v7 src0_sel:BYTE_0 src1_sel:DWORD
	v_or_b32_e32 v5, v6, v4
	s_and_b64 vcc, exec, s[0:1]
	s_cbranch_vccnz .LBB38_19
; %bb.12:
	v_mov_b32_e32 v7, 25
	v_cmp_gt_i16_sdwa s[0:1], s15, v7 src0_sel:BYTE_0 src1_sel:DWORD
	s_and_b64 vcc, exec, s[0:1]
	s_cbranch_vccz .LBB38_23
; %bb.13:
	v_mov_b32_e32 v7, 28
	v_cmp_gt_i16_sdwa s[0:1], s15, v7 src0_sel:BYTE_0 src1_sel:DWORD
	s_and_b64 vcc, exec, s[0:1]
	s_cbranch_vccz .LBB38_25
	;; [unrolled: 5-line block ×4, first 2 shown]
; %bb.16:
	v_mov_b32_e32 v7, 46
	v_cmp_eq_u16_sdwa s[6:7], s15, v7 src0_sel:BYTE_0 src1_sel:DWORD
	s_mov_b64 s[20:21], 0
	s_mov_b64 s[0:1], -1
	s_and_b64 vcc, exec, s[6:7]
	s_mov_b64 s[6:7], 0
	s_cbranch_vccz .LBB38_34
; %bb.17:
	v_and_b32_e32 v7, 0xffff, v5
	global_store_dword v[0:1], v7, off
	s_mov_b64 s[6:7], -1
	s_mov_b64 s[0:1], 0
	s_branch .LBB38_34
.LBB38_18:
	s_mov_b64 s[0:1], 0
                                        ; implicit-def: $vgpr5
	s_cbranch_execnz .LBB38_168
	s_branch .LBB38_202
.LBB38_19:
	s_mov_b64 s[0:1], 0
	s_mov_b64 s[6:7], 0
	s_cbranch_execnz .LBB38_103
.LBB38_20:
	s_andn2_b64 vcc, exec, s[6:7]
	s_cbranch_vccnz .LBB38_141
.LBB38_21:
	v_add_u32_e32 v2, 0x80, v2
	s_mov_b64 s[20:21], -1
	s_branch .LBB38_251
.LBB38_22:
	s_mov_b64 s[6:7], -1
	s_mov_b64 s[0:1], 0
                                        ; implicit-def: $vgpr5
	s_branch .LBB38_149
.LBB38_23:
	s_mov_b64 s[20:21], -1
	s_mov_b64 s[0:1], 0
	s_mov_b64 s[6:7], 0
	s_branch .LBB38_61
.LBB38_24:
	s_mov_b64 s[6:7], -1
	s_mov_b64 s[0:1], 0
                                        ; implicit-def: $vgpr5
	s_branch .LBB38_144
.LBB38_25:
	s_mov_b64 s[20:21], -1
	s_mov_b64 s[0:1], 0
	s_mov_b64 s[6:7], 0
	s_branch .LBB38_44
.LBB38_26:
	s_mov_b64 s[6:7], -1
	s_branch .LBB38_29
.LBB38_27:
	s_mov_b64 s[20:21], -1
	s_mov_b64 s[0:1], 0
	s_mov_b64 s[6:7], 0
	s_branch .LBB38_40
.LBB38_28:
	s_mov_b64 s[16:17], -1
.LBB38_29:
	s_mov_b64 s[0:1], 0
                                        ; implicit-def: $vgpr5
.LBB38_30:
	s_and_b64 vcc, exec, s[6:7]
	s_cbranch_vccz .LBB38_143
; %bb.31:
	v_cmp_eq_u16_e32 vcc, 44, v3
	s_cbranch_vccz .LBB38_142
; %bb.32:
	global_load_ubyte v5, v[0:1], off
	s_movk_i32 s6, 0xff
	v_mov_b32_e32 v6, 0x7f800001
	v_mov_b32_e32 v7, 0x400000
	;; [unrolled: 1-line block ×3, first 2 shown]
	s_mov_b64 s[0:1], -1
	s_mov_b64 s[16:17], 0
	s_waitcnt vmcnt(0)
	v_lshlrev_b32_e32 v9, 23, v5
	v_cmp_ne_u32_e32 vcc, s6, v5
	v_cndmask_b32_e32 v6, v6, v9, vcc
	v_cmp_ne_u32_e32 vcc, 0, v5
	v_cndmask_b32_e32 v5, v7, v6, vcc
	v_add_u32_e32 v6, 0x7fff, v5
	v_lshrrev_b32_e32 v6, 16, v6
	v_cmp_o_f32_e32 vcc, v5, v5
	v_cndmask_b32_e32 v5, v8, v6, vcc
	s_branch .LBB38_143
.LBB38_33:
	s_mov_b64 s[20:21], -1
	s_mov_b64 s[0:1], 0
	s_mov_b64 s[6:7], 0
.LBB38_34:
	s_and_b64 vcc, exec, s[20:21]
	s_cbranch_vccz .LBB38_39
; %bb.35:
	v_mov_b32_e32 v7, 44
	v_cmp_eq_u16_sdwa s[20:21], s15, v7 src0_sel:BYTE_0 src1_sel:DWORD
	s_mov_b64 s[0:1], -1
	s_and_b64 vcc, exec, s[20:21]
	s_cbranch_vccz .LBB38_39
; %bb.36:
	v_and_b32_e32 v8, 0xffff, v5
	v_bfe_u32 v7, v8, 7, 8
	s_movk_i32 s0, 0xff
	v_cmp_ne_u32_e32 vcc, s0, v7
	v_mov_b32_e32 v9, 0xff
	s_and_saveexec_b64 s[6:7], vcc
; %bb.37:
	v_lshlrev_b32_e32 v10, 16, v8
	s_mov_b32 s0, 0x3f0000
	v_lshrrev_b32_e32 v9, 7, v8
	v_and_b32_e32 v8, 64, v8
	v_and_or_b32 v7, v10, s0, v7
	v_cmp_ne_u32_e32 vcc, 0, v8
	v_cmp_ne_u32_e64 s[0:1], 0, v7
	s_and_b64 s[0:1], vcc, s[0:1]
	v_cndmask_b32_e64 v7, 0, 1, s[0:1]
	v_add_u32_e32 v9, v9, v7
; %bb.38:
	s_or_b64 exec, exec, s[6:7]
	s_mov_b64 s[6:7], -1
	s_mov_b64 s[0:1], 0
	global_store_byte v[0:1], v9, off
.LBB38_39:
	s_mov_b64 s[20:21], 0
.LBB38_40:
	s_and_b64 vcc, exec, s[20:21]
	s_cbranch_vccz .LBB38_43
; %bb.41:
	v_mov_b32_e32 v7, 29
	v_cmp_eq_u16_sdwa s[20:21], s15, v7 src0_sel:BYTE_0 src1_sel:DWORD
	s_mov_b64 s[0:1], -1
	s_and_b64 vcc, exec, s[20:21]
	s_cbranch_vccz .LBB38_43
; %bb.42:
	v_lshlrev_b32_e32 v7, 16, v5
	v_trunc_f32_e32 v7, v7
	v_mul_f32_e32 v8, 0x2f800000, v7
	v_floor_f32_e32 v8, v8
	v_fmac_f32_e32 v7, 0xcf800000, v8
	v_cvt_u32_f32_e32 v9, v8
	v_cvt_u32_f32_e32 v8, v7
	s_mov_b64 s[6:7], -1
	s_mov_b64 s[0:1], 0
	s_mov_b64 s[20:21], 0
	global_store_dwordx2 v[0:1], v[8:9], off
	s_branch .LBB38_44
.LBB38_43:
	s_mov_b64 s[20:21], 0
.LBB38_44:
	s_and_b64 vcc, exec, s[20:21]
	s_cbranch_vccz .LBB38_60
; %bb.45:
	v_mov_b32_e32 v7, 27
	v_cmp_lt_i16_sdwa s[20:21], s15, v7 src0_sel:BYTE_0 src1_sel:DWORD
	s_mov_b64 s[6:7], -1
	s_and_b64 vcc, exec, s[20:21]
	s_cbranch_vccnz .LBB38_51
; %bb.46:
	v_cmp_gt_i16_sdwa s[20:21], s15, v7 src0_sel:BYTE_0 src1_sel:DWORD
	s_and_b64 vcc, exec, s[20:21]
	s_cbranch_vccz .LBB38_48
; %bb.47:
	v_lshlrev_b32_e32 v7, 16, v5
	v_cvt_u32_f32_e32 v7, v7
	s_mov_b64 s[6:7], 0
	global_store_dword v[0:1], v7, off
.LBB38_48:
	s_andn2_b64 vcc, exec, s[6:7]
	s_cbranch_vccnz .LBB38_50
; %bb.49:
	v_lshlrev_b32_e32 v7, 16, v5
	v_cvt_u32_f32_e32 v7, v7
	global_store_short v[0:1], v7, off
.LBB38_50:
	s_mov_b64 s[6:7], 0
.LBB38_51:
	s_andn2_b64 vcc, exec, s[6:7]
	s_cbranch_vccnz .LBB38_59
; %bb.52:
	v_lshlrev_b32_e32 v9, 16, v5
	v_and_b32_e32 v8, 0x7fffffff, v9
	s_mov_b32 s6, 0x43800000
	v_cmp_gt_u32_e32 vcc, s6, v8
	v_mov_b32_e32 v10, 0x80
	s_and_saveexec_b64 s[6:7], vcc
	s_cbranch_execz .LBB38_58
; %bb.53:
	s_mov_b32 s20, 0x3bffffff
	v_and_b32_e32 v7, 0xffff, v5
	v_cmp_lt_u32_e32 vcc, s20, v8
	s_mov_b64 s[20:21], 0
                                        ; implicit-def: $vgpr8
	s_and_saveexec_b64 s[24:25], vcc
	s_xor_b64 s[24:25], exec, s[24:25]
	s_cbranch_execz .LBB38_279
; %bb.54:
	v_bfe_u32 v8, v7, 4, 1
	s_mov_b32 s26, 0x487ffff
	v_add3_u32 v8, v9, v8, s26
	s_mov_b64 s[20:21], exec
	v_lshrrev_b32_e32 v8, 20, v8
                                        ; implicit-def: $vgpr9
	s_or_saveexec_b64 s[24:25], s[24:25]
                                        ; implicit-def: $sgpr26
	s_xor_b64 exec, exec, s[24:25]
	s_cbranch_execnz .LBB38_280
.LBB38_55:
	s_or_b64 exec, exec, s[24:25]
	v_mov_b32_e32 v10, s26
	s_and_saveexec_b64 s[24:25], s[20:21]
.LBB38_56:
	v_lshrrev_b32_e32 v7, 8, v7
	s_movk_i32 s20, 0x80
	v_and_or_b32 v10, v7, s20, v8
.LBB38_57:
	s_or_b64 exec, exec, s[24:25]
.LBB38_58:
	s_or_b64 exec, exec, s[6:7]
	global_store_byte v[0:1], v10, off
.LBB38_59:
	s_mov_b64 s[6:7], -1
.LBB38_60:
	s_mov_b64 s[20:21], 0
.LBB38_61:
	s_and_b64 vcc, exec, s[20:21]
	s_cbranch_vccz .LBB38_102
; %bb.62:
	v_mov_b32_e32 v7, 22
	v_cmp_gt_i16_sdwa s[24:25], s15, v7 src0_sel:BYTE_0 src1_sel:DWORD
	s_mov_b64 s[20:21], -1
	s_and_b64 vcc, exec, s[24:25]
	s_cbranch_vccz .LBB38_94
; %bb.63:
	v_mov_b32_e32 v7, 24
	v_cmp_lt_i16_sdwa s[20:21], s15, v7 src0_sel:BYTE_0 src1_sel:DWORD
	s_mov_b64 s[6:7], -1
	s_and_b64 vcc, exec, s[20:21]
	s_cbranch_vccnz .LBB38_83
; %bb.64:
	v_cmp_gt_i16_sdwa s[20:21], s15, v7 src0_sel:BYTE_0 src1_sel:DWORD
	s_and_b64 vcc, exec, s[20:21]
	s_cbranch_vccz .LBB38_72
; %bb.65:
	v_lshlrev_b32_e32 v9, 16, v5
	v_and_b32_e32 v8, 0x7fffffff, v9
	s_mov_b32 s6, 0x47800000
	v_cmp_gt_u32_e32 vcc, s6, v8
	v_mov_b32_e32 v10, 0x80
	s_and_saveexec_b64 s[6:7], vcc
	s_cbranch_execz .LBB38_71
; %bb.66:
	s_mov_b32 s20, 0x37ffffff
	v_and_b32_e32 v7, 0xffff, v5
	v_cmp_lt_u32_e32 vcc, s20, v8
	s_mov_b64 s[20:21], 0
                                        ; implicit-def: $vgpr8
	s_and_saveexec_b64 s[24:25], vcc
	s_xor_b64 s[24:25], exec, s[24:25]
	s_cbranch_execz .LBB38_283
; %bb.67:
	v_bfe_u32 v8, v7, 5, 1
	s_mov_b32 s26, 0x88fffff
	v_add3_u32 v8, v9, v8, s26
	s_mov_b64 s[20:21], exec
	v_lshrrev_b32_e32 v8, 21, v8
                                        ; implicit-def: $vgpr9
	s_or_saveexec_b64 s[24:25], s[24:25]
                                        ; implicit-def: $sgpr26
	s_xor_b64 exec, exec, s[24:25]
	s_cbranch_execnz .LBB38_284
.LBB38_68:
	s_or_b64 exec, exec, s[24:25]
	v_mov_b32_e32 v10, s26
	s_and_saveexec_b64 s[24:25], s[20:21]
.LBB38_69:
	v_lshrrev_b32_e32 v7, 8, v7
	s_movk_i32 s20, 0x80
	v_and_or_b32 v10, v7, s20, v8
.LBB38_70:
	s_or_b64 exec, exec, s[24:25]
.LBB38_71:
	s_or_b64 exec, exec, s[6:7]
	s_mov_b64 s[6:7], 0
	global_store_byte v[0:1], v10, off
.LBB38_72:
	s_and_b64 vcc, exec, s[6:7]
	s_cbranch_vccz .LBB38_82
; %bb.73:
	v_lshlrev_b32_e32 v9, 16, v5
	v_and_b32_e32 v10, 0x7fffffff, v9
	s_mov_b32 s6, 0x43f00000
	v_and_b32_e32 v7, 0xffff, v5
	v_cmp_gt_u32_e32 vcc, s6, v10
                                        ; implicit-def: $vgpr8
	s_and_saveexec_b64 s[6:7], vcc
	s_xor_b64 s[6:7], exec, s[6:7]
	s_cbranch_execz .LBB38_79
; %bb.74:
	s_mov_b32 s20, 0x3c7fffff
	v_cmp_lt_u32_e32 vcc, s20, v10
                                        ; implicit-def: $vgpr8
	s_and_saveexec_b64 s[20:21], vcc
	s_xor_b64 s[20:21], exec, s[20:21]
; %bb.75:
	v_bfe_u32 v8, v7, 4, 1
	s_mov_b32 s24, 0x407ffff
	v_add3_u32 v8, v9, v8, s24
	v_lshrrev_b32_e32 v9, 20, v8
	v_and_b32_e32 v8, 0xff00000, v8
	s_mov_b32 s24, 0x7f00000
	v_mov_b32_e32 v10, 0x7e
	v_cmp_ne_u32_e32 vcc, s24, v8
	v_cndmask_b32_e32 v8, v10, v9, vcc
                                        ; implicit-def: $vgpr9
; %bb.76:
	s_andn2_saveexec_b64 s[20:21], s[20:21]
; %bb.77:
	s_mov_b32 s24, 0x46800000
	v_add_f32_e64 v8, |v9|, s24
; %bb.78:
	s_or_b64 exec, exec, s[20:21]
                                        ; implicit-def: $vgpr10
.LBB38_79:
	s_andn2_saveexec_b64 s[6:7], s[6:7]
; %bb.80:
	s_mov_b32 s20, 0x7f800000
	v_mov_b32_e32 v8, 0x7e
	v_mov_b32_e32 v9, 0x7f
	v_cmp_lt_u32_e32 vcc, s20, v10
	v_cndmask_b32_e32 v8, v8, v9, vcc
; %bb.81:
	s_or_b64 exec, exec, s[6:7]
	v_lshrrev_b32_e32 v7, 8, v7
	s_movk_i32 s6, 0x80
	v_and_or_b32 v7, v7, s6, v8
	global_store_byte v[0:1], v7, off
.LBB38_82:
	s_mov_b64 s[6:7], 0
.LBB38_83:
	s_andn2_b64 vcc, exec, s[6:7]
	s_cbranch_vccnz .LBB38_93
; %bb.84:
	v_lshlrev_b32_e32 v9, 16, v5
	v_and_b32_e32 v10, 0x7fffffff, v9
	s_mov_b32 s6, 0x47800000
	v_and_b32_e32 v7, 0xffff, v5
	v_cmp_gt_u32_e32 vcc, s6, v10
                                        ; implicit-def: $vgpr8
	s_and_saveexec_b64 s[6:7], vcc
	s_xor_b64 s[6:7], exec, s[6:7]
	s_cbranch_execz .LBB38_90
; %bb.85:
	s_mov_b32 s20, 0x387fffff
	v_cmp_lt_u32_e32 vcc, s20, v10
                                        ; implicit-def: $vgpr8
	s_and_saveexec_b64 s[20:21], vcc
	s_xor_b64 s[20:21], exec, s[20:21]
; %bb.86:
	v_bfe_u32 v8, v7, 5, 1
	s_mov_b32 s24, 0x80fffff
	v_add3_u32 v8, v9, v8, s24
	v_lshrrev_b32_e32 v8, 21, v8
                                        ; implicit-def: $vgpr9
; %bb.87:
	s_andn2_saveexec_b64 s[20:21], s[20:21]
; %bb.88:
	s_mov_b32 s24, 0x43000000
	v_add_f32_e64 v8, |v9|, s24
; %bb.89:
	s_or_b64 exec, exec, s[20:21]
                                        ; implicit-def: $vgpr10
.LBB38_90:
	s_andn2_saveexec_b64 s[6:7], s[6:7]
; %bb.91:
	s_mov_b32 s20, 0x7f800000
	v_mov_b32_e32 v8, 0x7c
	v_mov_b32_e32 v9, 0x7f
	v_cmp_lt_u32_e32 vcc, s20, v10
	v_cndmask_b32_e32 v8, v8, v9, vcc
; %bb.92:
	s_or_b64 exec, exec, s[6:7]
	v_lshrrev_b32_e32 v7, 8, v7
	s_movk_i32 s6, 0x80
	v_and_or_b32 v7, v7, s6, v8
	global_store_byte v[0:1], v7, off
.LBB38_93:
	s_mov_b64 s[20:21], 0
	s_mov_b64 s[6:7], -1
.LBB38_94:
	s_andn2_b64 vcc, exec, s[20:21]
	s_cbranch_vccnz .LBB38_102
; %bb.95:
	v_mov_b32_e32 v7, 14
	v_cmp_gt_i16_sdwa s[24:25], s15, v7 src0_sel:BYTE_0 src1_sel:DWORD
	s_mov_b64 s[20:21], -1
	s_and_b64 vcc, exec, s[24:25]
	s_cbranch_vccz .LBB38_99
; %bb.96:
	v_mov_b32_e32 v7, 15
	v_cmp_eq_u16_sdwa s[20:21], s15, v7 src0_sel:BYTE_0 src1_sel:DWORD
	s_mov_b64 s[0:1], -1
	s_and_b64 vcc, exec, s[20:21]
	s_cbranch_vccz .LBB38_98
; %bb.97:
	global_store_short v[0:1], v5, off
	s_mov_b64 s[6:7], -1
	s_mov_b64 s[0:1], 0
.LBB38_98:
	s_mov_b64 s[20:21], 0
.LBB38_99:
	s_and_b64 vcc, exec, s[20:21]
	s_cbranch_vccz .LBB38_102
; %bb.100:
	v_mov_b32_e32 v7, 11
	v_cmp_eq_u16_sdwa s[20:21], s15, v7 src0_sel:BYTE_0 src1_sel:DWORD
	s_mov_b64 s[0:1], -1
	s_and_b64 vcc, exec, s[20:21]
	s_cbranch_vccz .LBB38_102
; %bb.101:
	v_cmp_ne_u16_e32 vcc, 0, v6
	v_cndmask_b32_e64 v6, 0, 1, vcc
	s_mov_b64 s[6:7], -1
	s_mov_b64 s[0:1], 0
	global_store_byte v[0:1], v6, off
.LBB38_102:
	s_branch .LBB38_20
.LBB38_103:
	v_mov_b32_e32 v6, 5
	v_cmp_lt_i16_sdwa s[20:21], s15, v6 src0_sel:BYTE_0 src1_sel:DWORD
	s_mov_b64 s[6:7], -1
	s_and_b64 vcc, exec, s[20:21]
	s_cbranch_vccnz .LBB38_124
; %bb.104:
	v_mov_b32_e32 v6, 8
	v_cmp_lt_i16_sdwa s[20:21], s15, v6 src0_sel:BYTE_0 src1_sel:DWORD
	s_and_b64 vcc, exec, s[20:21]
	s_cbranch_vccnz .LBB38_114
; %bb.105:
	v_mov_b32_e32 v6, 9
	v_cmp_lt_i16_sdwa s[20:21], s15, v6 src0_sel:BYTE_0 src1_sel:DWORD
	s_and_b64 vcc, exec, s[20:21]
	s_cbranch_vccnz .LBB38_111
; %bb.106:
	v_cmp_gt_i16_sdwa s[20:21], s15, v6 src0_sel:BYTE_0 src1_sel:DWORD
	s_and_b64 vcc, exec, s[20:21]
	s_cbranch_vccz .LBB38_108
; %bb.107:
	v_lshlrev_b32_e32 v6, 16, v5
	v_mov_b32_e32 v8, 0
	v_cvt_f64_f32_e32 v[6:7], v6
	v_mov_b32_e32 v9, v8
	global_store_dwordx4 v[0:1], v[6:9], off
	s_mov_b64 s[6:7], 0
.LBB38_108:
	s_andn2_b64 vcc, exec, s[6:7]
	s_cbranch_vccnz .LBB38_110
; %bb.109:
	v_lshlrev_b32_e32 v6, 16, v5
	v_mov_b32_e32 v7, 0
	global_store_dwordx2 v[0:1], v[6:7], off
.LBB38_110:
	s_mov_b64 s[6:7], 0
.LBB38_111:
	s_andn2_b64 vcc, exec, s[6:7]
	s_cbranch_vccnz .LBB38_113
; %bb.112:
	v_lshlrev_b32_e32 v6, 16, v5
	v_cvt_f16_f32_e32 v6, v6
	global_store_dword v[0:1], v6, off
.LBB38_113:
	s_mov_b64 s[6:7], 0
.LBB38_114:
	s_andn2_b64 vcc, exec, s[6:7]
	s_cbranch_vccnz .LBB38_123
; %bb.115:
	v_mov_b32_e32 v6, 6
	v_cmp_lt_i16_sdwa s[20:21], s15, v6 src0_sel:BYTE_0 src1_sel:DWORD
	s_mov_b64 s[6:7], -1
	s_and_b64 vcc, exec, s[20:21]
	s_cbranch_vccnz .LBB38_121
; %bb.116:
	v_cmp_gt_i16_sdwa s[20:21], s15, v6 src0_sel:BYTE_0 src1_sel:DWORD
	s_and_b64 vcc, exec, s[20:21]
	s_cbranch_vccz .LBB38_118
; %bb.117:
	v_lshlrev_b32_e32 v6, 16, v5
	v_cvt_f64_f32_e32 v[6:7], v6
	global_store_dwordx2 v[0:1], v[6:7], off
	s_mov_b64 s[6:7], 0
.LBB38_118:
	s_andn2_b64 vcc, exec, s[6:7]
	s_cbranch_vccnz .LBB38_120
; %bb.119:
	v_lshlrev_b32_e32 v6, 16, v5
	global_store_dword v[0:1], v6, off
.LBB38_120:
	s_mov_b64 s[6:7], 0
.LBB38_121:
	s_andn2_b64 vcc, exec, s[6:7]
	s_cbranch_vccnz .LBB38_123
; %bb.122:
	v_lshlrev_b32_e32 v6, 16, v5
	v_cvt_f16_f32_e32 v6, v6
	global_store_short v[0:1], v6, off
.LBB38_123:
	s_mov_b64 s[6:7], 0
.LBB38_124:
	s_andn2_b64 vcc, exec, s[6:7]
	s_cbranch_vccnz .LBB38_140
; %bb.125:
	v_mov_b32_e32 v6, 2
	v_cmp_lt_i16_sdwa s[20:21], s15, v6 src0_sel:BYTE_0 src1_sel:DWORD
	s_mov_b64 s[6:7], -1
	s_and_b64 vcc, exec, s[20:21]
	s_cbranch_vccnz .LBB38_135
; %bb.126:
	v_mov_b32_e32 v6, 3
	v_cmp_lt_i16_sdwa s[20:21], s15, v6 src0_sel:BYTE_0 src1_sel:DWORD
	s_and_b64 vcc, exec, s[20:21]
	s_cbranch_vccnz .LBB38_132
; %bb.127:
	v_cmp_gt_i16_sdwa s[20:21], s15, v6 src0_sel:BYTE_0 src1_sel:DWORD
	s_and_b64 vcc, exec, s[20:21]
	s_cbranch_vccz .LBB38_129
; %bb.128:
	v_lshlrev_b32_e32 v6, 16, v5
	v_trunc_f32_e32 v6, v6
	s_mov_b32 s6, 0x2f800000
	v_mul_f32_e64 v7, |v6|, s6
	v_floor_f32_e32 v7, v7
	s_mov_b32 s6, 0xcf800000
	v_cvt_u32_f32_e32 v8, v7
	v_fma_f32 v7, v7, s6, |v6|
	v_cvt_u32_f32_e32 v7, v7
	v_ashrrev_i32_e32 v9, 31, v6
	v_xor_b32_e32 v8, v8, v9
	s_mov_b64 s[6:7], 0
	v_xor_b32_e32 v6, v7, v9
	v_sub_co_u32_e32 v6, vcc, v6, v9
	v_subb_co_u32_e32 v7, vcc, v8, v9, vcc
	global_store_dwordx2 v[0:1], v[6:7], off
.LBB38_129:
	s_andn2_b64 vcc, exec, s[6:7]
	s_cbranch_vccnz .LBB38_131
; %bb.130:
	v_lshlrev_b32_e32 v6, 16, v5
	v_cvt_i32_f32_e32 v6, v6
	global_store_dword v[0:1], v6, off
.LBB38_131:
	s_mov_b64 s[6:7], 0
.LBB38_132:
	s_andn2_b64 vcc, exec, s[6:7]
	s_cbranch_vccnz .LBB38_134
; %bb.133:
	v_lshlrev_b32_e32 v6, 16, v5
	v_cvt_i32_f32_e32 v6, v6
	global_store_short v[0:1], v6, off
.LBB38_134:
	s_mov_b64 s[6:7], 0
.LBB38_135:
	s_andn2_b64 vcc, exec, s[6:7]
	s_cbranch_vccnz .LBB38_140
; %bb.136:
	v_mov_b32_e32 v6, 0
	v_cmp_gt_i16_sdwa s[20:21], s15, v6 src0_sel:BYTE_0 src1_sel:DWORD
	s_mov_b64 s[6:7], -1
	s_and_b64 vcc, exec, s[20:21]
	v_lshlrev_b32_e32 v5, 16, v5
	s_cbranch_vccz .LBB38_138
; %bb.137:
	v_cvt_i32_f32_e32 v6, v5
	s_mov_b64 s[6:7], 0
	global_store_byte v[0:1], v6, off
.LBB38_138:
	s_andn2_b64 vcc, exec, s[6:7]
	s_cbranch_vccnz .LBB38_140
; %bb.139:
	v_trunc_f32_e32 v5, v5
	s_mov_b32 s6, 0x2f800000
	v_mul_f32_e64 v6, |v5|, s6
	v_floor_f32_e32 v6, v6
	s_mov_b32 s6, 0xcf800000
	v_fma_f32 v6, v6, s6, |v5|
	v_cvt_u32_f32_e32 v6, v6
	v_ashrrev_i32_e32 v5, 31, v5
	v_xor_b32_e32 v6, v6, v5
	v_sub_u32_e32 v5, v6, v5
	global_store_byte v[0:1], v5, off
.LBB38_140:
	s_branch .LBB38_21
.LBB38_141:
	s_mov_b64 s[20:21], 0
                                        ; implicit-def: $vgpr2
	s_branch .LBB38_251
.LBB38_142:
	s_mov_b64 s[16:17], -1
                                        ; implicit-def: $vgpr5
.LBB38_143:
	s_mov_b64 s[6:7], 0
.LBB38_144:
	s_and_b64 vcc, exec, s[6:7]
	s_cbranch_vccz .LBB38_148
; %bb.145:
	v_cmp_eq_u16_e32 vcc, 29, v3
	s_cbranch_vccz .LBB38_147
; %bb.146:
	global_load_dwordx2 v[6:7], v[0:1], off
	s_movk_i32 s6, 0x7fff
	s_mov_b64 s[0:1], -1
	s_mov_b64 s[16:17], 0
	s_waitcnt vmcnt(0)
	v_ffbh_u32_e32 v5, v7
	v_min_u32_e32 v5, 32, v5
	v_lshlrev_b64 v[6:7], v5, v[6:7]
	v_min_u32_e32 v6, 1, v6
	v_or_b32_e32 v6, v7, v6
	v_cvt_f32_u32_e32 v6, v6
	v_sub_u32_e32 v5, 32, v5
	v_ldexp_f32 v5, v6, v5
	v_bfe_u32 v6, v5, 16, 1
	v_add3_u32 v5, v5, v6, s6
	v_lshrrev_b32_e32 v5, 16, v5
	s_branch .LBB38_148
.LBB38_147:
	s_mov_b64 s[16:17], -1
                                        ; implicit-def: $vgpr5
.LBB38_148:
	s_mov_b64 s[6:7], 0
.LBB38_149:
	s_and_b64 vcc, exec, s[6:7]
	s_cbranch_vccz .LBB38_167
; %bb.150:
	v_cmp_gt_i16_e32 vcc, 27, v3
	s_cbranch_vccnz .LBB38_153
; %bb.151:
	v_cmp_lt_i16_e32 vcc, 27, v3
	s_cbranch_vccz .LBB38_154
; %bb.152:
	global_load_dword v5, v[0:1], off
	s_movk_i32 s0, 0x7fff
	s_waitcnt vmcnt(0)
	v_cvt_f32_u32_e32 v5, v5
	v_bfe_u32 v6, v5, 16, 1
	v_add3_u32 v5, v5, v6, s0
	v_lshrrev_b32_e32 v5, 16, v5
	s_mov_b64 s[0:1], 0
	s_branch .LBB38_155
.LBB38_153:
	s_mov_b64 s[0:1], -1
                                        ; implicit-def: $vgpr5
	s_branch .LBB38_158
.LBB38_154:
	s_mov_b64 s[0:1], -1
                                        ; implicit-def: $vgpr5
.LBB38_155:
	s_andn2_b64 vcc, exec, s[0:1]
	s_cbranch_vccnz .LBB38_157
; %bb.156:
	global_load_ushort v5, v[0:1], off
	s_movk_i32 s0, 0x7fff
	s_waitcnt vmcnt(0)
	v_cvt_f32_u32_e32 v5, v5
	v_bfe_u32 v6, v5, 16, 1
	v_add3_u32 v5, v5, v6, s0
	v_lshrrev_b32_e32 v5, 16, v5
.LBB38_157:
	s_mov_b64 s[0:1], 0
.LBB38_158:
	s_andn2_b64 vcc, exec, s[0:1]
	s_cbranch_vccnz .LBB38_166
; %bb.159:
	global_load_ubyte v5, v[0:1], off
	s_movk_i32 s0, 0x7f
                                        ; implicit-def: $sgpr24
	s_waitcnt vmcnt(0)
	v_cmp_lt_i16_e32 vcc, s0, v5
	s_mov_b64 s[0:1], 0
	s_and_saveexec_b64 s[6:7], vcc
	s_xor_b64 s[6:7], exec, s[6:7]
	s_cbranch_execz .LBB38_179
; %bb.160:
	s_movk_i32 s0, 0x80
	v_cmp_eq_u16_e32 vcc, s0, v5
	s_mov_b64 s[0:1], -1
                                        ; implicit-def: $sgpr24
	s_and_saveexec_b64 s[20:21], vcc
; %bb.161:
	s_mov_b32 s24, 0x7f800001
	s_xor_b64 s[0:1], exec, -1
; %bb.162:
	s_or_b64 exec, exec, s[20:21]
	s_and_b64 s[0:1], s[0:1], exec
	s_or_saveexec_b64 s[6:7], s[6:7]
	v_mov_b32_e32 v6, s24
	s_xor_b64 exec, exec, s[6:7]
	s_cbranch_execnz .LBB38_180
.LBB38_163:
	s_or_b64 exec, exec, s[6:7]
	s_and_saveexec_b64 s[6:7], s[0:1]
	s_cbranch_execz .LBB38_165
.LBB38_164:
	v_lshlrev_b32_e32 v6, 24, v5
	v_and_b32_e32 v5, 0xffff, v5
	v_and_b32_e32 v7, 7, v5
	v_ffbh_u32_e32 v9, v7
	v_min_u32_e32 v9, 32, v9
	v_subrev_u32_e32 v10, 28, v9
	v_bfe_u32 v8, v5, 3, 4
	v_lshlrev_b32_e32 v5, v10, v5
	v_sub_u32_e32 v9, 29, v9
	v_and_b32_e32 v5, 7, v5
	v_cmp_eq_u32_e32 vcc, 0, v8
	v_cndmask_b32_e32 v8, v8, v9, vcc
	v_cndmask_b32_e32 v5, v7, v5, vcc
	v_mov_b32_e32 v7, 0x3b800000
	v_lshlrev_b32_e32 v5, 20, v5
	v_and_b32_e32 v6, 0x80000000, v6
	v_lshl_add_u32 v7, v8, 23, v7
	v_or3_b32 v6, v6, v7, v5
.LBB38_165:
	s_or_b64 exec, exec, s[6:7]
	v_bfe_u32 v5, v6, 16, 1
	s_movk_i32 s0, 0x7fff
	v_add3_u32 v5, v6, v5, s0
	v_lshrrev_b32_e32 v5, 16, v5
	v_mov_b32_e32 v7, 0x7fc0
	v_cmp_o_f32_e32 vcc, v6, v6
	v_cndmask_b32_e32 v5, v7, v5, vcc
.LBB38_166:
	s_mov_b64 s[0:1], -1
.LBB38_167:
	s_branch .LBB38_202
.LBB38_168:
	v_cmp_lt_i16_e32 vcc, 22, v3
	s_cbranch_vccz .LBB38_178
; %bb.169:
	v_cmp_gt_i16_e32 vcc, 24, v3
	s_cbranch_vccnz .LBB38_181
; %bb.170:
	v_cmp_lt_i16_e32 vcc, 24, v3
	s_cbranch_vccz .LBB38_182
; %bb.171:
	global_load_ubyte v5, v[0:1], off
	s_movk_i32 s0, 0x7f
                                        ; implicit-def: $sgpr24
	s_waitcnt vmcnt(0)
	v_cmp_lt_i16_e32 vcc, s0, v5
	s_mov_b64 s[0:1], 0
	s_and_saveexec_b64 s[6:7], vcc
	s_xor_b64 s[6:7], exec, s[6:7]
	s_cbranch_execz .LBB38_194
; %bb.172:
	s_movk_i32 s0, 0x80
	v_cmp_eq_u16_e32 vcc, s0, v5
	s_mov_b64 s[0:1], -1
                                        ; implicit-def: $sgpr24
	s_and_saveexec_b64 s[20:21], vcc
; %bb.173:
	s_mov_b32 s24, 0x7f800001
	s_xor_b64 s[0:1], exec, -1
; %bb.174:
	s_or_b64 exec, exec, s[20:21]
	s_and_b64 s[0:1], s[0:1], exec
	s_or_saveexec_b64 s[6:7], s[6:7]
	v_mov_b32_e32 v6, s24
	s_xor_b64 exec, exec, s[6:7]
	s_cbranch_execnz .LBB38_195
.LBB38_175:
	s_or_b64 exec, exec, s[6:7]
	s_and_saveexec_b64 s[6:7], s[0:1]
	s_cbranch_execz .LBB38_177
.LBB38_176:
	v_lshlrev_b32_e32 v6, 24, v5
	v_and_b32_e32 v5, 0xffff, v5
	v_and_b32_e32 v7, 3, v5
	v_ffbh_u32_e32 v9, v7
	v_min_u32_e32 v9, 32, v9
	v_subrev_u32_e32 v10, 29, v9
	v_bfe_u32 v8, v5, 2, 5
	v_lshlrev_b32_e32 v5, v10, v5
	v_sub_u32_e32 v9, 30, v9
	v_and_b32_e32 v5, 3, v5
	v_cmp_eq_u32_e32 vcc, 0, v8
	v_cndmask_b32_e32 v8, v8, v9, vcc
	v_cndmask_b32_e32 v5, v7, v5, vcc
	v_mov_b32_e32 v7, 0x37800000
	v_lshlrev_b32_e32 v5, 21, v5
	v_and_b32_e32 v6, 0x80000000, v6
	v_lshl_add_u32 v7, v8, 23, v7
	v_or3_b32 v6, v6, v7, v5
.LBB38_177:
	s_or_b64 exec, exec, s[6:7]
	v_bfe_u32 v5, v6, 16, 1
	s_movk_i32 s0, 0x7fff
	v_add3_u32 v5, v6, v5, s0
	v_lshrrev_b32_e32 v5, 16, v5
	v_mov_b32_e32 v7, 0x7fc0
	v_cmp_o_f32_e32 vcc, v6, v6
	v_cndmask_b32_e32 v5, v7, v5, vcc
	s_mov_b64 s[0:1], 0
	s_branch .LBB38_183
.LBB38_178:
	s_mov_b64 s[6:7], -1
                                        ; implicit-def: $vgpr5
	s_branch .LBB38_189
.LBB38_179:
	s_or_saveexec_b64 s[6:7], s[6:7]
	v_mov_b32_e32 v6, s24
	s_xor_b64 exec, exec, s[6:7]
	s_cbranch_execz .LBB38_163
.LBB38_180:
	v_cmp_ne_u16_e32 vcc, 0, v5
	s_andn2_b64 s[0:1], s[0:1], exec
	s_and_b64 s[20:21], vcc, exec
	v_mov_b32_e32 v6, 0
	s_or_b64 s[0:1], s[0:1], s[20:21]
	s_or_b64 exec, exec, s[6:7]
	s_and_saveexec_b64 s[6:7], s[0:1]
	s_cbranch_execnz .LBB38_164
	s_branch .LBB38_165
.LBB38_181:
	s_mov_b64 s[0:1], -1
                                        ; implicit-def: $vgpr5
	s_branch .LBB38_186
.LBB38_182:
	s_mov_b64 s[0:1], -1
                                        ; implicit-def: $vgpr5
.LBB38_183:
	s_and_b64 vcc, exec, s[0:1]
	s_cbranch_vccz .LBB38_185
; %bb.184:
	global_load_ubyte v5, v[0:1], off
	s_mov_b32 s0, 0x7f800000
	s_brev_b32 s1, 1
	s_movk_i32 s6, 0x7fff
	v_mov_b32_e32 v6, 0x7fc0
	s_waitcnt vmcnt(0)
	v_lshlrev_b32_e32 v5, 24, v5
	v_and_b32_e32 v7, 0x7f000000, v5
	v_ffbh_u32_e32 v8, v7
	v_min_u32_e32 v8, 32, v8
	v_sub_u32_e64 v8, v8, 4 clamp
	v_lshlrev_b32_e32 v10, v8, v7
	v_lshlrev_b32_e32 v8, 23, v8
	v_lshrrev_b32_e32 v10, 4, v10
	v_add_u32_e32 v9, 0x1000000, v7
	v_sub_u32_e32 v8, v10, v8
	v_ashrrev_i32_e32 v9, 8, v9
	v_add_u32_e32 v8, 0x3c000000, v8
	v_and_or_b32 v8, v9, s0, v8
	v_cmp_ne_u32_e32 vcc, 0, v7
	v_cndmask_b32_e32 v7, 0, v8, vcc
	v_and_or_b32 v5, v5, s1, v7
	v_bfe_u32 v7, v7, 16, 1
	v_add3_u32 v7, v5, v7, s6
	v_lshrrev_b32_e32 v7, 16, v7
	v_cmp_o_f32_e32 vcc, v5, v5
	v_cndmask_b32_e32 v5, v6, v7, vcc
.LBB38_185:
	s_mov_b64 s[0:1], 0
.LBB38_186:
	s_andn2_b64 vcc, exec, s[0:1]
	s_cbranch_vccnz .LBB38_188
; %bb.187:
	global_load_ubyte v5, v[0:1], off
	s_movk_i32 s0, 0x7f00
	s_brev_b32 s1, 16
	s_brev_b32 s6, 1
	s_movk_i32 s7, 0x7fff
	v_mov_b32_e32 v6, 0x7fc0
	s_waitcnt vmcnt(0)
	v_lshlrev_b16_e32 v7, 8, v5
	v_lshlrev_b32_e32 v5, 25, v5
	v_lshrrev_b32_e32 v8, 4, v5
	v_and_or_b32 v9, v7, s0, 0.5
	v_or_b32_e32 v8, 0x70000000, v8
	v_add_f32_e32 v9, -0.5, v9
	v_mul_f32_e32 v8, 0x7800000, v8
	v_cmp_gt_u32_e32 vcc, s1, v5
	v_bfe_i32 v7, v7, 0, 16
	v_cndmask_b32_e32 v5, v8, v9, vcc
	v_and_or_b32 v7, v7, s6, v5
	v_bfe_u32 v5, v5, 16, 1
	v_add3_u32 v5, v7, v5, s7
	v_lshrrev_b32_e32 v5, 16, v5
	v_cmp_o_f32_e32 vcc, v7, v7
	v_cndmask_b32_e32 v5, v6, v5, vcc
.LBB38_188:
	s_mov_b64 s[6:7], 0
	s_mov_b64 s[0:1], -1
.LBB38_189:
	s_andn2_b64 vcc, exec, s[6:7]
	s_cbranch_vccnz .LBB38_202
; %bb.190:
	v_cmp_lt_i16_e32 vcc, 14, v3
	s_cbranch_vccz .LBB38_193
; %bb.191:
	v_cmp_eq_u16_e32 vcc, 15, v3
	s_cbranch_vccz .LBB38_196
; %bb.192:
	global_load_ushort v5, v[0:1], off
	s_mov_b64 s[0:1], -1
	s_mov_b64 s[16:17], 0
	s_branch .LBB38_197
.LBB38_193:
	s_mov_b64 s[6:7], -1
                                        ; implicit-def: $vgpr5
	s_branch .LBB38_198
.LBB38_194:
	s_or_saveexec_b64 s[6:7], s[6:7]
	v_mov_b32_e32 v6, s24
	s_xor_b64 exec, exec, s[6:7]
	s_cbranch_execz .LBB38_175
.LBB38_195:
	v_cmp_ne_u16_e32 vcc, 0, v5
	s_andn2_b64 s[0:1], s[0:1], exec
	s_and_b64 s[20:21], vcc, exec
	v_mov_b32_e32 v6, 0
	s_or_b64 s[0:1], s[0:1], s[20:21]
	s_or_b64 exec, exec, s[6:7]
	s_and_saveexec_b64 s[6:7], s[0:1]
	s_cbranch_execnz .LBB38_176
	s_branch .LBB38_177
.LBB38_196:
	s_mov_b64 s[16:17], -1
                                        ; implicit-def: $vgpr5
.LBB38_197:
	s_mov_b64 s[6:7], 0
.LBB38_198:
	s_and_b64 vcc, exec, s[6:7]
	s_cbranch_vccz .LBB38_202
; %bb.199:
	v_cmp_eq_u16_e32 vcc, 11, v3
	s_cbranch_vccz .LBB38_201
; %bb.200:
	global_load_ubyte v5, v[0:1], off
	s_mov_b64 s[0:1], -1
	s_mov_b64 s[16:17], 0
	s_waitcnt vmcnt(0)
	v_cmp_ne_u16_e32 vcc, 0, v5
	v_cndmask_b32_e64 v5, 0, 1.0, vcc
	v_lshrrev_b32_e32 v5, 16, v5
	s_branch .LBB38_202
.LBB38_201:
	s_mov_b64 s[16:17], -1
                                        ; implicit-def: $vgpr5
.LBB38_202:
	s_branch .LBB38_10
.LBB38_203:
	v_cmp_gt_i16_e32 vcc, 5, v3
	s_cbranch_vccnz .LBB38_208
; %bb.204:
	v_cmp_gt_i16_e32 vcc, 8, v3
	s_cbranch_vccnz .LBB38_209
; %bb.205:
	;; [unrolled: 3-line block ×3, first 2 shown]
	v_cmp_lt_i16_e32 vcc, 9, v3
	s_cbranch_vccz .LBB38_211
; %bb.207:
	global_load_dwordx2 v[6:7], v[0:1], off
	s_movk_i32 s0, 0x7fff
	s_waitcnt vmcnt(1)
	v_mov_b32_e32 v5, 0x7fc0
	s_waitcnt vmcnt(0)
	v_cvt_f32_f64_e32 v6, v[6:7]
	v_bfe_u32 v7, v6, 16, 1
	v_add3_u32 v7, v6, v7, s0
	v_lshrrev_b32_e32 v7, 16, v7
	v_cmp_o_f32_e32 vcc, v6, v6
	v_cndmask_b32_e32 v5, v5, v7, vcc
	s_mov_b64 s[0:1], 0
	s_branch .LBB38_212
.LBB38_208:
                                        ; implicit-def: $vgpr5
	s_branch .LBB38_230
.LBB38_209:
	s_mov_b64 s[0:1], -1
                                        ; implicit-def: $vgpr5
	s_branch .LBB38_218
.LBB38_210:
	s_mov_b64 s[0:1], -1
                                        ; implicit-def: $vgpr5
	s_branch .LBB38_215
.LBB38_211:
	s_mov_b64 s[0:1], -1
                                        ; implicit-def: $vgpr5
.LBB38_212:
	s_andn2_b64 vcc, exec, s[0:1]
	s_cbranch_vccnz .LBB38_214
; %bb.213:
	global_load_dword v5, v[0:1], off
	s_movk_i32 s0, 0x7fff
	v_mov_b32_e32 v6, 0x7fc0
	s_waitcnt vmcnt(0)
	v_bfe_u32 v7, v5, 16, 1
	v_add3_u32 v7, v5, v7, s0
	v_lshrrev_b32_e32 v7, 16, v7
	v_cmp_o_f32_e32 vcc, v5, v5
	v_cndmask_b32_e32 v5, v6, v7, vcc
.LBB38_214:
	s_mov_b64 s[0:1], 0
.LBB38_215:
	s_andn2_b64 vcc, exec, s[0:1]
	s_cbranch_vccnz .LBB38_217
; %bb.216:
	global_load_dword v5, v[0:1], off
	s_movk_i32 s0, 0x7fff
	v_mov_b32_e32 v7, 0x7fc0
	s_waitcnt vmcnt(0)
	v_cvt_f32_f16_e32 v6, v5
	v_cmp_o_f16_e32 vcc, v5, v5
	v_bfe_u32 v8, v6, 16, 1
	v_add3_u32 v6, v6, v8, s0
	v_lshrrev_b32_e32 v6, 16, v6
	v_cndmask_b32_e32 v5, v7, v6, vcc
.LBB38_217:
	s_mov_b64 s[0:1], 0
.LBB38_218:
	s_andn2_b64 vcc, exec, s[0:1]
	s_cbranch_vccnz .LBB38_229
; %bb.219:
	v_cmp_gt_i16_e32 vcc, 6, v3
	s_cbranch_vccnz .LBB38_222
; %bb.220:
	v_cmp_lt_i16_e32 vcc, 6, v3
	s_cbranch_vccz .LBB38_223
; %bb.221:
	global_load_dwordx2 v[6:7], v[0:1], off
	s_movk_i32 s0, 0x7fff
	s_waitcnt vmcnt(1)
	v_mov_b32_e32 v5, 0x7fc0
	s_waitcnt vmcnt(0)
	v_cvt_f32_f64_e32 v6, v[6:7]
	v_bfe_u32 v7, v6, 16, 1
	v_add3_u32 v7, v6, v7, s0
	v_lshrrev_b32_e32 v7, 16, v7
	v_cmp_o_f32_e32 vcc, v6, v6
	v_cndmask_b32_e32 v5, v5, v7, vcc
	s_mov_b64 s[0:1], 0
	s_branch .LBB38_224
.LBB38_222:
	s_mov_b64 s[0:1], -1
                                        ; implicit-def: $vgpr5
	s_branch .LBB38_227
.LBB38_223:
	s_mov_b64 s[0:1], -1
                                        ; implicit-def: $vgpr5
.LBB38_224:
	s_andn2_b64 vcc, exec, s[0:1]
	s_cbranch_vccnz .LBB38_226
; %bb.225:
	global_load_dword v5, v[0:1], off
	s_movk_i32 s0, 0x7fff
	v_mov_b32_e32 v6, 0x7fc0
	s_waitcnt vmcnt(0)
	v_bfe_u32 v7, v5, 16, 1
	v_add3_u32 v7, v5, v7, s0
	v_lshrrev_b32_e32 v7, 16, v7
	v_cmp_o_f32_e32 vcc, v5, v5
	v_cndmask_b32_e32 v5, v6, v7, vcc
.LBB38_226:
	s_mov_b64 s[0:1], 0
.LBB38_227:
	s_andn2_b64 vcc, exec, s[0:1]
	s_cbranch_vccnz .LBB38_229
; %bb.228:
	global_load_ushort v5, v[0:1], off
	s_movk_i32 s0, 0x7fff
	v_mov_b32_e32 v7, 0x7fc0
	s_waitcnt vmcnt(0)
	v_cvt_f32_f16_e32 v6, v5
	v_cmp_o_f16_e32 vcc, v5, v5
	v_bfe_u32 v8, v6, 16, 1
	v_add3_u32 v6, v6, v8, s0
	v_lshrrev_b32_e32 v6, 16, v6
	v_cndmask_b32_e32 v5, v7, v6, vcc
.LBB38_229:
	s_cbranch_execnz .LBB38_249
.LBB38_230:
	v_cmp_gt_i16_e32 vcc, 2, v3
	s_cbranch_vccnz .LBB38_234
; %bb.231:
	v_cmp_gt_i16_e32 vcc, 3, v3
	s_cbranch_vccnz .LBB38_235
; %bb.232:
	v_cmp_lt_i16_e32 vcc, 3, v3
	s_cbranch_vccz .LBB38_236
; %bb.233:
	global_load_dwordx2 v[6:7], v[0:1], off
	s_movk_i32 s0, 0x7fff
	s_waitcnt vmcnt(0)
	v_xor_b32_e32 v8, v6, v7
	v_ffbh_i32_e32 v5, v7
	v_ashrrev_i32_e32 v8, 31, v8
	v_add_u32_e32 v5, -1, v5
	v_add_u32_e32 v8, 32, v8
	v_min_u32_e32 v5, v5, v8
	v_lshlrev_b64 v[6:7], v5, v[6:7]
	v_min_u32_e32 v6, 1, v6
	v_or_b32_e32 v6, v7, v6
	v_cvt_f32_i32_e32 v6, v6
	v_sub_u32_e32 v5, 32, v5
	v_ldexp_f32 v5, v6, v5
	v_bfe_u32 v6, v5, 16, 1
	v_add3_u32 v5, v5, v6, s0
	v_lshrrev_b32_e32 v5, 16, v5
	s_mov_b64 s[0:1], 0
	s_branch .LBB38_237
.LBB38_234:
	s_mov_b64 s[0:1], -1
                                        ; implicit-def: $vgpr5
	s_branch .LBB38_243
.LBB38_235:
	s_mov_b64 s[0:1], -1
                                        ; implicit-def: $vgpr5
	s_branch .LBB38_240
.LBB38_236:
	s_mov_b64 s[0:1], -1
                                        ; implicit-def: $vgpr5
.LBB38_237:
	s_andn2_b64 vcc, exec, s[0:1]
	s_cbranch_vccnz .LBB38_239
; %bb.238:
	global_load_dword v5, v[0:1], off
	s_movk_i32 s0, 0x7fff
	s_waitcnt vmcnt(0)
	v_cvt_f32_i32_e32 v5, v5
	v_bfe_u32 v6, v5, 16, 1
	v_add3_u32 v5, v5, v6, s0
	v_lshrrev_b32_e32 v5, 16, v5
.LBB38_239:
	s_mov_b64 s[0:1], 0
.LBB38_240:
	s_andn2_b64 vcc, exec, s[0:1]
	s_cbranch_vccnz .LBB38_242
; %bb.241:
	global_load_sshort v5, v[0:1], off
	s_movk_i32 s0, 0x7fff
	s_waitcnt vmcnt(0)
	v_cvt_f32_i32_e32 v5, v5
	v_bfe_u32 v6, v5, 16, 1
	v_add3_u32 v5, v5, v6, s0
	v_lshrrev_b32_e32 v5, 16, v5
.LBB38_242:
	s_mov_b64 s[0:1], 0
.LBB38_243:
	s_andn2_b64 vcc, exec, s[0:1]
	s_cbranch_vccnz .LBB38_249
; %bb.244:
	v_cmp_lt_i16_e32 vcc, 0, v3
	s_cbranch_vccz .LBB38_246
; %bb.245:
	global_load_sbyte v5, v[0:1], off
	s_movk_i32 s0, 0x7fff
	s_waitcnt vmcnt(0)
	v_cvt_f32_i32_e32 v5, v5
	v_bfe_u32 v6, v5, 16, 1
	v_add3_u32 v5, v5, v6, s0
	v_lshrrev_b32_e32 v5, 16, v5
	s_mov_b64 s[0:1], 0
	s_branch .LBB38_247
.LBB38_246:
	s_mov_b64 s[0:1], -1
                                        ; implicit-def: $vgpr5
.LBB38_247:
	s_andn2_b64 vcc, exec, s[0:1]
	s_cbranch_vccnz .LBB38_249
; %bb.248:
	global_load_ubyte v0, v[0:1], off
	s_movk_i32 s0, 0x7fff
	s_waitcnt vmcnt(0)
	v_cvt_f32_ubyte0_e32 v0, v0
	v_bfe_u32 v1, v0, 16, 1
	v_add3_u32 v0, v0, v1, s0
	v_lshrrev_b32_e32 v5, 16, v0
.LBB38_249:
	s_branch .LBB38_11
.LBB38_250:
	s_mov_b64 s[0:1], 0
                                        ; implicit-def: $vgpr2
	s_mov_b64 s[20:21], 0
.LBB38_251:
	s_and_b64 s[6:7], s[0:1], exec
	s_and_b64 s[16:17], s[16:17], exec
	s_orn2_b64 s[20:21], s[20:21], exec
.LBB38_252:
	s_or_b64 exec, exec, s[18:19]
	s_mov_b64 s[24:25], 0
	s_mov_b64 s[0:1], 0
                                        ; implicit-def: $vgpr0_vgpr1
                                        ; implicit-def: $vgpr6
	s_and_saveexec_b64 s[18:19], s[20:21]
	s_cbranch_execz .LBB38_261
; %bb.253:
	v_cmp_gt_i32_e32 vcc, s33, v2
	s_mov_b64 s[0:1], -1
	s_mov_b64 s[20:21], s[16:17]
	s_mov_b64 s[22:23], s[6:7]
	s_and_saveexec_b64 s[24:25], vcc
	s_cbranch_execz .LBB38_514
; %bb.254:
	v_mul_lo_u32 v0, v2, s13
	v_ashrrev_i32_e32 v1, 31, v0
	s_waitcnt vmcnt(0)
	v_mov_b32_e32 v5, s11
	v_add_co_u32_e32 v0, vcc, s10, v0
	v_addc_co_u32_e32 v1, vcc, v5, v1, vcc
	v_cmp_gt_i16_e32 vcc, 11, v3
	s_cbranch_vccnz .LBB38_264
; %bb.255:
	v_cmp_lt_i16_e32 vcc, 25, v3
	s_cbranch_vccz .LBB38_273
; %bb.256:
	v_cmp_lt_i16_e32 vcc, 28, v3
	s_cbranch_vccz .LBB38_275
	;; [unrolled: 3-line block ×4, first 2 shown]
; %bb.259:
	v_cmp_eq_u16_e32 vcc, 46, v3
	s_mov_b64 s[22:23], 0
	s_cbranch_vccz .LBB38_285
; %bb.260:
	global_load_dword v5, v[0:1], off
	s_mov_b64 s[20:21], 0
	s_branch .LBB38_286
.LBB38_261:
	s_or_b64 exec, exec, s[18:19]
	s_mov_b64 s[18:19], 0
	s_and_saveexec_b64 s[20:21], s[16:17]
	s_cbranch_execnz .LBB38_861
.LBB38_262:
	s_or_b64 exec, exec, s[20:21]
	s_and_saveexec_b64 s[16:17], s[22:23]
	s_xor_b64 s[16:17], exec, s[16:17]
	s_cbranch_execz .LBB38_862
.LBB38_263:
	global_load_ubyte v5, v[0:1], off
	s_or_b64 s[0:1], s[0:1], exec
	s_waitcnt vmcnt(0)
	v_cmp_ne_u16_e32 vcc, 0, v5
	v_cndmask_b32_e64 v5, 0, 1.0, vcc
	v_lshrrev_b32_e32 v6, 16, v5
	s_or_b64 exec, exec, s[16:17]
	s_and_saveexec_b64 s[16:17], s[24:25]
	s_cbranch_execz .LBB38_908
	s_branch .LBB38_863
.LBB38_264:
	s_mov_b64 s[0:1], 0
                                        ; implicit-def: $vgpr5
	s_mov_b64 s[20:21], s[16:17]
	s_cbranch_execnz .LBB38_463
.LBB38_265:
	s_andn2_b64 vcc, exec, s[0:1]
	s_cbranch_vccnz .LBB38_511
.LBB38_266:
	v_mul_lo_u32 v0, v2, s12
	v_ashrrev_i32_e32 v1, 31, v0
	v_mov_b32_e32 v7, s9
	v_add_co_u32_e32 v0, vcc, s8, v0
	v_addc_co_u32_e32 v1, vcc, v7, v1, vcc
	v_mov_b32_e32 v7, 11
	s_waitcnt vmcnt(0)
	v_and_b32_e32 v6, 0x7fff, v5
	v_cmp_lt_i16_sdwa s[0:1], s15, v7 src0_sel:BYTE_0 src1_sel:DWORD
	v_or_b32_e32 v5, v6, v4
	s_and_b64 vcc, exec, s[0:1]
	s_cbranch_vccnz .LBB38_274
; %bb.267:
	v_mov_b32_e32 v7, 25
	v_cmp_gt_i16_sdwa s[0:1], s15, v7 src0_sel:BYTE_0 src1_sel:DWORD
	s_and_b64 vcc, exec, s[0:1]
	s_cbranch_vccz .LBB38_276
; %bb.268:
	v_mov_b32_e32 v7, 28
	v_cmp_gt_i16_sdwa s[0:1], s15, v7 src0_sel:BYTE_0 src1_sel:DWORD
	s_and_b64 vcc, exec, s[0:1]
	s_cbranch_vccz .LBB38_278
; %bb.269:
	v_mov_b32_e32 v7, 43
	v_cmp_gt_i16_sdwa s[0:1], s15, v7 src0_sel:BYTE_0 src1_sel:DWORD
	s_and_b64 vcc, exec, s[0:1]
	s_cbranch_vccz .LBB38_282
; %bb.270:
	v_mov_b32_e32 v7, 45
	v_cmp_gt_i16_sdwa s[0:1], s15, v7 src0_sel:BYTE_0 src1_sel:DWORD
	s_and_b64 vcc, exec, s[0:1]
	s_cbranch_vccz .LBB38_289
; %bb.271:
	v_mov_b32_e32 v7, 46
	v_cmp_eq_u16_sdwa s[22:23], s15, v7 src0_sel:BYTE_0 src1_sel:DWORD
	s_mov_b64 s[26:27], 0
	s_mov_b64 s[0:1], -1
	s_and_b64 vcc, exec, s[22:23]
	s_mov_b64 s[22:23], 0
	s_cbranch_vccz .LBB38_290
; %bb.272:
	v_and_b32_e32 v7, 0xffff, v5
	global_store_dword v[0:1], v7, off
	s_mov_b64 s[22:23], -1
	s_mov_b64 s[0:1], 0
	s_branch .LBB38_290
.LBB38_273:
	s_mov_b64 s[22:23], -1
	s_mov_b64 s[0:1], 0
	s_mov_b64 s[20:21], s[16:17]
                                        ; implicit-def: $vgpr5
	s_branch .LBB38_427
.LBB38_274:
	s_mov_b64 s[26:27], -1
	s_mov_b64 s[22:23], 0
	s_mov_b64 s[0:1], s[6:7]
	s_branch .LBB38_359
.LBB38_275:
	s_mov_b64 s[22:23], -1
	s_mov_b64 s[0:1], 0
	s_mov_b64 s[20:21], s[16:17]
                                        ; implicit-def: $vgpr5
	s_branch .LBB38_408
.LBB38_276:
	s_mov_b64 s[26:27], -1
	s_mov_b64 s[22:23], 0
	s_mov_b64 s[0:1], s[6:7]
	s_branch .LBB38_317
.LBB38_277:
	s_mov_b64 s[22:23], -1
	s_mov_b64 s[0:1], 0
	s_mov_b64 s[20:21], s[16:17]
                                        ; implicit-def: $vgpr5
	s_branch .LBB38_403
.LBB38_278:
	s_mov_b64 s[26:27], -1
	s_mov_b64 s[22:23], 0
	s_mov_b64 s[0:1], s[6:7]
	s_branch .LBB38_300
.LBB38_279:
	s_or_saveexec_b64 s[24:25], s[24:25]
                                        ; implicit-def: $sgpr26
	s_xor_b64 exec, exec, s[24:25]
	s_cbranch_execz .LBB38_55
.LBB38_280:
	s_mov_b32 s26, 0x46000000
	v_add_f32_e64 v8, |v9|, s26
	v_and_b32_e32 v8, 0xff, v8
	v_cmp_ne_u32_e32 vcc, 0, v8
	s_andn2_b64 s[20:21], s[20:21], exec
	s_and_b64 s[28:29], vcc, exec
	s_mov_b32 s26, 0
	s_or_b64 s[20:21], s[20:21], s[28:29]
	s_or_b64 exec, exec, s[24:25]
	v_mov_b32_e32 v10, s26
	s_and_saveexec_b64 s[24:25], s[20:21]
	s_cbranch_execnz .LBB38_56
	s_branch .LBB38_57
.LBB38_281:
	s_mov_b64 s[22:23], -1
	s_mov_b64 s[0:1], 0
	s_mov_b64 s[20:21], s[16:17]
                                        ; implicit-def: $vgpr5
	s_branch .LBB38_286
.LBB38_282:
	s_mov_b64 s[26:27], -1
	s_mov_b64 s[22:23], 0
	s_mov_b64 s[0:1], s[6:7]
	s_branch .LBB38_296
.LBB38_283:
	s_or_saveexec_b64 s[24:25], s[24:25]
                                        ; implicit-def: $sgpr26
	s_xor_b64 exec, exec, s[24:25]
	s_cbranch_execz .LBB38_68
.LBB38_284:
	s_mov_b32 s26, 0x42800000
	v_add_f32_e64 v8, |v9|, s26
	v_and_b32_e32 v8, 0xff, v8
	v_cmp_ne_u32_e32 vcc, 0, v8
	s_andn2_b64 s[20:21], s[20:21], exec
	s_and_b64 s[28:29], vcc, exec
	s_mov_b32 s26, 0
	s_or_b64 s[20:21], s[20:21], s[28:29]
	s_or_b64 exec, exec, s[24:25]
	v_mov_b32_e32 v10, s26
	s_and_saveexec_b64 s[24:25], s[20:21]
	s_cbranch_execnz .LBB38_69
	s_branch .LBB38_70
.LBB38_285:
	s_mov_b64 s[20:21], -1
                                        ; implicit-def: $vgpr5
	s_mov_b64 s[0:1], 0
.LBB38_286:
	s_and_b64 vcc, exec, s[22:23]
	s_cbranch_vccz .LBB38_402
; %bb.287:
	v_cmp_eq_u16_e32 vcc, 44, v3
	s_cbranch_vccz .LBB38_401
; %bb.288:
	global_load_ubyte v5, v[0:1], off
	s_movk_i32 s20, 0xff
	v_mov_b32_e32 v6, 0x7f800001
	v_mov_b32_e32 v7, 0x400000
	;; [unrolled: 1-line block ×3, first 2 shown]
	s_mov_b64 s[0:1], -1
	s_waitcnt vmcnt(0)
	v_lshlrev_b32_e32 v9, 23, v5
	v_cmp_ne_u32_e32 vcc, s20, v5
	v_cndmask_b32_e32 v6, v6, v9, vcc
	v_cmp_ne_u32_e32 vcc, 0, v5
	v_cndmask_b32_e32 v5, v7, v6, vcc
	v_add_u32_e32 v6, 0x7fff, v5
	v_lshrrev_b32_e32 v6, 16, v6
	v_cmp_o_f32_e32 vcc, v5, v5
	v_cndmask_b32_e32 v5, v8, v6, vcc
	s_mov_b64 s[20:21], 0
	s_branch .LBB38_402
.LBB38_289:
	s_mov_b64 s[26:27], -1
	s_mov_b64 s[22:23], 0
	s_mov_b64 s[0:1], s[6:7]
.LBB38_290:
	s_and_b64 vcc, exec, s[26:27]
	s_cbranch_vccz .LBB38_295
; %bb.291:
	v_mov_b32_e32 v7, 44
	v_cmp_eq_u16_sdwa s[26:27], s15, v7 src0_sel:BYTE_0 src1_sel:DWORD
	s_mov_b64 s[0:1], -1
	s_and_b64 vcc, exec, s[26:27]
	s_cbranch_vccz .LBB38_295
; %bb.292:
	v_and_b32_e32 v8, 0xffff, v5
	v_bfe_u32 v7, v8, 7, 8
	s_movk_i32 s0, 0xff
	v_cmp_ne_u32_e32 vcc, s0, v7
	v_mov_b32_e32 v9, 0xff
	s_and_saveexec_b64 s[22:23], vcc
; %bb.293:
	v_lshlrev_b32_e32 v10, 16, v8
	s_mov_b32 s0, 0x3f0000
	v_lshrrev_b32_e32 v9, 7, v8
	v_and_b32_e32 v8, 64, v8
	v_and_or_b32 v7, v10, s0, v7
	v_cmp_ne_u32_e32 vcc, 0, v8
	v_cmp_ne_u32_e64 s[0:1], 0, v7
	s_and_b64 s[0:1], vcc, s[0:1]
	v_cndmask_b32_e64 v7, 0, 1, s[0:1]
	v_add_u32_e32 v9, v9, v7
; %bb.294:
	s_or_b64 exec, exec, s[22:23]
	s_mov_b64 s[22:23], -1
	s_mov_b64 s[0:1], 0
	global_store_byte v[0:1], v9, off
.LBB38_295:
	s_mov_b64 s[26:27], 0
.LBB38_296:
	s_and_b64 vcc, exec, s[26:27]
	s_cbranch_vccz .LBB38_299
; %bb.297:
	v_mov_b32_e32 v7, 29
	v_cmp_eq_u16_sdwa s[26:27], s15, v7 src0_sel:BYTE_0 src1_sel:DWORD
	s_mov_b64 s[0:1], -1
	s_and_b64 vcc, exec, s[26:27]
	s_cbranch_vccz .LBB38_299
; %bb.298:
	v_lshlrev_b32_e32 v7, 16, v5
	v_trunc_f32_e32 v7, v7
	v_mul_f32_e32 v8, 0x2f800000, v7
	v_floor_f32_e32 v8, v8
	v_fmac_f32_e32 v7, 0xcf800000, v8
	v_cvt_u32_f32_e32 v9, v8
	v_cvt_u32_f32_e32 v8, v7
	s_mov_b64 s[22:23], -1
	s_mov_b64 s[0:1], 0
	s_mov_b64 s[26:27], 0
	global_store_dwordx2 v[0:1], v[8:9], off
	s_branch .LBB38_300
.LBB38_299:
	s_mov_b64 s[26:27], 0
.LBB38_300:
	s_and_b64 vcc, exec, s[26:27]
	s_cbranch_vccz .LBB38_316
; %bb.301:
	v_mov_b32_e32 v7, 27
	v_cmp_lt_i16_sdwa s[26:27], s15, v7 src0_sel:BYTE_0 src1_sel:DWORD
	s_mov_b64 s[22:23], -1
	s_and_b64 vcc, exec, s[26:27]
	s_cbranch_vccnz .LBB38_307
; %bb.302:
	v_cmp_gt_i16_sdwa s[26:27], s15, v7 src0_sel:BYTE_0 src1_sel:DWORD
	s_and_b64 vcc, exec, s[26:27]
	s_cbranch_vccz .LBB38_304
; %bb.303:
	v_lshlrev_b32_e32 v7, 16, v5
	v_cvt_u32_f32_e32 v7, v7
	s_mov_b64 s[22:23], 0
	global_store_dword v[0:1], v7, off
.LBB38_304:
	s_andn2_b64 vcc, exec, s[22:23]
	s_cbranch_vccnz .LBB38_306
; %bb.305:
	v_lshlrev_b32_e32 v7, 16, v5
	v_cvt_u32_f32_e32 v7, v7
	global_store_short v[0:1], v7, off
.LBB38_306:
	s_mov_b64 s[22:23], 0
.LBB38_307:
	s_andn2_b64 vcc, exec, s[22:23]
	s_cbranch_vccnz .LBB38_315
; %bb.308:
	v_lshlrev_b32_e32 v9, 16, v5
	v_and_b32_e32 v8, 0x7fffffff, v9
	s_mov_b32 s22, 0x43800000
	v_cmp_gt_u32_e32 vcc, s22, v8
	v_mov_b32_e32 v10, 0x80
	s_and_saveexec_b64 s[22:23], vcc
	s_cbranch_execz .LBB38_314
; %bb.309:
	s_mov_b32 s26, 0x3bffffff
	v_and_b32_e32 v7, 0xffff, v5
	v_cmp_lt_u32_e32 vcc, s26, v8
	s_mov_b64 s[26:27], 0
                                        ; implicit-def: $vgpr8
	s_and_saveexec_b64 s[28:29], vcc
	s_xor_b64 s[28:29], exec, s[28:29]
	s_cbranch_execz .LBB38_527
; %bb.310:
	v_bfe_u32 v8, v7, 4, 1
	s_mov_b32 s30, 0x487ffff
	v_add3_u32 v8, v9, v8, s30
	s_mov_b64 s[26:27], exec
	v_lshrrev_b32_e32 v8, 20, v8
                                        ; implicit-def: $vgpr9
	s_or_saveexec_b64 s[28:29], s[28:29]
                                        ; implicit-def: $sgpr30
	s_xor_b64 exec, exec, s[28:29]
	s_cbranch_execnz .LBB38_528
.LBB38_311:
	s_or_b64 exec, exec, s[28:29]
	v_mov_b32_e32 v10, s30
	s_and_saveexec_b64 s[28:29], s[26:27]
.LBB38_312:
	v_lshrrev_b32_e32 v7, 8, v7
	s_movk_i32 s26, 0x80
	v_and_or_b32 v10, v7, s26, v8
.LBB38_313:
	s_or_b64 exec, exec, s[28:29]
.LBB38_314:
	s_or_b64 exec, exec, s[22:23]
	global_store_byte v[0:1], v10, off
.LBB38_315:
	s_mov_b64 s[22:23], -1
.LBB38_316:
	s_mov_b64 s[26:27], 0
.LBB38_317:
	s_and_b64 vcc, exec, s[26:27]
	s_cbranch_vccz .LBB38_358
; %bb.318:
	v_mov_b32_e32 v7, 22
	v_cmp_gt_i16_sdwa s[28:29], s15, v7 src0_sel:BYTE_0 src1_sel:DWORD
	s_mov_b64 s[26:27], -1
	s_and_b64 vcc, exec, s[28:29]
	s_cbranch_vccz .LBB38_350
; %bb.319:
	v_mov_b32_e32 v7, 24
	v_cmp_lt_i16_sdwa s[26:27], s15, v7 src0_sel:BYTE_0 src1_sel:DWORD
	s_mov_b64 s[22:23], -1
	s_and_b64 vcc, exec, s[26:27]
	s_cbranch_vccnz .LBB38_339
; %bb.320:
	v_cmp_gt_i16_sdwa s[26:27], s15, v7 src0_sel:BYTE_0 src1_sel:DWORD
	s_and_b64 vcc, exec, s[26:27]
	s_cbranch_vccz .LBB38_328
; %bb.321:
	v_lshlrev_b32_e32 v9, 16, v5
	v_and_b32_e32 v8, 0x7fffffff, v9
	s_mov_b32 s22, 0x47800000
	v_cmp_gt_u32_e32 vcc, s22, v8
	v_mov_b32_e32 v10, 0x80
	s_and_saveexec_b64 s[22:23], vcc
	s_cbranch_execz .LBB38_327
; %bb.322:
	s_mov_b32 s26, 0x37ffffff
	v_and_b32_e32 v7, 0xffff, v5
	v_cmp_lt_u32_e32 vcc, s26, v8
	s_mov_b64 s[26:27], 0
                                        ; implicit-def: $vgpr8
	s_and_saveexec_b64 s[28:29], vcc
	s_xor_b64 s[28:29], exec, s[28:29]
	s_cbranch_execz .LBB38_530
; %bb.323:
	v_bfe_u32 v8, v7, 5, 1
	s_mov_b32 s30, 0x88fffff
	v_add3_u32 v8, v9, v8, s30
	s_mov_b64 s[26:27], exec
	v_lshrrev_b32_e32 v8, 21, v8
                                        ; implicit-def: $vgpr9
	s_or_saveexec_b64 s[28:29], s[28:29]
                                        ; implicit-def: $sgpr30
	s_xor_b64 exec, exec, s[28:29]
	s_cbranch_execnz .LBB38_531
.LBB38_324:
	s_or_b64 exec, exec, s[28:29]
	v_mov_b32_e32 v10, s30
	s_and_saveexec_b64 s[28:29], s[26:27]
.LBB38_325:
	v_lshrrev_b32_e32 v7, 8, v7
	s_movk_i32 s26, 0x80
	v_and_or_b32 v10, v7, s26, v8
.LBB38_326:
	s_or_b64 exec, exec, s[28:29]
.LBB38_327:
	s_or_b64 exec, exec, s[22:23]
	s_mov_b64 s[22:23], 0
	global_store_byte v[0:1], v10, off
.LBB38_328:
	s_and_b64 vcc, exec, s[22:23]
	s_cbranch_vccz .LBB38_338
; %bb.329:
	v_lshlrev_b32_e32 v9, 16, v5
	v_and_b32_e32 v10, 0x7fffffff, v9
	s_mov_b32 s22, 0x43f00000
	v_and_b32_e32 v7, 0xffff, v5
	v_cmp_gt_u32_e32 vcc, s22, v10
                                        ; implicit-def: $vgpr8
	s_and_saveexec_b64 s[22:23], vcc
	s_xor_b64 s[22:23], exec, s[22:23]
	s_cbranch_execz .LBB38_335
; %bb.330:
	s_mov_b32 s26, 0x3c7fffff
	v_cmp_lt_u32_e32 vcc, s26, v10
                                        ; implicit-def: $vgpr8
	s_and_saveexec_b64 s[26:27], vcc
	s_xor_b64 s[26:27], exec, s[26:27]
; %bb.331:
	v_bfe_u32 v8, v7, 4, 1
	s_mov_b32 s28, 0x407ffff
	v_add3_u32 v8, v9, v8, s28
	v_lshrrev_b32_e32 v9, 20, v8
	v_and_b32_e32 v8, 0xff00000, v8
	s_mov_b32 s28, 0x7f00000
	v_mov_b32_e32 v10, 0x7e
	v_cmp_ne_u32_e32 vcc, s28, v8
	v_cndmask_b32_e32 v8, v10, v9, vcc
                                        ; implicit-def: $vgpr9
; %bb.332:
	s_andn2_saveexec_b64 s[26:27], s[26:27]
; %bb.333:
	s_mov_b32 s28, 0x46800000
	v_add_f32_e64 v8, |v9|, s28
; %bb.334:
	s_or_b64 exec, exec, s[26:27]
                                        ; implicit-def: $vgpr10
.LBB38_335:
	s_andn2_saveexec_b64 s[22:23], s[22:23]
; %bb.336:
	s_mov_b32 s26, 0x7f800000
	v_mov_b32_e32 v8, 0x7e
	v_mov_b32_e32 v9, 0x7f
	v_cmp_lt_u32_e32 vcc, s26, v10
	v_cndmask_b32_e32 v8, v8, v9, vcc
; %bb.337:
	s_or_b64 exec, exec, s[22:23]
	v_lshrrev_b32_e32 v7, 8, v7
	s_movk_i32 s22, 0x80
	v_and_or_b32 v7, v7, s22, v8
	global_store_byte v[0:1], v7, off
.LBB38_338:
	s_mov_b64 s[22:23], 0
.LBB38_339:
	s_andn2_b64 vcc, exec, s[22:23]
	s_cbranch_vccnz .LBB38_349
; %bb.340:
	v_lshlrev_b32_e32 v9, 16, v5
	v_and_b32_e32 v10, 0x7fffffff, v9
	s_mov_b32 s22, 0x47800000
	v_and_b32_e32 v7, 0xffff, v5
	v_cmp_gt_u32_e32 vcc, s22, v10
                                        ; implicit-def: $vgpr8
	s_and_saveexec_b64 s[22:23], vcc
	s_xor_b64 s[22:23], exec, s[22:23]
	s_cbranch_execz .LBB38_346
; %bb.341:
	s_mov_b32 s26, 0x387fffff
	v_cmp_lt_u32_e32 vcc, s26, v10
                                        ; implicit-def: $vgpr8
	s_and_saveexec_b64 s[26:27], vcc
	s_xor_b64 s[26:27], exec, s[26:27]
; %bb.342:
	v_bfe_u32 v8, v7, 5, 1
	s_mov_b32 s28, 0x80fffff
	v_add3_u32 v8, v9, v8, s28
	v_lshrrev_b32_e32 v8, 21, v8
                                        ; implicit-def: $vgpr9
; %bb.343:
	s_andn2_saveexec_b64 s[26:27], s[26:27]
; %bb.344:
	s_mov_b32 s28, 0x43000000
	v_add_f32_e64 v8, |v9|, s28
; %bb.345:
	s_or_b64 exec, exec, s[26:27]
                                        ; implicit-def: $vgpr10
.LBB38_346:
	s_andn2_saveexec_b64 s[22:23], s[22:23]
; %bb.347:
	s_mov_b32 s26, 0x7f800000
	v_mov_b32_e32 v8, 0x7c
	v_mov_b32_e32 v9, 0x7f
	v_cmp_lt_u32_e32 vcc, s26, v10
	v_cndmask_b32_e32 v8, v8, v9, vcc
; %bb.348:
	s_or_b64 exec, exec, s[22:23]
	v_lshrrev_b32_e32 v7, 8, v7
	s_movk_i32 s22, 0x80
	v_and_or_b32 v7, v7, s22, v8
	global_store_byte v[0:1], v7, off
.LBB38_349:
	s_mov_b64 s[26:27], 0
	s_mov_b64 s[22:23], -1
.LBB38_350:
	s_andn2_b64 vcc, exec, s[26:27]
	s_cbranch_vccnz .LBB38_358
; %bb.351:
	v_mov_b32_e32 v7, 14
	v_cmp_gt_i16_sdwa s[28:29], s15, v7 src0_sel:BYTE_0 src1_sel:DWORD
	s_mov_b64 s[26:27], -1
	s_and_b64 vcc, exec, s[28:29]
	s_cbranch_vccz .LBB38_355
; %bb.352:
	v_mov_b32_e32 v7, 15
	v_cmp_eq_u16_sdwa s[26:27], s15, v7 src0_sel:BYTE_0 src1_sel:DWORD
	s_mov_b64 s[0:1], -1
	s_and_b64 vcc, exec, s[26:27]
	s_cbranch_vccz .LBB38_354
; %bb.353:
	global_store_short v[0:1], v5, off
	s_mov_b64 s[22:23], -1
	s_mov_b64 s[0:1], 0
.LBB38_354:
	s_mov_b64 s[26:27], 0
.LBB38_355:
	s_and_b64 vcc, exec, s[26:27]
	s_cbranch_vccz .LBB38_358
; %bb.356:
	v_mov_b32_e32 v7, 11
	v_cmp_eq_u16_sdwa s[26:27], s15, v7 src0_sel:BYTE_0 src1_sel:DWORD
	s_mov_b64 s[0:1], -1
	s_and_b64 vcc, exec, s[26:27]
	s_cbranch_vccz .LBB38_358
; %bb.357:
	v_cmp_ne_u16_e32 vcc, 0, v6
	v_cndmask_b32_e64 v6, 0, 1, vcc
	s_mov_b64 s[22:23], -1
	s_mov_b64 s[0:1], 0
	global_store_byte v[0:1], v6, off
.LBB38_358:
	s_mov_b64 s[26:27], 0
.LBB38_359:
	s_and_b64 vcc, exec, s[26:27]
	s_cbranch_vccz .LBB38_398
; %bb.360:
	v_mov_b32_e32 v6, 5
	v_cmp_lt_i16_sdwa s[26:27], s15, v6 src0_sel:BYTE_0 src1_sel:DWORD
	s_mov_b64 s[22:23], -1
	s_and_b64 vcc, exec, s[26:27]
	s_cbranch_vccnz .LBB38_381
; %bb.361:
	v_mov_b32_e32 v6, 8
	v_cmp_lt_i16_sdwa s[26:27], s15, v6 src0_sel:BYTE_0 src1_sel:DWORD
	s_and_b64 vcc, exec, s[26:27]
	s_cbranch_vccnz .LBB38_371
; %bb.362:
	v_mov_b32_e32 v6, 9
	v_cmp_lt_i16_sdwa s[26:27], s15, v6 src0_sel:BYTE_0 src1_sel:DWORD
	s_and_b64 vcc, exec, s[26:27]
	s_cbranch_vccnz .LBB38_368
; %bb.363:
	v_cmp_gt_i16_sdwa s[26:27], s15, v6 src0_sel:BYTE_0 src1_sel:DWORD
	s_and_b64 vcc, exec, s[26:27]
	s_cbranch_vccz .LBB38_365
; %bb.364:
	v_lshlrev_b32_e32 v6, 16, v5
	v_mov_b32_e32 v8, 0
	v_cvt_f64_f32_e32 v[6:7], v6
	v_mov_b32_e32 v9, v8
	s_mov_b64 s[22:23], 0
	global_store_dwordx4 v[0:1], v[6:9], off
.LBB38_365:
	s_andn2_b64 vcc, exec, s[22:23]
	s_cbranch_vccnz .LBB38_367
; %bb.366:
	v_lshlrev_b32_e32 v6, 16, v5
	v_mov_b32_e32 v7, 0
	global_store_dwordx2 v[0:1], v[6:7], off
.LBB38_367:
	s_mov_b64 s[22:23], 0
.LBB38_368:
	s_andn2_b64 vcc, exec, s[22:23]
	s_cbranch_vccnz .LBB38_370
; %bb.369:
	v_lshlrev_b32_e32 v6, 16, v5
	v_cvt_f16_f32_e32 v6, v6
	global_store_dword v[0:1], v6, off
.LBB38_370:
	s_mov_b64 s[22:23], 0
.LBB38_371:
	s_andn2_b64 vcc, exec, s[22:23]
	s_cbranch_vccnz .LBB38_380
; %bb.372:
	v_mov_b32_e32 v6, 6
	v_cmp_lt_i16_sdwa s[26:27], s15, v6 src0_sel:BYTE_0 src1_sel:DWORD
	s_mov_b64 s[22:23], -1
	s_and_b64 vcc, exec, s[26:27]
	s_cbranch_vccnz .LBB38_378
; %bb.373:
	v_cmp_gt_i16_sdwa s[26:27], s15, v6 src0_sel:BYTE_0 src1_sel:DWORD
	s_and_b64 vcc, exec, s[26:27]
	s_cbranch_vccz .LBB38_375
; %bb.374:
	v_lshlrev_b32_e32 v6, 16, v5
	v_cvt_f64_f32_e32 v[6:7], v6
	s_mov_b64 s[22:23], 0
	global_store_dwordx2 v[0:1], v[6:7], off
.LBB38_375:
	s_andn2_b64 vcc, exec, s[22:23]
	s_cbranch_vccnz .LBB38_377
; %bb.376:
	v_lshlrev_b32_e32 v6, 16, v5
	global_store_dword v[0:1], v6, off
.LBB38_377:
	s_mov_b64 s[22:23], 0
.LBB38_378:
	s_andn2_b64 vcc, exec, s[22:23]
	s_cbranch_vccnz .LBB38_380
; %bb.379:
	v_lshlrev_b32_e32 v6, 16, v5
	v_cvt_f16_f32_e32 v6, v6
	global_store_short v[0:1], v6, off
.LBB38_380:
	s_mov_b64 s[22:23], 0
.LBB38_381:
	s_andn2_b64 vcc, exec, s[22:23]
	s_cbranch_vccnz .LBB38_397
; %bb.382:
	v_mov_b32_e32 v6, 2
	v_cmp_lt_i16_sdwa s[26:27], s15, v6 src0_sel:BYTE_0 src1_sel:DWORD
	s_mov_b64 s[22:23], -1
	s_and_b64 vcc, exec, s[26:27]
	s_cbranch_vccnz .LBB38_392
; %bb.383:
	v_mov_b32_e32 v6, 3
	v_cmp_lt_i16_sdwa s[26:27], s15, v6 src0_sel:BYTE_0 src1_sel:DWORD
	s_and_b64 vcc, exec, s[26:27]
	s_cbranch_vccnz .LBB38_389
; %bb.384:
	v_cmp_gt_i16_sdwa s[26:27], s15, v6 src0_sel:BYTE_0 src1_sel:DWORD
	s_and_b64 vcc, exec, s[26:27]
	s_cbranch_vccz .LBB38_386
; %bb.385:
	v_lshlrev_b32_e32 v6, 16, v5
	v_trunc_f32_e32 v6, v6
	s_mov_b32 s22, 0x2f800000
	v_mul_f32_e64 v7, |v6|, s22
	v_floor_f32_e32 v7, v7
	s_mov_b32 s22, 0xcf800000
	v_cvt_u32_f32_e32 v8, v7
	v_fma_f32 v7, v7, s22, |v6|
	v_cvt_u32_f32_e32 v7, v7
	v_ashrrev_i32_e32 v9, 31, v6
	v_xor_b32_e32 v8, v8, v9
	s_mov_b64 s[22:23], 0
	v_xor_b32_e32 v6, v7, v9
	v_sub_co_u32_e32 v6, vcc, v6, v9
	v_subb_co_u32_e32 v7, vcc, v8, v9, vcc
	global_store_dwordx2 v[0:1], v[6:7], off
.LBB38_386:
	s_andn2_b64 vcc, exec, s[22:23]
	s_cbranch_vccnz .LBB38_388
; %bb.387:
	v_lshlrev_b32_e32 v6, 16, v5
	v_cvt_i32_f32_e32 v6, v6
	global_store_dword v[0:1], v6, off
.LBB38_388:
	s_mov_b64 s[22:23], 0
.LBB38_389:
	s_andn2_b64 vcc, exec, s[22:23]
	s_cbranch_vccnz .LBB38_391
; %bb.390:
	v_lshlrev_b32_e32 v6, 16, v5
	v_cvt_i32_f32_e32 v6, v6
	global_store_short v[0:1], v6, off
.LBB38_391:
	s_mov_b64 s[22:23], 0
.LBB38_392:
	s_andn2_b64 vcc, exec, s[22:23]
	s_cbranch_vccnz .LBB38_397
; %bb.393:
	v_mov_b32_e32 v6, 0
	v_cmp_gt_i16_sdwa s[26:27], s15, v6 src0_sel:BYTE_0 src1_sel:DWORD
	s_mov_b64 s[22:23], -1
	s_and_b64 vcc, exec, s[26:27]
	v_lshlrev_b32_e32 v5, 16, v5
	s_cbranch_vccz .LBB38_395
; %bb.394:
	v_cvt_i32_f32_e32 v6, v5
	s_mov_b64 s[22:23], 0
	global_store_byte v[0:1], v6, off
.LBB38_395:
	s_andn2_b64 vcc, exec, s[22:23]
	s_cbranch_vccnz .LBB38_397
; %bb.396:
	v_trunc_f32_e32 v5, v5
	s_mov_b32 s22, 0x2f800000
	v_mul_f32_e64 v6, |v5|, s22
	v_floor_f32_e32 v6, v6
	s_mov_b32 s22, 0xcf800000
	v_fma_f32 v6, v6, s22, |v5|
	v_cvt_u32_f32_e32 v6, v6
	v_ashrrev_i32_e32 v5, 31, v5
	v_xor_b32_e32 v6, v6, v5
	v_sub_u32_e32 v5, v6, v5
	global_store_byte v[0:1], v5, off
.LBB38_397:
	s_mov_b64 s[22:23], -1
.LBB38_398:
	s_andn2_b64 vcc, exec, s[22:23]
	s_cbranch_vccnz .LBB38_400
; %bb.399:
	v_add_u32_e32 v2, 0x80, v2
	s_mov_b64 s[26:27], -1
	s_branch .LBB38_513
.LBB38_400:
	s_mov_b64 s[26:27], 0
	s_branch .LBB38_512
.LBB38_401:
	s_mov_b64 s[20:21], -1
                                        ; implicit-def: $vgpr5
.LBB38_402:
	s_mov_b64 s[22:23], 0
.LBB38_403:
	s_and_b64 vcc, exec, s[22:23]
	s_cbranch_vccz .LBB38_407
; %bb.404:
	v_cmp_eq_u16_e32 vcc, 29, v3
	s_cbranch_vccz .LBB38_406
; %bb.405:
	global_load_dwordx2 v[6:7], v[0:1], off
	s_movk_i32 s20, 0x7fff
	s_mov_b64 s[0:1], -1
	s_mov_b64 s[22:23], 0
	s_waitcnt vmcnt(0)
	v_ffbh_u32_e32 v5, v7
	v_min_u32_e32 v5, 32, v5
	v_lshlrev_b64 v[6:7], v5, v[6:7]
	v_min_u32_e32 v6, 1, v6
	v_or_b32_e32 v6, v7, v6
	v_cvt_f32_u32_e32 v6, v6
	v_sub_u32_e32 v5, 32, v5
	v_ldexp_f32 v5, v6, v5
	v_bfe_u32 v6, v5, 16, 1
	v_add3_u32 v5, v5, v6, s20
	v_lshrrev_b32_e32 v5, 16, v5
	s_mov_b64 s[20:21], 0
	s_branch .LBB38_408
.LBB38_406:
	s_mov_b64 s[20:21], -1
                                        ; implicit-def: $vgpr5
.LBB38_407:
	s_mov_b64 s[22:23], 0
.LBB38_408:
	s_and_b64 vcc, exec, s[22:23]
	s_cbranch_vccz .LBB38_426
; %bb.409:
	v_cmp_gt_i16_e32 vcc, 27, v3
	s_cbranch_vccnz .LBB38_412
; %bb.410:
	v_cmp_lt_i16_e32 vcc, 27, v3
	s_cbranch_vccz .LBB38_413
; %bb.411:
	global_load_dword v5, v[0:1], off
	s_movk_i32 s0, 0x7fff
	s_waitcnt vmcnt(0)
	v_cvt_f32_u32_e32 v5, v5
	v_bfe_u32 v6, v5, 16, 1
	v_add3_u32 v5, v5, v6, s0
	v_lshrrev_b32_e32 v5, 16, v5
	s_mov_b64 s[0:1], 0
	s_branch .LBB38_414
.LBB38_412:
	s_mov_b64 s[0:1], -1
                                        ; implicit-def: $vgpr5
	s_branch .LBB38_417
.LBB38_413:
	s_mov_b64 s[0:1], -1
                                        ; implicit-def: $vgpr5
.LBB38_414:
	s_andn2_b64 vcc, exec, s[0:1]
	s_cbranch_vccnz .LBB38_416
; %bb.415:
	global_load_ushort v5, v[0:1], off
	s_movk_i32 s0, 0x7fff
	s_waitcnt vmcnt(0)
	v_cvt_f32_u32_e32 v5, v5
	v_bfe_u32 v6, v5, 16, 1
	v_add3_u32 v5, v5, v6, s0
	v_lshrrev_b32_e32 v5, 16, v5
.LBB38_416:
	s_mov_b64 s[0:1], 0
.LBB38_417:
	s_andn2_b64 vcc, exec, s[0:1]
	s_cbranch_vccnz .LBB38_425
; %bb.418:
	global_load_ubyte v5, v[0:1], off
	s_movk_i32 s0, 0x7f
                                        ; implicit-def: $sgpr28
	s_waitcnt vmcnt(0)
	v_cmp_lt_i16_e32 vcc, s0, v5
	s_mov_b64 s[0:1], 0
	s_and_saveexec_b64 s[22:23], vcc
	s_xor_b64 s[22:23], exec, s[22:23]
	s_cbranch_execz .LBB38_439
; %bb.419:
	s_movk_i32 s0, 0x80
	v_cmp_eq_u16_e32 vcc, s0, v5
	s_mov_b64 s[0:1], -1
                                        ; implicit-def: $sgpr28
	s_and_saveexec_b64 s[26:27], vcc
; %bb.420:
	s_mov_b32 s28, 0x7f800001
	s_xor_b64 s[0:1], exec, -1
; %bb.421:
	s_or_b64 exec, exec, s[26:27]
	s_and_b64 s[0:1], s[0:1], exec
	s_or_saveexec_b64 s[22:23], s[22:23]
	v_mov_b32_e32 v6, s28
	s_xor_b64 exec, exec, s[22:23]
	s_cbranch_execnz .LBB38_440
.LBB38_422:
	s_or_b64 exec, exec, s[22:23]
	s_and_saveexec_b64 s[22:23], s[0:1]
	s_cbranch_execz .LBB38_424
.LBB38_423:
	v_lshlrev_b32_e32 v6, 24, v5
	v_and_b32_e32 v5, 0xffff, v5
	v_and_b32_e32 v7, 7, v5
	v_ffbh_u32_e32 v9, v7
	v_min_u32_e32 v9, 32, v9
	v_subrev_u32_e32 v10, 28, v9
	v_bfe_u32 v8, v5, 3, 4
	v_lshlrev_b32_e32 v5, v10, v5
	v_sub_u32_e32 v9, 29, v9
	v_and_b32_e32 v5, 7, v5
	v_cmp_eq_u32_e32 vcc, 0, v8
	v_cndmask_b32_e32 v8, v8, v9, vcc
	v_cndmask_b32_e32 v5, v7, v5, vcc
	v_mov_b32_e32 v7, 0x3b800000
	v_lshlrev_b32_e32 v5, 20, v5
	v_and_b32_e32 v6, 0x80000000, v6
	v_lshl_add_u32 v7, v8, 23, v7
	v_or3_b32 v6, v6, v7, v5
.LBB38_424:
	s_or_b64 exec, exec, s[22:23]
	v_bfe_u32 v5, v6, 16, 1
	s_movk_i32 s0, 0x7fff
	v_add3_u32 v5, v6, v5, s0
	v_lshrrev_b32_e32 v5, 16, v5
	v_mov_b32_e32 v7, 0x7fc0
	v_cmp_o_f32_e32 vcc, v6, v6
	v_cndmask_b32_e32 v5, v7, v5, vcc
.LBB38_425:
	s_mov_b64 s[0:1], -1
.LBB38_426:
	s_mov_b64 s[22:23], 0
.LBB38_427:
	s_and_b64 vcc, exec, s[22:23]
	s_cbranch_vccz .LBB38_462
; %bb.428:
	v_cmp_lt_i16_e32 vcc, 22, v3
	s_cbranch_vccz .LBB38_438
; %bb.429:
	v_cmp_gt_i16_e32 vcc, 24, v3
	s_cbranch_vccnz .LBB38_441
; %bb.430:
	v_cmp_lt_i16_e32 vcc, 24, v3
	s_cbranch_vccz .LBB38_442
; %bb.431:
	global_load_ubyte v5, v[0:1], off
	s_movk_i32 s0, 0x7f
                                        ; implicit-def: $sgpr28
	s_waitcnt vmcnt(0)
	v_cmp_lt_i16_e32 vcc, s0, v5
	s_mov_b64 s[0:1], 0
	s_and_saveexec_b64 s[22:23], vcc
	s_xor_b64 s[22:23], exec, s[22:23]
	s_cbranch_execz .LBB38_454
; %bb.432:
	s_movk_i32 s0, 0x80
	v_cmp_eq_u16_e32 vcc, s0, v5
	s_mov_b64 s[0:1], -1
                                        ; implicit-def: $sgpr28
	s_and_saveexec_b64 s[26:27], vcc
; %bb.433:
	s_mov_b32 s28, 0x7f800001
	s_xor_b64 s[0:1], exec, -1
; %bb.434:
	s_or_b64 exec, exec, s[26:27]
	s_and_b64 s[0:1], s[0:1], exec
	s_or_saveexec_b64 s[22:23], s[22:23]
	v_mov_b32_e32 v6, s28
	s_xor_b64 exec, exec, s[22:23]
	s_cbranch_execnz .LBB38_455
.LBB38_435:
	s_or_b64 exec, exec, s[22:23]
	s_and_saveexec_b64 s[22:23], s[0:1]
	s_cbranch_execz .LBB38_437
.LBB38_436:
	v_lshlrev_b32_e32 v6, 24, v5
	v_and_b32_e32 v5, 0xffff, v5
	v_and_b32_e32 v7, 3, v5
	v_ffbh_u32_e32 v9, v7
	v_min_u32_e32 v9, 32, v9
	v_subrev_u32_e32 v10, 29, v9
	v_bfe_u32 v8, v5, 2, 5
	v_lshlrev_b32_e32 v5, v10, v5
	v_sub_u32_e32 v9, 30, v9
	v_and_b32_e32 v5, 3, v5
	v_cmp_eq_u32_e32 vcc, 0, v8
	v_cndmask_b32_e32 v8, v8, v9, vcc
	v_cndmask_b32_e32 v5, v7, v5, vcc
	v_mov_b32_e32 v7, 0x37800000
	v_lshlrev_b32_e32 v5, 21, v5
	v_and_b32_e32 v6, 0x80000000, v6
	v_lshl_add_u32 v7, v8, 23, v7
	v_or3_b32 v6, v6, v7, v5
.LBB38_437:
	s_or_b64 exec, exec, s[22:23]
	v_bfe_u32 v5, v6, 16, 1
	s_movk_i32 s0, 0x7fff
	v_add3_u32 v5, v6, v5, s0
	v_lshrrev_b32_e32 v5, 16, v5
	v_mov_b32_e32 v7, 0x7fc0
	v_cmp_o_f32_e32 vcc, v6, v6
	v_cndmask_b32_e32 v5, v7, v5, vcc
	s_mov_b64 s[0:1], 0
	s_branch .LBB38_443
.LBB38_438:
	s_mov_b64 s[22:23], -1
                                        ; implicit-def: $vgpr5
	s_branch .LBB38_449
.LBB38_439:
	s_or_saveexec_b64 s[22:23], s[22:23]
	v_mov_b32_e32 v6, s28
	s_xor_b64 exec, exec, s[22:23]
	s_cbranch_execz .LBB38_422
.LBB38_440:
	v_cmp_ne_u16_e32 vcc, 0, v5
	s_andn2_b64 s[0:1], s[0:1], exec
	s_and_b64 s[26:27], vcc, exec
	v_mov_b32_e32 v6, 0
	s_or_b64 s[0:1], s[0:1], s[26:27]
	s_or_b64 exec, exec, s[22:23]
	s_and_saveexec_b64 s[22:23], s[0:1]
	s_cbranch_execnz .LBB38_423
	s_branch .LBB38_424
.LBB38_441:
	s_mov_b64 s[0:1], -1
                                        ; implicit-def: $vgpr5
	s_branch .LBB38_446
.LBB38_442:
	s_mov_b64 s[0:1], -1
                                        ; implicit-def: $vgpr5
.LBB38_443:
	s_and_b64 vcc, exec, s[0:1]
	s_cbranch_vccz .LBB38_445
; %bb.444:
	global_load_ubyte v5, v[0:1], off
	s_mov_b32 s0, 0x7f800000
	s_brev_b32 s1, 1
	s_movk_i32 s22, 0x7fff
	v_mov_b32_e32 v6, 0x7fc0
	s_waitcnt vmcnt(0)
	v_lshlrev_b32_e32 v5, 24, v5
	v_and_b32_e32 v7, 0x7f000000, v5
	v_ffbh_u32_e32 v8, v7
	v_min_u32_e32 v8, 32, v8
	v_sub_u32_e64 v8, v8, 4 clamp
	v_lshlrev_b32_e32 v10, v8, v7
	v_lshlrev_b32_e32 v8, 23, v8
	v_lshrrev_b32_e32 v10, 4, v10
	v_add_u32_e32 v9, 0x1000000, v7
	v_sub_u32_e32 v8, v10, v8
	v_ashrrev_i32_e32 v9, 8, v9
	v_add_u32_e32 v8, 0x3c000000, v8
	v_and_or_b32 v8, v9, s0, v8
	v_cmp_ne_u32_e32 vcc, 0, v7
	v_cndmask_b32_e32 v7, 0, v8, vcc
	v_and_or_b32 v5, v5, s1, v7
	v_bfe_u32 v7, v7, 16, 1
	v_add3_u32 v7, v5, v7, s22
	v_lshrrev_b32_e32 v7, 16, v7
	v_cmp_o_f32_e32 vcc, v5, v5
	v_cndmask_b32_e32 v5, v6, v7, vcc
.LBB38_445:
	s_mov_b64 s[0:1], 0
.LBB38_446:
	s_andn2_b64 vcc, exec, s[0:1]
	s_cbranch_vccnz .LBB38_448
; %bb.447:
	global_load_ubyte v5, v[0:1], off
	s_movk_i32 s0, 0x7f00
	s_brev_b32 s1, 16
	s_brev_b32 s22, 1
	s_movk_i32 s23, 0x7fff
	v_mov_b32_e32 v6, 0x7fc0
	s_waitcnt vmcnt(0)
	v_lshlrev_b16_e32 v7, 8, v5
	v_lshlrev_b32_e32 v5, 25, v5
	v_lshrrev_b32_e32 v8, 4, v5
	v_and_or_b32 v9, v7, s0, 0.5
	v_or_b32_e32 v8, 0x70000000, v8
	v_add_f32_e32 v9, -0.5, v9
	v_mul_f32_e32 v8, 0x7800000, v8
	v_cmp_gt_u32_e32 vcc, s1, v5
	v_bfe_i32 v7, v7, 0, 16
	v_cndmask_b32_e32 v5, v8, v9, vcc
	v_and_or_b32 v7, v7, s22, v5
	v_bfe_u32 v5, v5, 16, 1
	v_add3_u32 v5, v7, v5, s23
	v_lshrrev_b32_e32 v5, 16, v5
	v_cmp_o_f32_e32 vcc, v7, v7
	v_cndmask_b32_e32 v5, v6, v5, vcc
.LBB38_448:
	s_mov_b64 s[22:23], 0
	s_mov_b64 s[0:1], -1
.LBB38_449:
	s_andn2_b64 vcc, exec, s[22:23]
	s_cbranch_vccnz .LBB38_462
; %bb.450:
	v_cmp_lt_i16_e32 vcc, 14, v3
	s_cbranch_vccz .LBB38_453
; %bb.451:
	v_cmp_eq_u16_e32 vcc, 15, v3
	s_cbranch_vccz .LBB38_456
; %bb.452:
	global_load_ushort v5, v[0:1], off
	s_mov_b64 s[0:1], -1
	s_mov_b64 s[20:21], 0
	s_branch .LBB38_457
.LBB38_453:
	s_mov_b64 s[22:23], -1
                                        ; implicit-def: $vgpr5
	s_branch .LBB38_458
.LBB38_454:
	s_or_saveexec_b64 s[22:23], s[22:23]
	v_mov_b32_e32 v6, s28
	s_xor_b64 exec, exec, s[22:23]
	s_cbranch_execz .LBB38_435
.LBB38_455:
	v_cmp_ne_u16_e32 vcc, 0, v5
	s_andn2_b64 s[0:1], s[0:1], exec
	s_and_b64 s[26:27], vcc, exec
	v_mov_b32_e32 v6, 0
	s_or_b64 s[0:1], s[0:1], s[26:27]
	s_or_b64 exec, exec, s[22:23]
	s_and_saveexec_b64 s[22:23], s[0:1]
	s_cbranch_execnz .LBB38_436
	s_branch .LBB38_437
.LBB38_456:
	s_mov_b64 s[20:21], -1
                                        ; implicit-def: $vgpr5
.LBB38_457:
	s_mov_b64 s[22:23], 0
.LBB38_458:
	s_and_b64 vcc, exec, s[22:23]
	s_cbranch_vccz .LBB38_462
; %bb.459:
	v_cmp_eq_u16_e32 vcc, 11, v3
	s_cbranch_vccz .LBB38_461
; %bb.460:
	global_load_ubyte v5, v[0:1], off
	s_mov_b64 s[0:1], -1
	s_mov_b64 s[20:21], 0
	s_waitcnt vmcnt(0)
	v_cmp_ne_u16_e32 vcc, 0, v5
	v_cndmask_b32_e64 v5, 0, 1.0, vcc
	v_lshrrev_b32_e32 v5, 16, v5
	s_branch .LBB38_462
.LBB38_461:
	s_mov_b64 s[20:21], -1
                                        ; implicit-def: $vgpr5
.LBB38_462:
	s_branch .LBB38_265
.LBB38_463:
	v_cmp_gt_i16_e32 vcc, 5, v3
	s_cbranch_vccnz .LBB38_468
; %bb.464:
	v_cmp_gt_i16_e32 vcc, 8, v3
	s_cbranch_vccnz .LBB38_469
; %bb.465:
	;; [unrolled: 3-line block ×3, first 2 shown]
	v_cmp_lt_i16_e32 vcc, 9, v3
	s_cbranch_vccz .LBB38_471
; %bb.467:
	global_load_dwordx2 v[6:7], v[0:1], off
	s_movk_i32 s0, 0x7fff
	s_waitcnt vmcnt(1)
	v_mov_b32_e32 v5, 0x7fc0
	s_waitcnt vmcnt(0)
	v_cvt_f32_f64_e32 v6, v[6:7]
	v_bfe_u32 v7, v6, 16, 1
	v_add3_u32 v7, v6, v7, s0
	v_lshrrev_b32_e32 v7, 16, v7
	v_cmp_o_f32_e32 vcc, v6, v6
	v_cndmask_b32_e32 v5, v5, v7, vcc
	s_mov_b64 s[0:1], 0
	s_branch .LBB38_472
.LBB38_468:
	s_mov_b64 s[0:1], -1
                                        ; implicit-def: $vgpr5
	s_branch .LBB38_490
.LBB38_469:
	s_mov_b64 s[0:1], -1
                                        ; implicit-def: $vgpr5
	s_branch .LBB38_478
.LBB38_470:
	s_mov_b64 s[0:1], -1
                                        ; implicit-def: $vgpr5
	s_branch .LBB38_475
.LBB38_471:
	s_mov_b64 s[0:1], -1
                                        ; implicit-def: $vgpr5
.LBB38_472:
	s_andn2_b64 vcc, exec, s[0:1]
	s_cbranch_vccnz .LBB38_474
; %bb.473:
	global_load_dword v5, v[0:1], off
	s_movk_i32 s0, 0x7fff
	v_mov_b32_e32 v6, 0x7fc0
	s_waitcnt vmcnt(0)
	v_bfe_u32 v7, v5, 16, 1
	v_add3_u32 v7, v5, v7, s0
	v_lshrrev_b32_e32 v7, 16, v7
	v_cmp_o_f32_e32 vcc, v5, v5
	v_cndmask_b32_e32 v5, v6, v7, vcc
.LBB38_474:
	s_mov_b64 s[0:1], 0
.LBB38_475:
	s_andn2_b64 vcc, exec, s[0:1]
	s_cbranch_vccnz .LBB38_477
; %bb.476:
	global_load_dword v5, v[0:1], off
	s_movk_i32 s0, 0x7fff
	v_mov_b32_e32 v7, 0x7fc0
	s_waitcnt vmcnt(0)
	v_cvt_f32_f16_e32 v6, v5
	v_cmp_o_f16_e32 vcc, v5, v5
	v_bfe_u32 v8, v6, 16, 1
	v_add3_u32 v6, v6, v8, s0
	v_lshrrev_b32_e32 v6, 16, v6
	v_cndmask_b32_e32 v5, v7, v6, vcc
.LBB38_477:
	s_mov_b64 s[0:1], 0
.LBB38_478:
	s_andn2_b64 vcc, exec, s[0:1]
	s_cbranch_vccnz .LBB38_489
; %bb.479:
	v_cmp_gt_i16_e32 vcc, 6, v3
	s_cbranch_vccnz .LBB38_482
; %bb.480:
	v_cmp_lt_i16_e32 vcc, 6, v3
	s_cbranch_vccz .LBB38_483
; %bb.481:
	global_load_dwordx2 v[6:7], v[0:1], off
	s_movk_i32 s0, 0x7fff
	s_waitcnt vmcnt(1)
	v_mov_b32_e32 v5, 0x7fc0
	s_waitcnt vmcnt(0)
	v_cvt_f32_f64_e32 v6, v[6:7]
	v_bfe_u32 v7, v6, 16, 1
	v_add3_u32 v7, v6, v7, s0
	v_lshrrev_b32_e32 v7, 16, v7
	v_cmp_o_f32_e32 vcc, v6, v6
	v_cndmask_b32_e32 v5, v5, v7, vcc
	s_mov_b64 s[0:1], 0
	s_branch .LBB38_484
.LBB38_482:
	s_mov_b64 s[0:1], -1
                                        ; implicit-def: $vgpr5
	s_branch .LBB38_487
.LBB38_483:
	s_mov_b64 s[0:1], -1
                                        ; implicit-def: $vgpr5
.LBB38_484:
	s_andn2_b64 vcc, exec, s[0:1]
	s_cbranch_vccnz .LBB38_486
; %bb.485:
	global_load_dword v5, v[0:1], off
	s_movk_i32 s0, 0x7fff
	v_mov_b32_e32 v6, 0x7fc0
	s_waitcnt vmcnt(0)
	v_bfe_u32 v7, v5, 16, 1
	v_add3_u32 v7, v5, v7, s0
	v_lshrrev_b32_e32 v7, 16, v7
	v_cmp_o_f32_e32 vcc, v5, v5
	v_cndmask_b32_e32 v5, v6, v7, vcc
.LBB38_486:
	s_mov_b64 s[0:1], 0
.LBB38_487:
	s_andn2_b64 vcc, exec, s[0:1]
	s_cbranch_vccnz .LBB38_489
; %bb.488:
	global_load_ushort v5, v[0:1], off
	s_movk_i32 s0, 0x7fff
	v_mov_b32_e32 v7, 0x7fc0
	s_waitcnt vmcnt(0)
	v_cvt_f32_f16_e32 v6, v5
	v_cmp_o_f16_e32 vcc, v5, v5
	v_bfe_u32 v8, v6, 16, 1
	v_add3_u32 v6, v6, v8, s0
	v_lshrrev_b32_e32 v6, 16, v6
	v_cndmask_b32_e32 v5, v7, v6, vcc
.LBB38_489:
	s_mov_b64 s[0:1], 0
.LBB38_490:
	s_andn2_b64 vcc, exec, s[0:1]
	s_cbranch_vccnz .LBB38_510
; %bb.491:
	v_cmp_gt_i16_e32 vcc, 2, v3
	s_cbranch_vccnz .LBB38_495
; %bb.492:
	v_cmp_gt_i16_e32 vcc, 3, v3
	s_cbranch_vccnz .LBB38_496
; %bb.493:
	v_cmp_lt_i16_e32 vcc, 3, v3
	s_cbranch_vccz .LBB38_497
; %bb.494:
	global_load_dwordx2 v[6:7], v[0:1], off
	s_movk_i32 s0, 0x7fff
	s_waitcnt vmcnt(0)
	v_xor_b32_e32 v8, v6, v7
	v_ffbh_i32_e32 v5, v7
	v_ashrrev_i32_e32 v8, 31, v8
	v_add_u32_e32 v5, -1, v5
	v_add_u32_e32 v8, 32, v8
	v_min_u32_e32 v5, v5, v8
	v_lshlrev_b64 v[6:7], v5, v[6:7]
	v_min_u32_e32 v6, 1, v6
	v_or_b32_e32 v6, v7, v6
	v_cvt_f32_i32_e32 v6, v6
	v_sub_u32_e32 v5, 32, v5
	v_ldexp_f32 v5, v6, v5
	v_bfe_u32 v6, v5, 16, 1
	v_add3_u32 v5, v5, v6, s0
	v_lshrrev_b32_e32 v5, 16, v5
	s_mov_b64 s[0:1], 0
	s_branch .LBB38_498
.LBB38_495:
	s_mov_b64 s[0:1], -1
                                        ; implicit-def: $vgpr5
	s_branch .LBB38_504
.LBB38_496:
	s_mov_b64 s[0:1], -1
                                        ; implicit-def: $vgpr5
	s_branch .LBB38_501
.LBB38_497:
	s_mov_b64 s[0:1], -1
                                        ; implicit-def: $vgpr5
.LBB38_498:
	s_andn2_b64 vcc, exec, s[0:1]
	s_cbranch_vccnz .LBB38_500
; %bb.499:
	global_load_dword v5, v[0:1], off
	s_movk_i32 s0, 0x7fff
	s_waitcnt vmcnt(0)
	v_cvt_f32_i32_e32 v5, v5
	v_bfe_u32 v6, v5, 16, 1
	v_add3_u32 v5, v5, v6, s0
	v_lshrrev_b32_e32 v5, 16, v5
.LBB38_500:
	s_mov_b64 s[0:1], 0
.LBB38_501:
	s_andn2_b64 vcc, exec, s[0:1]
	s_cbranch_vccnz .LBB38_503
; %bb.502:
	global_load_sshort v5, v[0:1], off
	s_movk_i32 s0, 0x7fff
	s_waitcnt vmcnt(0)
	v_cvt_f32_i32_e32 v5, v5
	v_bfe_u32 v6, v5, 16, 1
	v_add3_u32 v5, v5, v6, s0
	v_lshrrev_b32_e32 v5, 16, v5
.LBB38_503:
	s_mov_b64 s[0:1], 0
.LBB38_504:
	s_andn2_b64 vcc, exec, s[0:1]
	s_cbranch_vccnz .LBB38_510
; %bb.505:
	v_cmp_lt_i16_e32 vcc, 0, v3
	s_cbranch_vccz .LBB38_507
; %bb.506:
	global_load_sbyte v5, v[0:1], off
	s_movk_i32 s0, 0x7fff
	s_waitcnt vmcnt(0)
	v_cvt_f32_i32_e32 v5, v5
	v_bfe_u32 v6, v5, 16, 1
	v_add3_u32 v5, v5, v6, s0
	v_lshrrev_b32_e32 v5, 16, v5
	s_mov_b64 s[0:1], 0
	s_branch .LBB38_508
.LBB38_507:
	s_mov_b64 s[0:1], -1
                                        ; implicit-def: $vgpr5
.LBB38_508:
	s_andn2_b64 vcc, exec, s[0:1]
	s_cbranch_vccnz .LBB38_510
; %bb.509:
	global_load_ubyte v0, v[0:1], off
	s_movk_i32 s0, 0x7fff
	s_waitcnt vmcnt(0)
	v_cvt_f32_ubyte0_e32 v0, v0
	v_bfe_u32 v1, v0, 16, 1
	v_add3_u32 v0, v0, v1, s0
	v_lshrrev_b32_e32 v5, 16, v0
.LBB38_510:
	s_branch .LBB38_266
.LBB38_511:
	s_mov_b64 s[26:27], 0
	s_mov_b64 s[0:1], s[6:7]
.LBB38_512:
                                        ; implicit-def: $vgpr2
.LBB38_513:
	s_andn2_b64 s[22:23], s[6:7], exec
	s_and_b64 s[0:1], s[0:1], exec
	s_or_b64 s[22:23], s[22:23], s[0:1]
	s_andn2_b64 s[0:1], s[16:17], exec
	s_and_b64 s[20:21], s[20:21], exec
	s_or_b64 s[20:21], s[0:1], s[20:21]
	s_orn2_b64 s[0:1], s[26:27], exec
.LBB38_514:
	s_or_b64 exec, exec, s[24:25]
	s_mov_b64 s[26:27], 0
	s_mov_b64 s[28:29], 0
	;; [unrolled: 1-line block ×3, first 2 shown]
                                        ; implicit-def: $vgpr0_vgpr1
                                        ; implicit-def: $vgpr6
	s_and_saveexec_b64 s[24:25], s[0:1]
	s_cbranch_execz .LBB38_860
; %bb.515:
	v_cmp_gt_i32_e32 vcc, s33, v2
	s_mov_b64 s[36:37], -1
	s_mov_b64 s[0:1], s[20:21]
	s_mov_b64 s[30:31], s[22:23]
	s_and_saveexec_b64 s[26:27], vcc
	s_cbranch_execz .LBB38_774
; %bb.516:
	v_mul_lo_u32 v0, v2, s13
	v_ashrrev_i32_e32 v1, 31, v0
	s_waitcnt vmcnt(0)
	v_mov_b32_e32 v5, s11
	v_add_co_u32_e32 v0, vcc, s10, v0
	v_addc_co_u32_e32 v1, vcc, v5, v1, vcc
	v_cmp_gt_i16_e32 vcc, 11, v3
	s_cbranch_vccnz .LBB38_523
; %bb.517:
	v_cmp_lt_i16_e32 vcc, 25, v3
	s_cbranch_vccz .LBB38_524
; %bb.518:
	v_cmp_lt_i16_e32 vcc, 28, v3
	s_cbranch_vccz .LBB38_525
	;; [unrolled: 3-line block ×4, first 2 shown]
; %bb.521:
	v_cmp_eq_u16_e32 vcc, 46, v3
	s_mov_b64 s[30:31], 0
	s_cbranch_vccz .LBB38_532
; %bb.522:
	global_load_dword v5, v[0:1], off
	s_mov_b64 s[0:1], -1
	s_branch .LBB38_533
.LBB38_523:
	s_mov_b64 s[30:31], -1
	s_mov_b64 s[0:1], 0
                                        ; implicit-def: $vgpr5
	s_mov_b64 s[28:29], s[20:21]
	s_branch .LBB38_598
.LBB38_524:
	s_mov_b64 s[30:31], -1
	s_mov_b64 s[0:1], 0
	s_mov_b64 s[28:29], s[20:21]
                                        ; implicit-def: $vgpr5
	s_branch .LBB38_562
.LBB38_525:
	s_mov_b64 s[30:31], -1
	s_mov_b64 s[0:1], 0
	s_mov_b64 s[28:29], s[20:21]
                                        ; implicit-def: $vgpr5
	s_branch .LBB38_543
.LBB38_526:
	s_mov_b64 s[30:31], -1
	s_mov_b64 s[0:1], 0
	s_mov_b64 s[28:29], s[20:21]
                                        ; implicit-def: $vgpr5
	s_branch .LBB38_538
.LBB38_527:
	s_or_saveexec_b64 s[28:29], s[28:29]
                                        ; implicit-def: $sgpr30
	s_xor_b64 exec, exec, s[28:29]
	s_cbranch_execz .LBB38_311
.LBB38_528:
	s_mov_b32 s30, 0x46000000
	v_add_f32_e64 v8, |v9|, s30
	v_and_b32_e32 v8, 0xff, v8
	v_cmp_ne_u32_e32 vcc, 0, v8
	s_andn2_b64 s[26:27], s[26:27], exec
	s_and_b64 s[34:35], vcc, exec
	s_mov_b32 s30, 0
	s_or_b64 s[26:27], s[26:27], s[34:35]
	s_or_b64 exec, exec, s[28:29]
	v_mov_b32_e32 v10, s30
	s_and_saveexec_b64 s[28:29], s[26:27]
	s_cbranch_execnz .LBB38_312
	s_branch .LBB38_313
.LBB38_529:
	s_mov_b64 s[30:31], -1
	s_mov_b64 s[0:1], 0
	s_mov_b64 s[28:29], s[20:21]
                                        ; implicit-def: $vgpr5
	s_branch .LBB38_533
.LBB38_530:
	s_or_saveexec_b64 s[28:29], s[28:29]
                                        ; implicit-def: $sgpr30
	s_xor_b64 exec, exec, s[28:29]
	s_cbranch_execz .LBB38_324
.LBB38_531:
	s_mov_b32 s30, 0x42800000
	v_add_f32_e64 v8, |v9|, s30
	v_and_b32_e32 v8, 0xff, v8
	v_cmp_ne_u32_e32 vcc, 0, v8
	s_andn2_b64 s[26:27], s[26:27], exec
	s_and_b64 s[34:35], vcc, exec
	s_mov_b32 s30, 0
	s_or_b64 s[26:27], s[26:27], s[34:35]
	s_or_b64 exec, exec, s[28:29]
	v_mov_b32_e32 v10, s30
	s_and_saveexec_b64 s[28:29], s[26:27]
	s_cbranch_execnz .LBB38_325
	s_branch .LBB38_326
.LBB38_532:
	s_mov_b64 s[28:29], -1
                                        ; implicit-def: $vgpr5
	s_mov_b64 s[0:1], 0
.LBB38_533:
	s_and_b64 vcc, exec, s[30:31]
	s_cbranch_vccz .LBB38_537
; %bb.534:
	v_cmp_eq_u16_e32 vcc, 44, v3
	s_cbranch_vccz .LBB38_536
; %bb.535:
	global_load_ubyte v5, v[0:1], off
	s_movk_i32 s28, 0xff
	v_mov_b32_e32 v6, 0x7f800001
	v_mov_b32_e32 v7, 0x400000
	;; [unrolled: 1-line block ×3, first 2 shown]
	s_mov_b64 s[0:1], -1
	s_waitcnt vmcnt(0)
	v_lshlrev_b32_e32 v9, 23, v5
	v_cmp_ne_u32_e32 vcc, s28, v5
	v_cndmask_b32_e32 v6, v6, v9, vcc
	v_cmp_ne_u32_e32 vcc, 0, v5
	v_cndmask_b32_e32 v5, v7, v6, vcc
	v_add_u32_e32 v6, 0x7fff, v5
	v_lshrrev_b32_e32 v6, 16, v6
	v_cmp_o_f32_e32 vcc, v5, v5
	v_cndmask_b32_e32 v5, v8, v6, vcc
	s_mov_b64 s[28:29], 0
	s_branch .LBB38_537
.LBB38_536:
	s_mov_b64 s[28:29], -1
                                        ; implicit-def: $vgpr5
.LBB38_537:
	s_mov_b64 s[30:31], 0
.LBB38_538:
	s_and_b64 vcc, exec, s[30:31]
	s_cbranch_vccz .LBB38_542
; %bb.539:
	v_cmp_eq_u16_e32 vcc, 29, v3
	s_cbranch_vccz .LBB38_541
; %bb.540:
	global_load_dwordx2 v[6:7], v[0:1], off
	s_movk_i32 s28, 0x7fff
	s_mov_b64 s[0:1], -1
	s_mov_b64 s[30:31], 0
	s_waitcnt vmcnt(0)
	v_ffbh_u32_e32 v5, v7
	v_min_u32_e32 v5, 32, v5
	v_lshlrev_b64 v[6:7], v5, v[6:7]
	v_min_u32_e32 v6, 1, v6
	v_or_b32_e32 v6, v7, v6
	v_cvt_f32_u32_e32 v6, v6
	v_sub_u32_e32 v5, 32, v5
	v_ldexp_f32 v5, v6, v5
	v_bfe_u32 v6, v5, 16, 1
	v_add3_u32 v5, v5, v6, s28
	v_lshrrev_b32_e32 v5, 16, v5
	s_mov_b64 s[28:29], 0
	s_branch .LBB38_543
.LBB38_541:
	s_mov_b64 s[28:29], -1
                                        ; implicit-def: $vgpr5
.LBB38_542:
	s_mov_b64 s[30:31], 0
.LBB38_543:
	s_and_b64 vcc, exec, s[30:31]
	s_cbranch_vccz .LBB38_561
; %bb.544:
	v_cmp_gt_i16_e32 vcc, 27, v3
	s_cbranch_vccnz .LBB38_547
; %bb.545:
	v_cmp_lt_i16_e32 vcc, 27, v3
	s_cbranch_vccz .LBB38_548
; %bb.546:
	global_load_dword v5, v[0:1], off
	s_movk_i32 s0, 0x7fff
	s_waitcnt vmcnt(0)
	v_cvt_f32_u32_e32 v5, v5
	v_bfe_u32 v6, v5, 16, 1
	v_add3_u32 v5, v5, v6, s0
	v_lshrrev_b32_e32 v5, 16, v5
	s_mov_b64 s[0:1], 0
	s_branch .LBB38_549
.LBB38_547:
	s_mov_b64 s[0:1], -1
                                        ; implicit-def: $vgpr5
	s_branch .LBB38_552
.LBB38_548:
	s_mov_b64 s[0:1], -1
                                        ; implicit-def: $vgpr5
.LBB38_549:
	s_andn2_b64 vcc, exec, s[0:1]
	s_cbranch_vccnz .LBB38_551
; %bb.550:
	global_load_ushort v5, v[0:1], off
	s_movk_i32 s0, 0x7fff
	s_waitcnt vmcnt(0)
	v_cvt_f32_u32_e32 v5, v5
	v_bfe_u32 v6, v5, 16, 1
	v_add3_u32 v5, v5, v6, s0
	v_lshrrev_b32_e32 v5, 16, v5
.LBB38_551:
	s_mov_b64 s[0:1], 0
.LBB38_552:
	s_andn2_b64 vcc, exec, s[0:1]
	s_cbranch_vccnz .LBB38_560
; %bb.553:
	global_load_ubyte v5, v[0:1], off
	s_movk_i32 s0, 0x7f
                                        ; implicit-def: $sgpr36
	s_waitcnt vmcnt(0)
	v_cmp_lt_i16_e32 vcc, s0, v5
	s_mov_b64 s[0:1], 0
	s_and_saveexec_b64 s[30:31], vcc
	s_xor_b64 s[30:31], exec, s[30:31]
	s_cbranch_execz .LBB38_574
; %bb.554:
	s_movk_i32 s0, 0x80
	v_cmp_eq_u16_e32 vcc, s0, v5
	s_mov_b64 s[0:1], -1
                                        ; implicit-def: $sgpr36
	s_and_saveexec_b64 s[34:35], vcc
; %bb.555:
	s_mov_b32 s36, 0x7f800001
	s_xor_b64 s[0:1], exec, -1
; %bb.556:
	s_or_b64 exec, exec, s[34:35]
	s_and_b64 s[0:1], s[0:1], exec
	s_or_saveexec_b64 s[30:31], s[30:31]
	v_mov_b32_e32 v6, s36
	s_xor_b64 exec, exec, s[30:31]
	s_cbranch_execnz .LBB38_575
.LBB38_557:
	s_or_b64 exec, exec, s[30:31]
	s_and_saveexec_b64 s[30:31], s[0:1]
	s_cbranch_execz .LBB38_559
.LBB38_558:
	v_lshlrev_b32_e32 v6, 24, v5
	v_and_b32_e32 v5, 0xffff, v5
	v_and_b32_e32 v7, 7, v5
	v_ffbh_u32_e32 v9, v7
	v_min_u32_e32 v9, 32, v9
	v_subrev_u32_e32 v10, 28, v9
	v_bfe_u32 v8, v5, 3, 4
	v_lshlrev_b32_e32 v5, v10, v5
	v_sub_u32_e32 v9, 29, v9
	v_and_b32_e32 v5, 7, v5
	v_cmp_eq_u32_e32 vcc, 0, v8
	v_cndmask_b32_e32 v8, v8, v9, vcc
	v_cndmask_b32_e32 v5, v7, v5, vcc
	v_mov_b32_e32 v7, 0x3b800000
	v_lshlrev_b32_e32 v5, 20, v5
	v_and_b32_e32 v6, 0x80000000, v6
	v_lshl_add_u32 v7, v8, 23, v7
	v_or3_b32 v6, v6, v7, v5
.LBB38_559:
	s_or_b64 exec, exec, s[30:31]
	v_bfe_u32 v5, v6, 16, 1
	s_movk_i32 s0, 0x7fff
	v_add3_u32 v5, v6, v5, s0
	v_lshrrev_b32_e32 v5, 16, v5
	v_mov_b32_e32 v7, 0x7fc0
	v_cmp_o_f32_e32 vcc, v6, v6
	v_cndmask_b32_e32 v5, v7, v5, vcc
.LBB38_560:
	s_mov_b64 s[0:1], -1
.LBB38_561:
	s_mov_b64 s[30:31], 0
.LBB38_562:
	s_and_b64 vcc, exec, s[30:31]
	s_cbranch_vccz .LBB38_597
; %bb.563:
	v_cmp_lt_i16_e32 vcc, 22, v3
	s_cbranch_vccz .LBB38_573
; %bb.564:
	v_cmp_gt_i16_e32 vcc, 24, v3
	s_cbranch_vccnz .LBB38_576
; %bb.565:
	v_cmp_lt_i16_e32 vcc, 24, v3
	s_cbranch_vccz .LBB38_577
; %bb.566:
	global_load_ubyte v5, v[0:1], off
	s_movk_i32 s0, 0x7f
                                        ; implicit-def: $sgpr36
	s_waitcnt vmcnt(0)
	v_cmp_lt_i16_e32 vcc, s0, v5
	s_mov_b64 s[0:1], 0
	s_and_saveexec_b64 s[30:31], vcc
	s_xor_b64 s[30:31], exec, s[30:31]
	s_cbranch_execz .LBB38_589
; %bb.567:
	s_movk_i32 s0, 0x80
	v_cmp_eq_u16_e32 vcc, s0, v5
	s_mov_b64 s[0:1], -1
                                        ; implicit-def: $sgpr36
	s_and_saveexec_b64 s[34:35], vcc
; %bb.568:
	s_mov_b32 s36, 0x7f800001
	s_xor_b64 s[0:1], exec, -1
; %bb.569:
	s_or_b64 exec, exec, s[34:35]
	s_and_b64 s[0:1], s[0:1], exec
	s_or_saveexec_b64 s[30:31], s[30:31]
	v_mov_b32_e32 v6, s36
	s_xor_b64 exec, exec, s[30:31]
	s_cbranch_execnz .LBB38_590
.LBB38_570:
	s_or_b64 exec, exec, s[30:31]
	s_and_saveexec_b64 s[30:31], s[0:1]
	s_cbranch_execz .LBB38_572
.LBB38_571:
	v_lshlrev_b32_e32 v6, 24, v5
	v_and_b32_e32 v5, 0xffff, v5
	v_and_b32_e32 v7, 3, v5
	v_ffbh_u32_e32 v9, v7
	v_min_u32_e32 v9, 32, v9
	v_subrev_u32_e32 v10, 29, v9
	v_bfe_u32 v8, v5, 2, 5
	v_lshlrev_b32_e32 v5, v10, v5
	v_sub_u32_e32 v9, 30, v9
	v_and_b32_e32 v5, 3, v5
	v_cmp_eq_u32_e32 vcc, 0, v8
	v_cndmask_b32_e32 v8, v8, v9, vcc
	v_cndmask_b32_e32 v5, v7, v5, vcc
	v_mov_b32_e32 v7, 0x37800000
	v_lshlrev_b32_e32 v5, 21, v5
	v_and_b32_e32 v6, 0x80000000, v6
	v_lshl_add_u32 v7, v8, 23, v7
	v_or3_b32 v6, v6, v7, v5
.LBB38_572:
	s_or_b64 exec, exec, s[30:31]
	v_bfe_u32 v5, v6, 16, 1
	s_movk_i32 s0, 0x7fff
	v_add3_u32 v5, v6, v5, s0
	v_lshrrev_b32_e32 v5, 16, v5
	v_mov_b32_e32 v7, 0x7fc0
	v_cmp_o_f32_e32 vcc, v6, v6
	v_cndmask_b32_e32 v5, v7, v5, vcc
	s_mov_b64 s[0:1], 0
	s_branch .LBB38_578
.LBB38_573:
	s_mov_b64 s[30:31], -1
                                        ; implicit-def: $vgpr5
	s_branch .LBB38_584
.LBB38_574:
	s_or_saveexec_b64 s[30:31], s[30:31]
	v_mov_b32_e32 v6, s36
	s_xor_b64 exec, exec, s[30:31]
	s_cbranch_execz .LBB38_557
.LBB38_575:
	v_cmp_ne_u16_e32 vcc, 0, v5
	s_andn2_b64 s[0:1], s[0:1], exec
	s_and_b64 s[34:35], vcc, exec
	v_mov_b32_e32 v6, 0
	s_or_b64 s[0:1], s[0:1], s[34:35]
	s_or_b64 exec, exec, s[30:31]
	s_and_saveexec_b64 s[30:31], s[0:1]
	s_cbranch_execnz .LBB38_558
	s_branch .LBB38_559
.LBB38_576:
	s_mov_b64 s[0:1], -1
                                        ; implicit-def: $vgpr5
	s_branch .LBB38_581
.LBB38_577:
	s_mov_b64 s[0:1], -1
                                        ; implicit-def: $vgpr5
.LBB38_578:
	s_and_b64 vcc, exec, s[0:1]
	s_cbranch_vccz .LBB38_580
; %bb.579:
	global_load_ubyte v5, v[0:1], off
	s_mov_b32 s0, 0x7f800000
	s_brev_b32 s1, 1
	s_movk_i32 s30, 0x7fff
	v_mov_b32_e32 v6, 0x7fc0
	s_waitcnt vmcnt(0)
	v_lshlrev_b32_e32 v5, 24, v5
	v_and_b32_e32 v7, 0x7f000000, v5
	v_ffbh_u32_e32 v8, v7
	v_min_u32_e32 v8, 32, v8
	v_sub_u32_e64 v8, v8, 4 clamp
	v_lshlrev_b32_e32 v10, v8, v7
	v_lshlrev_b32_e32 v8, 23, v8
	v_lshrrev_b32_e32 v10, 4, v10
	v_add_u32_e32 v9, 0x1000000, v7
	v_sub_u32_e32 v8, v10, v8
	v_ashrrev_i32_e32 v9, 8, v9
	v_add_u32_e32 v8, 0x3c000000, v8
	v_and_or_b32 v8, v9, s0, v8
	v_cmp_ne_u32_e32 vcc, 0, v7
	v_cndmask_b32_e32 v7, 0, v8, vcc
	v_and_or_b32 v5, v5, s1, v7
	v_bfe_u32 v7, v7, 16, 1
	v_add3_u32 v7, v5, v7, s30
	v_lshrrev_b32_e32 v7, 16, v7
	v_cmp_o_f32_e32 vcc, v5, v5
	v_cndmask_b32_e32 v5, v6, v7, vcc
.LBB38_580:
	s_mov_b64 s[0:1], 0
.LBB38_581:
	s_andn2_b64 vcc, exec, s[0:1]
	s_cbranch_vccnz .LBB38_583
; %bb.582:
	global_load_ubyte v5, v[0:1], off
	s_movk_i32 s0, 0x7f00
	s_brev_b32 s1, 16
	s_brev_b32 s30, 1
	s_movk_i32 s31, 0x7fff
	v_mov_b32_e32 v6, 0x7fc0
	s_waitcnt vmcnt(0)
	v_lshlrev_b16_e32 v7, 8, v5
	v_lshlrev_b32_e32 v5, 25, v5
	v_lshrrev_b32_e32 v8, 4, v5
	v_and_or_b32 v9, v7, s0, 0.5
	v_or_b32_e32 v8, 0x70000000, v8
	v_add_f32_e32 v9, -0.5, v9
	v_mul_f32_e32 v8, 0x7800000, v8
	v_cmp_gt_u32_e32 vcc, s1, v5
	v_bfe_i32 v7, v7, 0, 16
	v_cndmask_b32_e32 v5, v8, v9, vcc
	v_and_or_b32 v7, v7, s30, v5
	v_bfe_u32 v5, v5, 16, 1
	v_add3_u32 v5, v7, v5, s31
	v_lshrrev_b32_e32 v5, 16, v5
	v_cmp_o_f32_e32 vcc, v7, v7
	v_cndmask_b32_e32 v5, v6, v5, vcc
.LBB38_583:
	s_mov_b64 s[30:31], 0
	s_mov_b64 s[0:1], -1
.LBB38_584:
	s_andn2_b64 vcc, exec, s[30:31]
	s_cbranch_vccnz .LBB38_597
; %bb.585:
	v_cmp_lt_i16_e32 vcc, 14, v3
	s_cbranch_vccz .LBB38_588
; %bb.586:
	v_cmp_eq_u16_e32 vcc, 15, v3
	s_cbranch_vccz .LBB38_591
; %bb.587:
	global_load_ushort v5, v[0:1], off
	s_mov_b64 s[0:1], -1
	s_mov_b64 s[28:29], 0
	s_branch .LBB38_592
.LBB38_588:
	s_mov_b64 s[30:31], -1
                                        ; implicit-def: $vgpr5
	s_branch .LBB38_593
.LBB38_589:
	s_or_saveexec_b64 s[30:31], s[30:31]
	v_mov_b32_e32 v6, s36
	s_xor_b64 exec, exec, s[30:31]
	s_cbranch_execz .LBB38_570
.LBB38_590:
	v_cmp_ne_u16_e32 vcc, 0, v5
	s_andn2_b64 s[0:1], s[0:1], exec
	s_and_b64 s[34:35], vcc, exec
	v_mov_b32_e32 v6, 0
	s_or_b64 s[0:1], s[0:1], s[34:35]
	s_or_b64 exec, exec, s[30:31]
	s_and_saveexec_b64 s[30:31], s[0:1]
	s_cbranch_execnz .LBB38_571
	s_branch .LBB38_572
.LBB38_591:
	s_mov_b64 s[28:29], -1
                                        ; implicit-def: $vgpr5
.LBB38_592:
	s_mov_b64 s[30:31], 0
.LBB38_593:
	s_and_b64 vcc, exec, s[30:31]
	s_cbranch_vccz .LBB38_597
; %bb.594:
	v_cmp_eq_u16_e32 vcc, 11, v3
	s_cbranch_vccz .LBB38_596
; %bb.595:
	global_load_ubyte v5, v[0:1], off
	s_mov_b64 s[0:1], -1
	s_mov_b64 s[28:29], 0
	s_waitcnt vmcnt(0)
	v_cmp_ne_u16_e32 vcc, 0, v5
	v_cndmask_b32_e64 v5, 0, 1.0, vcc
	v_lshrrev_b32_e32 v5, 16, v5
	s_branch .LBB38_597
.LBB38_596:
	s_mov_b64 s[28:29], -1
                                        ; implicit-def: $vgpr5
.LBB38_597:
	s_mov_b64 s[30:31], 0
.LBB38_598:
	s_and_b64 vcc, exec, s[30:31]
	s_cbranch_vccz .LBB38_647
; %bb.599:
	v_cmp_gt_i16_e32 vcc, 5, v3
	s_cbranch_vccnz .LBB38_604
; %bb.600:
	v_cmp_gt_i16_e32 vcc, 8, v3
	s_cbranch_vccnz .LBB38_605
; %bb.601:
	v_cmp_gt_i16_e32 vcc, 9, v3
	s_cbranch_vccnz .LBB38_606
; %bb.602:
	v_cmp_lt_i16_e32 vcc, 9, v3
	s_cbranch_vccz .LBB38_607
; %bb.603:
	global_load_dwordx2 v[6:7], v[0:1], off
	s_movk_i32 s0, 0x7fff
	s_waitcnt vmcnt(1)
	v_mov_b32_e32 v5, 0x7fc0
	s_waitcnt vmcnt(0)
	v_cvt_f32_f64_e32 v6, v[6:7]
	v_bfe_u32 v7, v6, 16, 1
	v_add3_u32 v7, v6, v7, s0
	v_lshrrev_b32_e32 v7, 16, v7
	v_cmp_o_f32_e32 vcc, v6, v6
	v_cndmask_b32_e32 v5, v5, v7, vcc
	s_mov_b64 s[0:1], 0
	s_branch .LBB38_608
.LBB38_604:
	s_mov_b64 s[0:1], -1
                                        ; implicit-def: $vgpr5
	s_branch .LBB38_626
.LBB38_605:
	s_mov_b64 s[0:1], -1
                                        ; implicit-def: $vgpr5
	s_branch .LBB38_614
.LBB38_606:
	s_mov_b64 s[0:1], -1
                                        ; implicit-def: $vgpr5
	s_branch .LBB38_611
.LBB38_607:
	s_mov_b64 s[0:1], -1
                                        ; implicit-def: $vgpr5
.LBB38_608:
	s_andn2_b64 vcc, exec, s[0:1]
	s_cbranch_vccnz .LBB38_610
; %bb.609:
	global_load_dword v5, v[0:1], off
	s_movk_i32 s0, 0x7fff
	v_mov_b32_e32 v6, 0x7fc0
	s_waitcnt vmcnt(0)
	v_bfe_u32 v7, v5, 16, 1
	v_add3_u32 v7, v5, v7, s0
	v_lshrrev_b32_e32 v7, 16, v7
	v_cmp_o_f32_e32 vcc, v5, v5
	v_cndmask_b32_e32 v5, v6, v7, vcc
.LBB38_610:
	s_mov_b64 s[0:1], 0
.LBB38_611:
	s_andn2_b64 vcc, exec, s[0:1]
	s_cbranch_vccnz .LBB38_613
; %bb.612:
	global_load_dword v5, v[0:1], off
	s_movk_i32 s0, 0x7fff
	v_mov_b32_e32 v7, 0x7fc0
	s_waitcnt vmcnt(0)
	v_cvt_f32_f16_e32 v6, v5
	v_cmp_o_f16_e32 vcc, v5, v5
	v_bfe_u32 v8, v6, 16, 1
	v_add3_u32 v6, v6, v8, s0
	v_lshrrev_b32_e32 v6, 16, v6
	v_cndmask_b32_e32 v5, v7, v6, vcc
.LBB38_613:
	s_mov_b64 s[0:1], 0
.LBB38_614:
	s_andn2_b64 vcc, exec, s[0:1]
	s_cbranch_vccnz .LBB38_625
; %bb.615:
	v_cmp_gt_i16_e32 vcc, 6, v3
	s_cbranch_vccnz .LBB38_618
; %bb.616:
	v_cmp_lt_i16_e32 vcc, 6, v3
	s_cbranch_vccz .LBB38_619
; %bb.617:
	global_load_dwordx2 v[6:7], v[0:1], off
	s_movk_i32 s0, 0x7fff
	s_waitcnt vmcnt(1)
	v_mov_b32_e32 v5, 0x7fc0
	s_waitcnt vmcnt(0)
	v_cvt_f32_f64_e32 v6, v[6:7]
	v_bfe_u32 v7, v6, 16, 1
	v_add3_u32 v7, v6, v7, s0
	v_lshrrev_b32_e32 v7, 16, v7
	v_cmp_o_f32_e32 vcc, v6, v6
	v_cndmask_b32_e32 v5, v5, v7, vcc
	s_mov_b64 s[0:1], 0
	s_branch .LBB38_620
.LBB38_618:
	s_mov_b64 s[0:1], -1
                                        ; implicit-def: $vgpr5
	s_branch .LBB38_623
.LBB38_619:
	s_mov_b64 s[0:1], -1
                                        ; implicit-def: $vgpr5
.LBB38_620:
	s_andn2_b64 vcc, exec, s[0:1]
	s_cbranch_vccnz .LBB38_622
; %bb.621:
	global_load_dword v5, v[0:1], off
	s_movk_i32 s0, 0x7fff
	v_mov_b32_e32 v6, 0x7fc0
	s_waitcnt vmcnt(0)
	v_bfe_u32 v7, v5, 16, 1
	v_add3_u32 v7, v5, v7, s0
	v_lshrrev_b32_e32 v7, 16, v7
	v_cmp_o_f32_e32 vcc, v5, v5
	v_cndmask_b32_e32 v5, v6, v7, vcc
.LBB38_622:
	s_mov_b64 s[0:1], 0
.LBB38_623:
	s_andn2_b64 vcc, exec, s[0:1]
	s_cbranch_vccnz .LBB38_625
; %bb.624:
	global_load_ushort v5, v[0:1], off
	s_movk_i32 s0, 0x7fff
	v_mov_b32_e32 v7, 0x7fc0
	s_waitcnt vmcnt(0)
	v_cvt_f32_f16_e32 v6, v5
	v_cmp_o_f16_e32 vcc, v5, v5
	v_bfe_u32 v8, v6, 16, 1
	v_add3_u32 v6, v6, v8, s0
	v_lshrrev_b32_e32 v6, 16, v6
	v_cndmask_b32_e32 v5, v7, v6, vcc
.LBB38_625:
	s_mov_b64 s[0:1], 0
.LBB38_626:
	s_andn2_b64 vcc, exec, s[0:1]
	s_cbranch_vccnz .LBB38_646
; %bb.627:
	v_cmp_gt_i16_e32 vcc, 2, v3
	s_cbranch_vccnz .LBB38_631
; %bb.628:
	v_cmp_gt_i16_e32 vcc, 3, v3
	s_cbranch_vccnz .LBB38_632
; %bb.629:
	v_cmp_lt_i16_e32 vcc, 3, v3
	s_cbranch_vccz .LBB38_633
; %bb.630:
	global_load_dwordx2 v[6:7], v[0:1], off
	s_movk_i32 s0, 0x7fff
	s_waitcnt vmcnt(0)
	v_xor_b32_e32 v8, v6, v7
	v_ffbh_i32_e32 v5, v7
	v_ashrrev_i32_e32 v8, 31, v8
	v_add_u32_e32 v5, -1, v5
	v_add_u32_e32 v8, 32, v8
	v_min_u32_e32 v5, v5, v8
	v_lshlrev_b64 v[6:7], v5, v[6:7]
	v_min_u32_e32 v6, 1, v6
	v_or_b32_e32 v6, v7, v6
	v_cvt_f32_i32_e32 v6, v6
	v_sub_u32_e32 v5, 32, v5
	v_ldexp_f32 v5, v6, v5
	v_bfe_u32 v6, v5, 16, 1
	v_add3_u32 v5, v5, v6, s0
	v_lshrrev_b32_e32 v5, 16, v5
	s_mov_b64 s[0:1], 0
	s_branch .LBB38_634
.LBB38_631:
	s_mov_b64 s[0:1], -1
                                        ; implicit-def: $vgpr5
	s_branch .LBB38_640
.LBB38_632:
	s_mov_b64 s[0:1], -1
                                        ; implicit-def: $vgpr5
	s_branch .LBB38_637
.LBB38_633:
	s_mov_b64 s[0:1], -1
                                        ; implicit-def: $vgpr5
.LBB38_634:
	s_andn2_b64 vcc, exec, s[0:1]
	s_cbranch_vccnz .LBB38_636
; %bb.635:
	global_load_dword v5, v[0:1], off
	s_movk_i32 s0, 0x7fff
	s_waitcnt vmcnt(0)
	v_cvt_f32_i32_e32 v5, v5
	v_bfe_u32 v6, v5, 16, 1
	v_add3_u32 v5, v5, v6, s0
	v_lshrrev_b32_e32 v5, 16, v5
.LBB38_636:
	s_mov_b64 s[0:1], 0
.LBB38_637:
	s_andn2_b64 vcc, exec, s[0:1]
	s_cbranch_vccnz .LBB38_639
; %bb.638:
	global_load_sshort v5, v[0:1], off
	s_movk_i32 s0, 0x7fff
	s_waitcnt vmcnt(0)
	v_cvt_f32_i32_e32 v5, v5
	v_bfe_u32 v6, v5, 16, 1
	v_add3_u32 v5, v5, v6, s0
	v_lshrrev_b32_e32 v5, 16, v5
.LBB38_639:
	s_mov_b64 s[0:1], 0
.LBB38_640:
	s_andn2_b64 vcc, exec, s[0:1]
	s_cbranch_vccnz .LBB38_646
; %bb.641:
	v_cmp_lt_i16_e32 vcc, 0, v3
	s_cbranch_vccz .LBB38_643
; %bb.642:
	global_load_sbyte v5, v[0:1], off
	s_movk_i32 s0, 0x7fff
	s_waitcnt vmcnt(0)
	v_cvt_f32_i32_e32 v5, v5
	v_bfe_u32 v6, v5, 16, 1
	v_add3_u32 v5, v5, v6, s0
	v_lshrrev_b32_e32 v5, 16, v5
	s_mov_b64 s[0:1], 0
	s_branch .LBB38_644
.LBB38_643:
	s_mov_b64 s[0:1], -1
                                        ; implicit-def: $vgpr5
.LBB38_644:
	s_andn2_b64 vcc, exec, s[0:1]
	s_cbranch_vccnz .LBB38_646
; %bb.645:
	global_load_ubyte v0, v[0:1], off
	s_movk_i32 s0, 0x7fff
	s_waitcnt vmcnt(0)
	v_cvt_f32_ubyte0_e32 v0, v0
	v_bfe_u32 v1, v0, 16, 1
	v_add3_u32 v0, v0, v1, s0
	v_lshrrev_b32_e32 v5, 16, v0
.LBB38_646:
	s_mov_b64 s[0:1], -1
.LBB38_647:
	s_andn2_b64 vcc, exec, s[0:1]
	s_cbranch_vccnz .LBB38_655
; %bb.648:
	v_mul_lo_u32 v0, v2, s12
	v_ashrrev_i32_e32 v1, 31, v0
	v_mov_b32_e32 v7, s9
	v_add_co_u32_e32 v0, vcc, s8, v0
	v_addc_co_u32_e32 v1, vcc, v7, v1, vcc
	v_mov_b32_e32 v7, 11
	s_waitcnt vmcnt(0)
	v_and_b32_e32 v6, 0x7fff, v5
	v_cmp_lt_i16_sdwa s[0:1], s15, v7 src0_sel:BYTE_0 src1_sel:DWORD
	v_or_b32_e32 v5, v6, v4
	s_and_b64 vcc, exec, s[0:1]
	s_cbranch_vccnz .LBB38_656
; %bb.649:
	v_mov_b32_e32 v7, 25
	v_cmp_gt_i16_sdwa s[0:1], s15, v7 src0_sel:BYTE_0 src1_sel:DWORD
	s_and_b64 vcc, exec, s[0:1]
	s_cbranch_vccz .LBB38_657
; %bb.650:
	v_mov_b32_e32 v7, 28
	v_cmp_gt_i16_sdwa s[0:1], s15, v7 src0_sel:BYTE_0 src1_sel:DWORD
	s_and_b64 vcc, exec, s[0:1]
	s_cbranch_vccz .LBB38_658
	;; [unrolled: 5-line block ×4, first 2 shown]
; %bb.653:
	v_mov_b32_e32 v7, 46
	v_cmp_eq_u16_sdwa s[30:31], s15, v7 src0_sel:BYTE_0 src1_sel:DWORD
	s_mov_b64 s[34:35], 0
	s_mov_b64 s[0:1], -1
	s_and_b64 vcc, exec, s[30:31]
	s_mov_b64 s[30:31], 0
	s_cbranch_vccz .LBB38_661
; %bb.654:
	v_and_b32_e32 v7, 0xffff, v5
	global_store_dword v[0:1], v7, off
	s_mov_b64 s[30:31], -1
	s_mov_b64 s[0:1], 0
	s_branch .LBB38_661
.LBB38_655:
	s_mov_b64 s[34:35], 0
	s_mov_b64 s[0:1], s[22:23]
	s_branch .LBB38_772
.LBB38_656:
	s_mov_b64 s[34:35], -1
	s_mov_b64 s[30:31], 0
	s_mov_b64 s[0:1], s[22:23]
	s_branch .LBB38_730
.LBB38_657:
	s_mov_b64 s[34:35], -1
	s_mov_b64 s[30:31], 0
	s_mov_b64 s[0:1], s[22:23]
	s_branch .LBB38_688
.LBB38_658:
	s_mov_b64 s[34:35], -1
	s_mov_b64 s[30:31], 0
	s_mov_b64 s[0:1], s[22:23]
	s_branch .LBB38_671
.LBB38_659:
	s_mov_b64 s[34:35], -1
	s_mov_b64 s[30:31], 0
	s_mov_b64 s[0:1], s[22:23]
	s_branch .LBB38_667
.LBB38_660:
	s_mov_b64 s[34:35], -1
	s_mov_b64 s[30:31], 0
	s_mov_b64 s[0:1], s[22:23]
.LBB38_661:
	s_and_b64 vcc, exec, s[34:35]
	s_cbranch_vccz .LBB38_666
; %bb.662:
	v_mov_b32_e32 v7, 44
	v_cmp_eq_u16_sdwa s[34:35], s15, v7 src0_sel:BYTE_0 src1_sel:DWORD
	s_mov_b64 s[0:1], -1
	s_and_b64 vcc, exec, s[34:35]
	s_cbranch_vccz .LBB38_666
; %bb.663:
	v_and_b32_e32 v8, 0xffff, v5
	v_bfe_u32 v7, v8, 7, 8
	s_movk_i32 s0, 0xff
	v_cmp_ne_u32_e32 vcc, s0, v7
	v_mov_b32_e32 v9, 0xff
	s_and_saveexec_b64 s[30:31], vcc
; %bb.664:
	v_lshlrev_b32_e32 v10, 16, v8
	s_mov_b32 s0, 0x3f0000
	v_lshrrev_b32_e32 v9, 7, v8
	v_and_b32_e32 v8, 64, v8
	v_and_or_b32 v7, v10, s0, v7
	v_cmp_ne_u32_e32 vcc, 0, v8
	v_cmp_ne_u32_e64 s[0:1], 0, v7
	s_and_b64 s[0:1], vcc, s[0:1]
	v_cndmask_b32_e64 v7, 0, 1, s[0:1]
	v_add_u32_e32 v9, v9, v7
; %bb.665:
	s_or_b64 exec, exec, s[30:31]
	s_mov_b64 s[30:31], -1
	s_mov_b64 s[0:1], 0
	global_store_byte v[0:1], v9, off
.LBB38_666:
	s_mov_b64 s[34:35], 0
.LBB38_667:
	s_and_b64 vcc, exec, s[34:35]
	s_cbranch_vccz .LBB38_670
; %bb.668:
	v_mov_b32_e32 v7, 29
	v_cmp_eq_u16_sdwa s[34:35], s15, v7 src0_sel:BYTE_0 src1_sel:DWORD
	s_mov_b64 s[0:1], -1
	s_and_b64 vcc, exec, s[34:35]
	s_cbranch_vccz .LBB38_670
; %bb.669:
	v_lshlrev_b32_e32 v7, 16, v5
	v_trunc_f32_e32 v7, v7
	v_mul_f32_e32 v8, 0x2f800000, v7
	v_floor_f32_e32 v8, v8
	v_fmac_f32_e32 v7, 0xcf800000, v8
	v_cvt_u32_f32_e32 v9, v8
	v_cvt_u32_f32_e32 v8, v7
	s_mov_b64 s[30:31], -1
	s_mov_b64 s[0:1], 0
	s_mov_b64 s[34:35], 0
	global_store_dwordx2 v[0:1], v[8:9], off
	s_branch .LBB38_671
.LBB38_670:
	s_mov_b64 s[34:35], 0
.LBB38_671:
	s_and_b64 vcc, exec, s[34:35]
	s_cbranch_vccz .LBB38_687
; %bb.672:
	v_mov_b32_e32 v7, 27
	v_cmp_lt_i16_sdwa s[34:35], s15, v7 src0_sel:BYTE_0 src1_sel:DWORD
	s_mov_b64 s[30:31], -1
	s_and_b64 vcc, exec, s[34:35]
	s_cbranch_vccnz .LBB38_678
; %bb.673:
	v_cmp_gt_i16_sdwa s[34:35], s15, v7 src0_sel:BYTE_0 src1_sel:DWORD
	s_and_b64 vcc, exec, s[34:35]
	s_cbranch_vccz .LBB38_675
; %bb.674:
	v_lshlrev_b32_e32 v7, 16, v5
	v_cvt_u32_f32_e32 v7, v7
	s_mov_b64 s[30:31], 0
	global_store_dword v[0:1], v7, off
.LBB38_675:
	s_andn2_b64 vcc, exec, s[30:31]
	s_cbranch_vccnz .LBB38_677
; %bb.676:
	v_lshlrev_b32_e32 v7, 16, v5
	v_cvt_u32_f32_e32 v7, v7
	global_store_short v[0:1], v7, off
.LBB38_677:
	s_mov_b64 s[30:31], 0
.LBB38_678:
	s_andn2_b64 vcc, exec, s[30:31]
	s_cbranch_vccnz .LBB38_686
; %bb.679:
	v_lshlrev_b32_e32 v9, 16, v5
	v_and_b32_e32 v8, 0x7fffffff, v9
	s_mov_b32 s30, 0x43800000
	v_cmp_gt_u32_e32 vcc, s30, v8
	v_mov_b32_e32 v10, 0x80
	s_and_saveexec_b64 s[30:31], vcc
	s_cbranch_execz .LBB38_685
; %bb.680:
	s_mov_b32 s34, 0x3bffffff
	v_and_b32_e32 v7, 0xffff, v5
	v_cmp_lt_u32_e32 vcc, s34, v8
	s_mov_b64 s[34:35], 0
                                        ; implicit-def: $vgpr8
	s_and_saveexec_b64 s[36:37], vcc
	s_xor_b64 s[36:37], exec, s[36:37]
	s_cbranch_execz .LBB38_787
; %bb.681:
	v_bfe_u32 v8, v7, 4, 1
	s_mov_b32 s38, 0x487ffff
	v_add3_u32 v8, v9, v8, s38
	s_mov_b64 s[34:35], exec
	v_lshrrev_b32_e32 v8, 20, v8
                                        ; implicit-def: $vgpr9
	s_or_saveexec_b64 s[36:37], s[36:37]
                                        ; implicit-def: $sgpr38
	s_xor_b64 exec, exec, s[36:37]
	s_cbranch_execnz .LBB38_788
.LBB38_682:
	s_or_b64 exec, exec, s[36:37]
	v_mov_b32_e32 v10, s38
	s_and_saveexec_b64 s[36:37], s[34:35]
.LBB38_683:
	v_lshrrev_b32_e32 v7, 8, v7
	s_movk_i32 s34, 0x80
	v_and_or_b32 v10, v7, s34, v8
.LBB38_684:
	s_or_b64 exec, exec, s[36:37]
.LBB38_685:
	s_or_b64 exec, exec, s[30:31]
	global_store_byte v[0:1], v10, off
.LBB38_686:
	s_mov_b64 s[30:31], -1
.LBB38_687:
	s_mov_b64 s[34:35], 0
.LBB38_688:
	s_and_b64 vcc, exec, s[34:35]
	s_cbranch_vccz .LBB38_729
; %bb.689:
	v_mov_b32_e32 v7, 22
	v_cmp_gt_i16_sdwa s[36:37], s15, v7 src0_sel:BYTE_0 src1_sel:DWORD
	s_mov_b64 s[34:35], -1
	s_and_b64 vcc, exec, s[36:37]
	s_cbranch_vccz .LBB38_721
; %bb.690:
	v_mov_b32_e32 v7, 24
	v_cmp_lt_i16_sdwa s[34:35], s15, v7 src0_sel:BYTE_0 src1_sel:DWORD
	s_mov_b64 s[30:31], -1
	s_and_b64 vcc, exec, s[34:35]
	s_cbranch_vccnz .LBB38_710
; %bb.691:
	v_cmp_gt_i16_sdwa s[34:35], s15, v7 src0_sel:BYTE_0 src1_sel:DWORD
	s_and_b64 vcc, exec, s[34:35]
	s_cbranch_vccz .LBB38_699
; %bb.692:
	v_lshlrev_b32_e32 v9, 16, v5
	v_and_b32_e32 v8, 0x7fffffff, v9
	s_mov_b32 s30, 0x47800000
	v_cmp_gt_u32_e32 vcc, s30, v8
	v_mov_b32_e32 v10, 0x80
	s_and_saveexec_b64 s[30:31], vcc
	s_cbranch_execz .LBB38_698
; %bb.693:
	s_mov_b32 s34, 0x37ffffff
	v_and_b32_e32 v7, 0xffff, v5
	v_cmp_lt_u32_e32 vcc, s34, v8
	s_mov_b64 s[34:35], 0
                                        ; implicit-def: $vgpr8
	s_and_saveexec_b64 s[36:37], vcc
	s_xor_b64 s[36:37], exec, s[36:37]
	s_cbranch_execz .LBB38_790
; %bb.694:
	v_bfe_u32 v8, v7, 5, 1
	s_mov_b32 s38, 0x88fffff
	v_add3_u32 v8, v9, v8, s38
	s_mov_b64 s[34:35], exec
	v_lshrrev_b32_e32 v8, 21, v8
                                        ; implicit-def: $vgpr9
	s_or_saveexec_b64 s[36:37], s[36:37]
                                        ; implicit-def: $sgpr38
	s_xor_b64 exec, exec, s[36:37]
	s_cbranch_execnz .LBB38_791
.LBB38_695:
	s_or_b64 exec, exec, s[36:37]
	v_mov_b32_e32 v10, s38
	s_and_saveexec_b64 s[36:37], s[34:35]
.LBB38_696:
	v_lshrrev_b32_e32 v7, 8, v7
	s_movk_i32 s34, 0x80
	v_and_or_b32 v10, v7, s34, v8
.LBB38_697:
	s_or_b64 exec, exec, s[36:37]
.LBB38_698:
	s_or_b64 exec, exec, s[30:31]
	s_mov_b64 s[30:31], 0
	global_store_byte v[0:1], v10, off
.LBB38_699:
	s_and_b64 vcc, exec, s[30:31]
	s_cbranch_vccz .LBB38_709
; %bb.700:
	v_lshlrev_b32_e32 v9, 16, v5
	v_and_b32_e32 v10, 0x7fffffff, v9
	s_mov_b32 s30, 0x43f00000
	v_and_b32_e32 v7, 0xffff, v5
	v_cmp_gt_u32_e32 vcc, s30, v10
                                        ; implicit-def: $vgpr8
	s_and_saveexec_b64 s[30:31], vcc
	s_xor_b64 s[30:31], exec, s[30:31]
	s_cbranch_execz .LBB38_706
; %bb.701:
	s_mov_b32 s34, 0x3c7fffff
	v_cmp_lt_u32_e32 vcc, s34, v10
                                        ; implicit-def: $vgpr8
	s_and_saveexec_b64 s[34:35], vcc
	s_xor_b64 s[34:35], exec, s[34:35]
; %bb.702:
	v_bfe_u32 v8, v7, 4, 1
	s_mov_b32 s36, 0x407ffff
	v_add3_u32 v8, v9, v8, s36
	v_lshrrev_b32_e32 v9, 20, v8
	v_and_b32_e32 v8, 0xff00000, v8
	s_mov_b32 s36, 0x7f00000
	v_mov_b32_e32 v10, 0x7e
	v_cmp_ne_u32_e32 vcc, s36, v8
	v_cndmask_b32_e32 v8, v10, v9, vcc
                                        ; implicit-def: $vgpr9
; %bb.703:
	s_andn2_saveexec_b64 s[34:35], s[34:35]
; %bb.704:
	s_mov_b32 s36, 0x46800000
	v_add_f32_e64 v8, |v9|, s36
; %bb.705:
	s_or_b64 exec, exec, s[34:35]
                                        ; implicit-def: $vgpr10
.LBB38_706:
	s_andn2_saveexec_b64 s[30:31], s[30:31]
; %bb.707:
	s_mov_b32 s34, 0x7f800000
	v_mov_b32_e32 v8, 0x7e
	v_mov_b32_e32 v9, 0x7f
	v_cmp_lt_u32_e32 vcc, s34, v10
	v_cndmask_b32_e32 v8, v8, v9, vcc
; %bb.708:
	s_or_b64 exec, exec, s[30:31]
	v_lshrrev_b32_e32 v7, 8, v7
	s_movk_i32 s30, 0x80
	v_and_or_b32 v7, v7, s30, v8
	global_store_byte v[0:1], v7, off
.LBB38_709:
	s_mov_b64 s[30:31], 0
.LBB38_710:
	s_andn2_b64 vcc, exec, s[30:31]
	s_cbranch_vccnz .LBB38_720
; %bb.711:
	v_lshlrev_b32_e32 v9, 16, v5
	v_and_b32_e32 v10, 0x7fffffff, v9
	s_mov_b32 s30, 0x47800000
	v_and_b32_e32 v7, 0xffff, v5
	v_cmp_gt_u32_e32 vcc, s30, v10
                                        ; implicit-def: $vgpr8
	s_and_saveexec_b64 s[30:31], vcc
	s_xor_b64 s[30:31], exec, s[30:31]
	s_cbranch_execz .LBB38_717
; %bb.712:
	s_mov_b32 s34, 0x387fffff
	v_cmp_lt_u32_e32 vcc, s34, v10
                                        ; implicit-def: $vgpr8
	s_and_saveexec_b64 s[34:35], vcc
	s_xor_b64 s[34:35], exec, s[34:35]
; %bb.713:
	v_bfe_u32 v8, v7, 5, 1
	s_mov_b32 s36, 0x80fffff
	v_add3_u32 v8, v9, v8, s36
	v_lshrrev_b32_e32 v8, 21, v8
                                        ; implicit-def: $vgpr9
; %bb.714:
	s_andn2_saveexec_b64 s[34:35], s[34:35]
; %bb.715:
	s_mov_b32 s36, 0x43000000
	v_add_f32_e64 v8, |v9|, s36
; %bb.716:
	s_or_b64 exec, exec, s[34:35]
                                        ; implicit-def: $vgpr10
.LBB38_717:
	s_andn2_saveexec_b64 s[30:31], s[30:31]
; %bb.718:
	s_mov_b32 s34, 0x7f800000
	v_mov_b32_e32 v8, 0x7c
	v_mov_b32_e32 v9, 0x7f
	v_cmp_lt_u32_e32 vcc, s34, v10
	v_cndmask_b32_e32 v8, v8, v9, vcc
; %bb.719:
	s_or_b64 exec, exec, s[30:31]
	v_lshrrev_b32_e32 v7, 8, v7
	s_movk_i32 s30, 0x80
	v_and_or_b32 v7, v7, s30, v8
	global_store_byte v[0:1], v7, off
.LBB38_720:
	s_mov_b64 s[34:35], 0
	s_mov_b64 s[30:31], -1
.LBB38_721:
	s_andn2_b64 vcc, exec, s[34:35]
	s_cbranch_vccnz .LBB38_729
; %bb.722:
	v_mov_b32_e32 v7, 14
	v_cmp_gt_i16_sdwa s[36:37], s15, v7 src0_sel:BYTE_0 src1_sel:DWORD
	s_mov_b64 s[34:35], -1
	s_and_b64 vcc, exec, s[36:37]
	s_cbranch_vccz .LBB38_726
; %bb.723:
	v_mov_b32_e32 v7, 15
	v_cmp_eq_u16_sdwa s[34:35], s15, v7 src0_sel:BYTE_0 src1_sel:DWORD
	s_mov_b64 s[0:1], -1
	s_and_b64 vcc, exec, s[34:35]
	s_cbranch_vccz .LBB38_725
; %bb.724:
	global_store_short v[0:1], v5, off
	s_mov_b64 s[30:31], -1
	s_mov_b64 s[0:1], 0
.LBB38_725:
	s_mov_b64 s[34:35], 0
.LBB38_726:
	s_and_b64 vcc, exec, s[34:35]
	s_cbranch_vccz .LBB38_729
; %bb.727:
	v_mov_b32_e32 v7, 11
	v_cmp_eq_u16_sdwa s[34:35], s15, v7 src0_sel:BYTE_0 src1_sel:DWORD
	s_mov_b64 s[0:1], -1
	s_and_b64 vcc, exec, s[34:35]
	s_cbranch_vccz .LBB38_729
; %bb.728:
	v_cmp_ne_u16_e32 vcc, 0, v6
	v_cndmask_b32_e64 v6, 0, 1, vcc
	s_mov_b64 s[30:31], -1
	s_mov_b64 s[0:1], 0
	global_store_byte v[0:1], v6, off
.LBB38_729:
	s_mov_b64 s[34:35], 0
.LBB38_730:
	s_and_b64 vcc, exec, s[34:35]
	s_cbranch_vccz .LBB38_769
; %bb.731:
	v_mov_b32_e32 v6, 5
	v_cmp_lt_i16_sdwa s[34:35], s15, v6 src0_sel:BYTE_0 src1_sel:DWORD
	s_mov_b64 s[30:31], -1
	s_and_b64 vcc, exec, s[34:35]
	s_cbranch_vccnz .LBB38_752
; %bb.732:
	v_mov_b32_e32 v6, 8
	v_cmp_lt_i16_sdwa s[34:35], s15, v6 src0_sel:BYTE_0 src1_sel:DWORD
	s_and_b64 vcc, exec, s[34:35]
	s_cbranch_vccnz .LBB38_742
; %bb.733:
	v_mov_b32_e32 v6, 9
	v_cmp_lt_i16_sdwa s[34:35], s15, v6 src0_sel:BYTE_0 src1_sel:DWORD
	s_and_b64 vcc, exec, s[34:35]
	s_cbranch_vccnz .LBB38_739
; %bb.734:
	v_cmp_gt_i16_sdwa s[34:35], s15, v6 src0_sel:BYTE_0 src1_sel:DWORD
	s_and_b64 vcc, exec, s[34:35]
	s_cbranch_vccz .LBB38_736
; %bb.735:
	v_lshlrev_b32_e32 v6, 16, v5
	v_mov_b32_e32 v8, 0
	v_cvt_f64_f32_e32 v[6:7], v6
	v_mov_b32_e32 v9, v8
	s_mov_b64 s[30:31], 0
	global_store_dwordx4 v[0:1], v[6:9], off
.LBB38_736:
	s_andn2_b64 vcc, exec, s[30:31]
	s_cbranch_vccnz .LBB38_738
; %bb.737:
	v_lshlrev_b32_e32 v6, 16, v5
	v_mov_b32_e32 v7, 0
	global_store_dwordx2 v[0:1], v[6:7], off
.LBB38_738:
	s_mov_b64 s[30:31], 0
.LBB38_739:
	s_andn2_b64 vcc, exec, s[30:31]
	s_cbranch_vccnz .LBB38_741
; %bb.740:
	v_lshlrev_b32_e32 v6, 16, v5
	v_cvt_f16_f32_e32 v6, v6
	global_store_dword v[0:1], v6, off
.LBB38_741:
	s_mov_b64 s[30:31], 0
.LBB38_742:
	s_andn2_b64 vcc, exec, s[30:31]
	s_cbranch_vccnz .LBB38_751
; %bb.743:
	v_mov_b32_e32 v6, 6
	v_cmp_lt_i16_sdwa s[34:35], s15, v6 src0_sel:BYTE_0 src1_sel:DWORD
	s_mov_b64 s[30:31], -1
	s_and_b64 vcc, exec, s[34:35]
	s_cbranch_vccnz .LBB38_749
; %bb.744:
	v_cmp_gt_i16_sdwa s[34:35], s15, v6 src0_sel:BYTE_0 src1_sel:DWORD
	s_and_b64 vcc, exec, s[34:35]
	s_cbranch_vccz .LBB38_746
; %bb.745:
	v_lshlrev_b32_e32 v6, 16, v5
	v_cvt_f64_f32_e32 v[6:7], v6
	s_mov_b64 s[30:31], 0
	global_store_dwordx2 v[0:1], v[6:7], off
.LBB38_746:
	s_andn2_b64 vcc, exec, s[30:31]
	s_cbranch_vccnz .LBB38_748
; %bb.747:
	v_lshlrev_b32_e32 v6, 16, v5
	global_store_dword v[0:1], v6, off
.LBB38_748:
	s_mov_b64 s[30:31], 0
.LBB38_749:
	s_andn2_b64 vcc, exec, s[30:31]
	s_cbranch_vccnz .LBB38_751
; %bb.750:
	v_lshlrev_b32_e32 v6, 16, v5
	v_cvt_f16_f32_e32 v6, v6
	global_store_short v[0:1], v6, off
.LBB38_751:
	s_mov_b64 s[30:31], 0
.LBB38_752:
	s_andn2_b64 vcc, exec, s[30:31]
	s_cbranch_vccnz .LBB38_768
; %bb.753:
	v_mov_b32_e32 v6, 2
	v_cmp_lt_i16_sdwa s[34:35], s15, v6 src0_sel:BYTE_0 src1_sel:DWORD
	s_mov_b64 s[30:31], -1
	s_and_b64 vcc, exec, s[34:35]
	s_cbranch_vccnz .LBB38_763
; %bb.754:
	v_mov_b32_e32 v6, 3
	v_cmp_lt_i16_sdwa s[34:35], s15, v6 src0_sel:BYTE_0 src1_sel:DWORD
	s_and_b64 vcc, exec, s[34:35]
	s_cbranch_vccnz .LBB38_760
; %bb.755:
	v_cmp_gt_i16_sdwa s[34:35], s15, v6 src0_sel:BYTE_0 src1_sel:DWORD
	s_and_b64 vcc, exec, s[34:35]
	s_cbranch_vccz .LBB38_757
; %bb.756:
	v_lshlrev_b32_e32 v6, 16, v5
	v_trunc_f32_e32 v6, v6
	s_mov_b32 s30, 0x2f800000
	v_mul_f32_e64 v7, |v6|, s30
	v_floor_f32_e32 v7, v7
	s_mov_b32 s30, 0xcf800000
	v_cvt_u32_f32_e32 v8, v7
	v_fma_f32 v7, v7, s30, |v6|
	v_cvt_u32_f32_e32 v7, v7
	v_ashrrev_i32_e32 v9, 31, v6
	v_xor_b32_e32 v8, v8, v9
	s_mov_b64 s[30:31], 0
	v_xor_b32_e32 v6, v7, v9
	v_sub_co_u32_e32 v6, vcc, v6, v9
	v_subb_co_u32_e32 v7, vcc, v8, v9, vcc
	global_store_dwordx2 v[0:1], v[6:7], off
.LBB38_757:
	s_andn2_b64 vcc, exec, s[30:31]
	s_cbranch_vccnz .LBB38_759
; %bb.758:
	v_lshlrev_b32_e32 v6, 16, v5
	v_cvt_i32_f32_e32 v6, v6
	global_store_dword v[0:1], v6, off
.LBB38_759:
	s_mov_b64 s[30:31], 0
.LBB38_760:
	s_andn2_b64 vcc, exec, s[30:31]
	s_cbranch_vccnz .LBB38_762
; %bb.761:
	v_lshlrev_b32_e32 v6, 16, v5
	v_cvt_i32_f32_e32 v6, v6
	global_store_short v[0:1], v6, off
.LBB38_762:
	s_mov_b64 s[30:31], 0
.LBB38_763:
	s_andn2_b64 vcc, exec, s[30:31]
	s_cbranch_vccnz .LBB38_768
; %bb.764:
	v_mov_b32_e32 v6, 0
	v_cmp_gt_i16_sdwa s[34:35], s15, v6 src0_sel:BYTE_0 src1_sel:DWORD
	s_mov_b64 s[30:31], -1
	s_and_b64 vcc, exec, s[34:35]
	v_lshlrev_b32_e32 v5, 16, v5
	s_cbranch_vccz .LBB38_766
; %bb.765:
	v_cvt_i32_f32_e32 v6, v5
	s_mov_b64 s[30:31], 0
	global_store_byte v[0:1], v6, off
.LBB38_766:
	s_andn2_b64 vcc, exec, s[30:31]
	s_cbranch_vccnz .LBB38_768
; %bb.767:
	v_trunc_f32_e32 v5, v5
	s_mov_b32 s30, 0x2f800000
	v_mul_f32_e64 v6, |v5|, s30
	v_floor_f32_e32 v6, v6
	s_mov_b32 s30, 0xcf800000
	v_fma_f32 v6, v6, s30, |v5|
	v_cvt_u32_f32_e32 v6, v6
	v_ashrrev_i32_e32 v5, 31, v5
	v_xor_b32_e32 v6, v6, v5
	v_sub_u32_e32 v5, v6, v5
	global_store_byte v[0:1], v5, off
.LBB38_768:
	s_mov_b64 s[30:31], -1
.LBB38_769:
	s_andn2_b64 vcc, exec, s[30:31]
	s_cbranch_vccnz .LBB38_771
; %bb.770:
	v_add_u32_e32 v2, 0x80, v2
	s_mov_b64 s[34:35], -1
	s_branch .LBB38_773
.LBB38_771:
	s_mov_b64 s[34:35], 0
.LBB38_772:
                                        ; implicit-def: $vgpr2
.LBB38_773:
	s_andn2_b64 s[30:31], s[22:23], exec
	s_and_b64 s[0:1], s[0:1], exec
	s_or_b64 s[30:31], s[30:31], s[0:1]
	s_andn2_b64 s[0:1], s[20:21], exec
	s_and_b64 s[28:29], s[28:29], exec
	s_or_b64 s[0:1], s[0:1], s[28:29]
	s_orn2_b64 s[36:37], s[34:35], exec
.LBB38_774:
	s_or_b64 exec, exec, s[26:27]
	s_mov_b64 s[34:35], 0
	s_mov_b64 s[28:29], 0
	;; [unrolled: 1-line block ×3, first 2 shown]
                                        ; implicit-def: $vgpr0_vgpr1
                                        ; implicit-def: $vgpr6
	s_and_saveexec_b64 s[26:27], s[36:37]
	s_cbranch_execz .LBB38_859
; %bb.775:
	v_cmp_gt_i32_e32 vcc, s33, v2
	s_mov_b64 s[36:37], 0
	s_mov_b64 s[40:41], s[0:1]
	;; [unrolled: 1-line block ×3, first 2 shown]
                                        ; implicit-def: $vgpr0_vgpr1
                                        ; implicit-def: $vgpr6
	s_and_saveexec_b64 s[28:29], vcc
	s_cbranch_execz .LBB38_858
; %bb.776:
	v_mul_lo_u32 v0, v2, s13
	v_ashrrev_i32_e32 v1, 31, v0
	s_waitcnt vmcnt(0)
	v_mov_b32_e32 v5, s11
	v_add_co_u32_e32 v0, vcc, s10, v0
	v_addc_co_u32_e32 v1, vcc, v5, v1, vcc
	v_cmp_gt_i16_e32 vcc, 11, v3
	s_cbranch_vccnz .LBB38_783
; %bb.777:
	v_cmp_lt_i16_e32 vcc, 25, v3
	s_cbranch_vccz .LBB38_784
; %bb.778:
	v_cmp_lt_i16_e32 vcc, 28, v3
	s_cbranch_vccz .LBB38_785
	;; [unrolled: 3-line block ×4, first 2 shown]
; %bb.781:
	v_cmp_eq_u16_e32 vcc, 46, v3
	s_mov_b64 s[40:41], 0
	s_cbranch_vccz .LBB38_792
; %bb.782:
	global_load_dword v6, v[0:1], off
	s_mov_b64 s[38:39], -1
	s_branch .LBB38_794
.LBB38_783:
	s_mov_b64 s[40:41], -1
                                        ; implicit-def: $vgpr6
	s_mov_b64 s[34:35], s[0:1]
	s_branch .LBB38_857
.LBB38_784:
	s_mov_b64 s[40:41], -1
	s_mov_b64 s[34:35], s[0:1]
                                        ; implicit-def: $vgpr6
	s_branch .LBB38_823
.LBB38_785:
	s_mov_b64 s[40:41], -1
	s_mov_b64 s[34:35], s[0:1]
                                        ; implicit-def: $vgpr6
	s_branch .LBB38_804
.LBB38_786:
	s_mov_b64 s[40:41], -1
	s_mov_b64 s[34:35], s[0:1]
                                        ; implicit-def: $vgpr6
	s_branch .LBB38_799
.LBB38_787:
	s_or_saveexec_b64 s[36:37], s[36:37]
                                        ; implicit-def: $sgpr38
	s_xor_b64 exec, exec, s[36:37]
	s_cbranch_execz .LBB38_682
.LBB38_788:
	s_mov_b32 s38, 0x46000000
	v_add_f32_e64 v8, |v9|, s38
	v_and_b32_e32 v8, 0xff, v8
	v_cmp_ne_u32_e32 vcc, 0, v8
	s_andn2_b64 s[34:35], s[34:35], exec
	s_and_b64 s[40:41], vcc, exec
	s_mov_b32 s38, 0
	s_or_b64 s[34:35], s[34:35], s[40:41]
	s_or_b64 exec, exec, s[36:37]
	v_mov_b32_e32 v10, s38
	s_and_saveexec_b64 s[36:37], s[34:35]
	s_cbranch_execnz .LBB38_683
	s_branch .LBB38_684
.LBB38_789:
	s_mov_b64 s[40:41], -1
	s_mov_b64 s[34:35], s[0:1]
	s_branch .LBB38_793
.LBB38_790:
	s_or_saveexec_b64 s[36:37], s[36:37]
                                        ; implicit-def: $sgpr38
	s_xor_b64 exec, exec, s[36:37]
	s_cbranch_execz .LBB38_695
.LBB38_791:
	s_mov_b32 s38, 0x42800000
	v_add_f32_e64 v8, |v9|, s38
	v_and_b32_e32 v8, 0xff, v8
	v_cmp_ne_u32_e32 vcc, 0, v8
	s_andn2_b64 s[34:35], s[34:35], exec
	s_and_b64 s[40:41], vcc, exec
	s_mov_b32 s38, 0
	s_or_b64 s[34:35], s[34:35], s[40:41]
	s_or_b64 exec, exec, s[36:37]
	v_mov_b32_e32 v10, s38
	s_and_saveexec_b64 s[36:37], s[34:35]
	s_cbranch_execnz .LBB38_696
	s_branch .LBB38_697
.LBB38_792:
	s_mov_b64 s[34:35], -1
.LBB38_793:
                                        ; implicit-def: $vgpr6
.LBB38_794:
	s_and_b64 vcc, exec, s[40:41]
	s_cbranch_vccz .LBB38_798
; %bb.795:
	v_cmp_eq_u16_e32 vcc, 44, v3
	s_cbranch_vccz .LBB38_797
; %bb.796:
	global_load_ubyte v5, v[0:1], off
	s_movk_i32 s33, 0xff
	s_waitcnt vmcnt(1)
	v_mov_b32_e32 v6, 0x7f800001
	v_mov_b32_e32 v7, 0x400000
	;; [unrolled: 1-line block ×3, first 2 shown]
	s_mov_b64 s[34:35], 0
	s_mov_b64 s[38:39], -1
	s_waitcnt vmcnt(0)
	v_lshlrev_b32_e32 v9, 23, v5
	v_cmp_ne_u32_e32 vcc, s33, v5
	v_cndmask_b32_e32 v6, v6, v9, vcc
	v_cmp_ne_u32_e32 vcc, 0, v5
	v_cndmask_b32_e32 v5, v7, v6, vcc
	v_add_u32_e32 v6, 0x7fff, v5
	v_lshrrev_b32_e32 v6, 16, v6
	v_cmp_o_f32_e32 vcc, v5, v5
	v_cndmask_b32_e32 v6, v8, v6, vcc
	s_branch .LBB38_798
.LBB38_797:
	s_mov_b64 s[34:35], -1
                                        ; implicit-def: $vgpr6
.LBB38_798:
	s_mov_b64 s[40:41], 0
.LBB38_799:
	s_and_b64 vcc, exec, s[40:41]
	s_cbranch_vccz .LBB38_803
; %bb.800:
	v_cmp_eq_u16_e32 vcc, 29, v3
	s_cbranch_vccz .LBB38_802
; %bb.801:
	global_load_dwordx2 v[6:7], v[0:1], off
	s_movk_i32 s33, 0x7fff
	s_mov_b64 s[34:35], 0
	s_mov_b64 s[38:39], -1
	s_mov_b64 s[40:41], 0
	s_waitcnt vmcnt(0)
	v_ffbh_u32_e32 v5, v7
	v_min_u32_e32 v5, 32, v5
	v_lshlrev_b64 v[6:7], v5, v[6:7]
	v_min_u32_e32 v6, 1, v6
	v_or_b32_e32 v6, v7, v6
	v_cvt_f32_u32_e32 v6, v6
	v_sub_u32_e32 v5, 32, v5
	v_ldexp_f32 v5, v6, v5
	v_bfe_u32 v6, v5, 16, 1
	v_add3_u32 v5, v5, v6, s33
	v_lshrrev_b32_e32 v6, 16, v5
	s_branch .LBB38_804
.LBB38_802:
	s_mov_b64 s[34:35], -1
                                        ; implicit-def: $vgpr6
.LBB38_803:
	s_mov_b64 s[40:41], 0
.LBB38_804:
	s_and_b64 vcc, exec, s[40:41]
	s_cbranch_vccz .LBB38_822
; %bb.805:
	v_cmp_gt_i16_e32 vcc, 27, v3
	s_cbranch_vccnz .LBB38_808
; %bb.806:
	v_cmp_lt_i16_e32 vcc, 27, v3
	s_cbranch_vccz .LBB38_809
; %bb.807:
	global_load_dword v5, v[0:1], off
	s_movk_i32 s33, 0x7fff
	s_mov_b64 s[38:39], 0
	s_waitcnt vmcnt(0)
	v_cvt_f32_u32_e32 v5, v5
	v_bfe_u32 v6, v5, 16, 1
	v_add3_u32 v5, v5, v6, s33
	v_lshrrev_b32_e32 v6, 16, v5
	s_branch .LBB38_810
.LBB38_808:
	s_mov_b64 s[38:39], -1
                                        ; implicit-def: $vgpr6
	s_branch .LBB38_813
.LBB38_809:
	s_mov_b64 s[38:39], -1
                                        ; implicit-def: $vgpr6
.LBB38_810:
	s_andn2_b64 vcc, exec, s[38:39]
	s_cbranch_vccnz .LBB38_812
; %bb.811:
	global_load_ushort v5, v[0:1], off
	s_movk_i32 s33, 0x7fff
	s_waitcnt vmcnt(0)
	v_cvt_f32_u32_e32 v5, v5
	v_bfe_u32 v6, v5, 16, 1
	v_add3_u32 v5, v5, v6, s33
	v_lshrrev_b32_e32 v6, 16, v5
.LBB38_812:
	s_mov_b64 s[38:39], 0
.LBB38_813:
	s_andn2_b64 vcc, exec, s[38:39]
	s_cbranch_vccnz .LBB38_821
; %bb.814:
	global_load_ubyte v5, v[0:1], off
	s_movk_i32 s33, 0x7f
	s_mov_b64 s[38:39], 0
	s_waitcnt vmcnt(0)
	v_cmp_lt_i16_e32 vcc, s33, v5
                                        ; implicit-def: $sgpr33
	s_and_saveexec_b64 s[40:41], vcc
	s_xor_b64 s[40:41], exec, s[40:41]
	s_cbranch_execz .LBB38_835
; %bb.815:
	s_movk_i32 s33, 0x80
	v_cmp_eq_u16_e32 vcc, s33, v5
	s_mov_b64 s[38:39], -1
                                        ; implicit-def: $sgpr33
	s_and_saveexec_b64 s[42:43], vcc
; %bb.816:
	s_mov_b32 s33, 0x7f800001
	s_xor_b64 s[38:39], exec, -1
; %bb.817:
	s_or_b64 exec, exec, s[42:43]
	s_and_b64 s[38:39], s[38:39], exec
	s_or_saveexec_b64 s[40:41], s[40:41]
	v_mov_b32_e32 v6, s33
	s_xor_b64 exec, exec, s[40:41]
	s_cbranch_execnz .LBB38_836
.LBB38_818:
	s_or_b64 exec, exec, s[40:41]
	s_and_saveexec_b64 s[40:41], s[38:39]
	s_cbranch_execz .LBB38_820
.LBB38_819:
	v_lshlrev_b32_e32 v6, 24, v5
	v_and_b32_e32 v5, 0xffff, v5
	v_and_b32_e32 v7, 7, v5
	v_ffbh_u32_e32 v9, v7
	v_min_u32_e32 v9, 32, v9
	v_subrev_u32_e32 v10, 28, v9
	v_bfe_u32 v8, v5, 3, 4
	v_lshlrev_b32_e32 v5, v10, v5
	v_sub_u32_e32 v9, 29, v9
	v_and_b32_e32 v5, 7, v5
	v_cmp_eq_u32_e32 vcc, 0, v8
	v_cndmask_b32_e32 v8, v8, v9, vcc
	v_cndmask_b32_e32 v5, v7, v5, vcc
	v_mov_b32_e32 v7, 0x3b800000
	v_lshlrev_b32_e32 v5, 20, v5
	v_and_b32_e32 v6, 0x80000000, v6
	v_lshl_add_u32 v7, v8, 23, v7
	v_or3_b32 v6, v6, v7, v5
.LBB38_820:
	s_or_b64 exec, exec, s[40:41]
	v_bfe_u32 v5, v6, 16, 1
	s_movk_i32 s33, 0x7fff
	v_add3_u32 v5, v6, v5, s33
	v_lshrrev_b32_e32 v5, 16, v5
	v_mov_b32_e32 v7, 0x7fc0
	v_cmp_o_f32_e32 vcc, v6, v6
	v_cndmask_b32_e32 v6, v7, v5, vcc
.LBB38_821:
	s_mov_b64 s[38:39], -1
.LBB38_822:
	s_mov_b64 s[40:41], 0
.LBB38_823:
	s_and_b64 vcc, exec, s[40:41]
	s_cbranch_vccz .LBB38_856
; %bb.824:
	v_cmp_lt_i16_e32 vcc, 22, v3
	s_cbranch_vccz .LBB38_834
; %bb.825:
	v_cmp_gt_i16_e32 vcc, 24, v3
	s_cbranch_vccnz .LBB38_837
; %bb.826:
	v_cmp_lt_i16_e32 vcc, 24, v3
	s_cbranch_vccz .LBB38_838
; %bb.827:
	global_load_ubyte v5, v[0:1], off
	s_movk_i32 s33, 0x7f
	s_waitcnt vmcnt(0)
	v_cmp_lt_i16_e32 vcc, s33, v5
                                        ; implicit-def: $sgpr33
	s_and_saveexec_b64 s[38:39], vcc
	s_xor_b64 s[38:39], exec, s[38:39]
	s_cbranch_execz .LBB38_850
; %bb.828:
	s_movk_i32 s33, 0x80
	v_cmp_eq_u16_e32 vcc, s33, v5
	s_mov_b64 s[36:37], -1
                                        ; implicit-def: $sgpr33
	s_and_saveexec_b64 s[40:41], vcc
; %bb.829:
	s_mov_b32 s33, 0x7f800001
	s_xor_b64 s[36:37], exec, -1
; %bb.830:
	s_or_b64 exec, exec, s[40:41]
	s_and_b64 s[36:37], s[36:37], exec
	s_or_saveexec_b64 s[38:39], s[38:39]
	v_mov_b32_e32 v6, s33
	s_xor_b64 exec, exec, s[38:39]
	s_cbranch_execnz .LBB38_851
.LBB38_831:
	s_or_b64 exec, exec, s[38:39]
	s_and_saveexec_b64 s[38:39], s[36:37]
	s_cbranch_execz .LBB38_833
.LBB38_832:
	v_lshlrev_b32_e32 v6, 24, v5
	v_and_b32_e32 v5, 0xffff, v5
	v_and_b32_e32 v7, 3, v5
	v_ffbh_u32_e32 v9, v7
	v_min_u32_e32 v9, 32, v9
	v_subrev_u32_e32 v10, 29, v9
	v_bfe_u32 v8, v5, 2, 5
	v_lshlrev_b32_e32 v5, v10, v5
	v_sub_u32_e32 v9, 30, v9
	v_and_b32_e32 v5, 3, v5
	v_cmp_eq_u32_e32 vcc, 0, v8
	v_cndmask_b32_e32 v8, v8, v9, vcc
	v_cndmask_b32_e32 v5, v7, v5, vcc
	v_mov_b32_e32 v7, 0x37800000
	v_lshlrev_b32_e32 v5, 21, v5
	v_and_b32_e32 v6, 0x80000000, v6
	v_lshl_add_u32 v7, v8, 23, v7
	v_or3_b32 v6, v6, v7, v5
.LBB38_833:
	s_or_b64 exec, exec, s[38:39]
	v_bfe_u32 v5, v6, 16, 1
	s_movk_i32 s33, 0x7fff
	v_add3_u32 v5, v6, v5, s33
	v_lshrrev_b32_e32 v5, 16, v5
	v_mov_b32_e32 v7, 0x7fc0
	v_cmp_o_f32_e32 vcc, v6, v6
	v_cndmask_b32_e32 v6, v7, v5, vcc
	s_mov_b64 s[36:37], 0
	s_branch .LBB38_839
.LBB38_834:
	s_mov_b64 s[36:37], -1
                                        ; implicit-def: $vgpr6
	s_branch .LBB38_845
.LBB38_835:
	s_or_saveexec_b64 s[40:41], s[40:41]
	v_mov_b32_e32 v6, s33
	s_xor_b64 exec, exec, s[40:41]
	s_cbranch_execz .LBB38_818
.LBB38_836:
	v_cmp_ne_u16_e32 vcc, 0, v5
	s_andn2_b64 s[38:39], s[38:39], exec
	s_and_b64 s[42:43], vcc, exec
	v_mov_b32_e32 v6, 0
	s_or_b64 s[38:39], s[38:39], s[42:43]
	s_or_b64 exec, exec, s[40:41]
	s_and_saveexec_b64 s[40:41], s[38:39]
	s_cbranch_execnz .LBB38_819
	s_branch .LBB38_820
.LBB38_837:
	s_mov_b64 s[36:37], -1
                                        ; implicit-def: $vgpr6
	s_branch .LBB38_842
.LBB38_838:
	s_mov_b64 s[36:37], -1
                                        ; implicit-def: $vgpr6
.LBB38_839:
	s_and_b64 vcc, exec, s[36:37]
	s_cbranch_vccz .LBB38_841
; %bb.840:
	global_load_ubyte v5, v[0:1], off
	s_mov_b32 s33, 0x7f800000
	s_brev_b32 s36, 1
	s_movk_i32 s37, 0x7fff
	s_waitcnt vmcnt(1)
	v_mov_b32_e32 v6, 0x7fc0
	s_waitcnt vmcnt(0)
	v_lshlrev_b32_e32 v5, 24, v5
	v_and_b32_e32 v7, 0x7f000000, v5
	v_ffbh_u32_e32 v8, v7
	v_min_u32_e32 v8, 32, v8
	v_sub_u32_e64 v8, v8, 4 clamp
	v_lshlrev_b32_e32 v10, v8, v7
	v_lshlrev_b32_e32 v8, 23, v8
	v_lshrrev_b32_e32 v10, 4, v10
	v_add_u32_e32 v9, 0x1000000, v7
	v_sub_u32_e32 v8, v10, v8
	v_ashrrev_i32_e32 v9, 8, v9
	v_add_u32_e32 v8, 0x3c000000, v8
	v_and_or_b32 v8, v9, s33, v8
	v_cmp_ne_u32_e32 vcc, 0, v7
	v_cndmask_b32_e32 v7, 0, v8, vcc
	v_and_or_b32 v5, v5, s36, v7
	v_bfe_u32 v7, v7, 16, 1
	v_add3_u32 v7, v5, v7, s37
	v_lshrrev_b32_e32 v7, 16, v7
	v_cmp_o_f32_e32 vcc, v5, v5
	v_cndmask_b32_e32 v6, v6, v7, vcc
.LBB38_841:
	s_mov_b64 s[36:37], 0
.LBB38_842:
	s_andn2_b64 vcc, exec, s[36:37]
	s_cbranch_vccnz .LBB38_844
; %bb.843:
	global_load_ubyte v5, v[0:1], off
	s_movk_i32 s33, 0x7f00
	s_brev_b32 s36, 16
	s_brev_b32 s37, 1
	s_movk_i32 s38, 0x7fff
	s_waitcnt vmcnt(1)
	v_mov_b32_e32 v6, 0x7fc0
	s_waitcnt vmcnt(0)
	v_lshlrev_b16_e32 v7, 8, v5
	v_lshlrev_b32_e32 v5, 25, v5
	v_lshrrev_b32_e32 v8, 4, v5
	v_and_or_b32 v9, v7, s33, 0.5
	v_or_b32_e32 v8, 0x70000000, v8
	v_add_f32_e32 v9, -0.5, v9
	v_mul_f32_e32 v8, 0x7800000, v8
	v_cmp_gt_u32_e32 vcc, s36, v5
	v_bfe_i32 v7, v7, 0, 16
	v_cndmask_b32_e32 v5, v8, v9, vcc
	v_and_or_b32 v7, v7, s37, v5
	v_bfe_u32 v5, v5, 16, 1
	v_add3_u32 v5, v7, v5, s38
	v_lshrrev_b32_e32 v5, 16, v5
	v_cmp_o_f32_e32 vcc, v7, v7
	v_cndmask_b32_e32 v6, v6, v5, vcc
.LBB38_844:
	s_mov_b64 s[36:37], 0
	s_mov_b64 s[38:39], -1
.LBB38_845:
	s_andn2_b64 vcc, exec, s[36:37]
	s_mov_b64 s[36:37], 0
	s_cbranch_vccnz .LBB38_856
; %bb.846:
	v_cmp_lt_i16_e32 vcc, 14, v3
	s_cbranch_vccz .LBB38_849
; %bb.847:
	v_cmp_eq_u16_e32 vcc, 15, v3
	s_cbranch_vccz .LBB38_852
; %bb.848:
	global_load_ushort v6, v[0:1], off
	s_mov_b64 s[34:35], 0
	s_mov_b64 s[38:39], -1
	s_branch .LBB38_853
.LBB38_849:
	s_mov_b64 s[40:41], -1
                                        ; implicit-def: $vgpr6
	s_branch .LBB38_854
.LBB38_850:
	s_or_saveexec_b64 s[38:39], s[38:39]
	v_mov_b32_e32 v6, s33
	s_xor_b64 exec, exec, s[38:39]
	s_cbranch_execz .LBB38_831
.LBB38_851:
	v_cmp_ne_u16_e32 vcc, 0, v5
	s_andn2_b64 s[36:37], s[36:37], exec
	s_and_b64 s[40:41], vcc, exec
	v_mov_b32_e32 v6, 0
	s_or_b64 s[36:37], s[36:37], s[40:41]
	s_or_b64 exec, exec, s[38:39]
	s_and_saveexec_b64 s[38:39], s[36:37]
	s_cbranch_execnz .LBB38_832
	s_branch .LBB38_833
.LBB38_852:
	s_mov_b64 s[34:35], -1
                                        ; implicit-def: $vgpr6
.LBB38_853:
	s_mov_b64 s[40:41], 0
.LBB38_854:
	s_and_b64 vcc, exec, s[40:41]
	s_cbranch_vccz .LBB38_856
; %bb.855:
	v_cmp_ne_u16_e32 vcc, 11, v3
	s_andn2_b64 s[34:35], s[34:35], exec
	s_and_b64 s[40:41], vcc, exec
	s_mov_b64 s[36:37], -1
	s_or_b64 s[34:35], s[34:35], s[40:41]
                                        ; implicit-def: $vgpr6
.LBB38_856:
	s_mov_b64 s[40:41], 0
.LBB38_857:
	s_and_b64 s[42:43], s[40:41], exec
	s_andn2_b64 s[40:41], s[0:1], exec
	s_and_b64 s[34:35], s[34:35], exec
	s_and_b64 s[38:39], s[38:39], exec
	;; [unrolled: 1-line block ×3, first 2 shown]
	s_or_b64 s[40:41], s[40:41], s[34:35]
.LBB38_858:
	s_or_b64 exec, exec, s[28:29]
	s_and_b64 s[34:35], s[36:37], exec
	s_andn2_b64 s[0:1], s[0:1], exec
	s_and_b64 s[36:37], s[40:41], exec
	s_and_b64 s[38:39], s[38:39], exec
	;; [unrolled: 1-line block ×3, first 2 shown]
	s_or_b64 s[0:1], s[0:1], s[36:37]
.LBB38_859:
	s_or_b64 exec, exec, s[26:27]
	s_andn2_b64 s[22:23], s[22:23], exec
	s_and_b64 s[26:27], s[30:31], exec
	s_andn2_b64 s[20:21], s[20:21], exec
	s_and_b64 s[0:1], s[0:1], exec
	s_or_b64 s[22:23], s[22:23], s[26:27]
	s_and_b64 s[30:31], s[38:39], exec
	s_and_b64 s[28:29], s[28:29], exec
	;; [unrolled: 1-line block ×3, first 2 shown]
	s_or_b64 s[20:21], s[20:21], s[0:1]
.LBB38_860:
	s_or_b64 exec, exec, s[24:25]
	s_andn2_b64 s[0:1], s[6:7], exec
	s_and_b64 s[6:7], s[22:23], exec
	s_andn2_b64 s[16:17], s[16:17], exec
	s_and_b64 s[20:21], s[20:21], exec
	s_or_b64 s[6:7], s[0:1], s[6:7]
	s_and_b64 s[0:1], s[30:31], exec
	s_and_b64 s[24:25], s[28:29], exec
	;; [unrolled: 1-line block ×3, first 2 shown]
	s_or_b64 s[16:17], s[16:17], s[20:21]
	s_or_b64 exec, exec, s[18:19]
	s_mov_b64 s[18:19], 0
	s_and_saveexec_b64 s[20:21], s[16:17]
	s_cbranch_execz .LBB38_262
.LBB38_861:
	s_mov_b64 s[18:19], exec
	s_andn2_b64 s[22:23], s[22:23], exec
	s_trap 2
                                        ; implicit-def: $vgpr6
	s_or_b64 exec, exec, s[20:21]
	s_and_saveexec_b64 s[16:17], s[22:23]
	s_xor_b64 s[16:17], exec, s[16:17]
	s_cbranch_execnz .LBB38_263
.LBB38_862:
	s_or_b64 exec, exec, s[16:17]
	s_and_saveexec_b64 s[16:17], s[24:25]
	s_cbranch_execz .LBB38_908
.LBB38_863:
	v_cmp_gt_i16_e32 vcc, 5, v3
	s_cbranch_vccnz .LBB38_868
; %bb.864:
	v_cmp_gt_i16_e32 vcc, 8, v3
	s_cbranch_vccnz .LBB38_869
; %bb.865:
	;; [unrolled: 3-line block ×3, first 2 shown]
	v_cmp_lt_i16_e32 vcc, 9, v3
	s_cbranch_vccz .LBB38_871
; %bb.867:
	global_load_dwordx2 v[6:7], v[0:1], off
	s_movk_i32 s20, 0x7fff
	s_waitcnt vmcnt(1)
	v_mov_b32_e32 v5, 0x7fc0
	s_waitcnt vmcnt(0)
	v_cvt_f32_f64_e32 v6, v[6:7]
	v_bfe_u32 v7, v6, 16, 1
	v_add3_u32 v7, v6, v7, s20
	v_lshrrev_b32_e32 v7, 16, v7
	v_cmp_o_f32_e32 vcc, v6, v6
	v_cndmask_b32_e32 v6, v5, v7, vcc
	s_mov_b64 s[20:21], 0
	s_branch .LBB38_872
.LBB38_868:
                                        ; implicit-def: $vgpr6
	s_branch .LBB38_889
.LBB38_869:
                                        ; implicit-def: $vgpr6
	s_branch .LBB38_878
.LBB38_870:
	s_mov_b64 s[20:21], -1
                                        ; implicit-def: $vgpr6
	s_branch .LBB38_875
.LBB38_871:
	s_mov_b64 s[20:21], -1
                                        ; implicit-def: $vgpr6
.LBB38_872:
	s_andn2_b64 vcc, exec, s[20:21]
	s_cbranch_vccnz .LBB38_874
; %bb.873:
	global_load_dword v5, v[0:1], off
	s_movk_i32 s20, 0x7fff
	s_waitcnt vmcnt(1)
	v_mov_b32_e32 v6, 0x7fc0
	s_waitcnt vmcnt(0)
	v_bfe_u32 v7, v5, 16, 1
	v_add3_u32 v7, v5, v7, s20
	v_lshrrev_b32_e32 v7, 16, v7
	v_cmp_o_f32_e32 vcc, v5, v5
	v_cndmask_b32_e32 v6, v6, v7, vcc
.LBB38_874:
	s_mov_b64 s[20:21], 0
.LBB38_875:
	s_andn2_b64 vcc, exec, s[20:21]
	s_cbranch_vccnz .LBB38_877
; %bb.876:
	global_load_dword v5, v[0:1], off
	s_movk_i32 s20, 0x7fff
	v_mov_b32_e32 v7, 0x7fc0
	s_waitcnt vmcnt(0)
	v_cvt_f32_f16_e32 v6, v5
	v_cmp_o_f16_e32 vcc, v5, v5
	v_bfe_u32 v8, v6, 16, 1
	v_add3_u32 v6, v6, v8, s20
	v_lshrrev_b32_e32 v6, 16, v6
	v_cndmask_b32_e32 v6, v7, v6, vcc
.LBB38_877:
	s_cbranch_execnz .LBB38_888
.LBB38_878:
	v_cmp_gt_i16_e32 vcc, 6, v3
	s_cbranch_vccnz .LBB38_881
; %bb.879:
	v_cmp_lt_i16_e32 vcc, 6, v3
	s_cbranch_vccz .LBB38_882
; %bb.880:
	global_load_dwordx2 v[6:7], v[0:1], off
	s_movk_i32 s20, 0x7fff
	s_waitcnt vmcnt(1)
	v_mov_b32_e32 v5, 0x7fc0
	s_waitcnt vmcnt(0)
	v_cvt_f32_f64_e32 v6, v[6:7]
	v_bfe_u32 v7, v6, 16, 1
	v_add3_u32 v7, v6, v7, s20
	v_lshrrev_b32_e32 v7, 16, v7
	v_cmp_o_f32_e32 vcc, v6, v6
	v_cndmask_b32_e32 v6, v5, v7, vcc
	s_mov_b64 s[20:21], 0
	s_branch .LBB38_883
.LBB38_881:
	s_mov_b64 s[20:21], -1
                                        ; implicit-def: $vgpr6
	s_branch .LBB38_886
.LBB38_882:
	s_mov_b64 s[20:21], -1
                                        ; implicit-def: $vgpr6
.LBB38_883:
	s_andn2_b64 vcc, exec, s[20:21]
	s_cbranch_vccnz .LBB38_885
; %bb.884:
	global_load_dword v5, v[0:1], off
	s_movk_i32 s20, 0x7fff
	s_waitcnt vmcnt(1)
	v_mov_b32_e32 v6, 0x7fc0
	s_waitcnt vmcnt(0)
	v_bfe_u32 v7, v5, 16, 1
	v_add3_u32 v7, v5, v7, s20
	v_lshrrev_b32_e32 v7, 16, v7
	v_cmp_o_f32_e32 vcc, v5, v5
	v_cndmask_b32_e32 v6, v6, v7, vcc
.LBB38_885:
	s_mov_b64 s[20:21], 0
.LBB38_886:
	s_andn2_b64 vcc, exec, s[20:21]
	s_cbranch_vccnz .LBB38_888
; %bb.887:
	global_load_ushort v5, v[0:1], off
	s_movk_i32 s20, 0x7fff
	v_mov_b32_e32 v7, 0x7fc0
	s_waitcnt vmcnt(0)
	v_cvt_f32_f16_e32 v6, v5
	v_cmp_o_f16_e32 vcc, v5, v5
	v_bfe_u32 v8, v6, 16, 1
	v_add3_u32 v6, v6, v8, s20
	v_lshrrev_b32_e32 v6, 16, v6
	v_cndmask_b32_e32 v6, v7, v6, vcc
.LBB38_888:
	s_cbranch_execnz .LBB38_907
.LBB38_889:
	v_cmp_gt_i16_e32 vcc, 2, v3
	s_cbranch_vccnz .LBB38_893
; %bb.890:
	v_cmp_gt_i16_e32 vcc, 3, v3
	s_cbranch_vccnz .LBB38_894
; %bb.891:
	v_cmp_lt_i16_e32 vcc, 3, v3
	s_cbranch_vccz .LBB38_895
; %bb.892:
	global_load_dwordx2 v[6:7], v[0:1], off
	s_movk_i32 s20, 0x7fff
	s_waitcnt vmcnt(0)
	v_xor_b32_e32 v8, v6, v7
	v_ffbh_i32_e32 v5, v7
	v_ashrrev_i32_e32 v8, 31, v8
	v_add_u32_e32 v5, -1, v5
	v_add_u32_e32 v8, 32, v8
	v_min_u32_e32 v5, v5, v8
	v_lshlrev_b64 v[6:7], v5, v[6:7]
	v_min_u32_e32 v6, 1, v6
	v_or_b32_e32 v6, v7, v6
	v_cvt_f32_i32_e32 v6, v6
	v_sub_u32_e32 v5, 32, v5
	v_ldexp_f32 v5, v6, v5
	v_bfe_u32 v6, v5, 16, 1
	v_add3_u32 v5, v5, v6, s20
	v_lshrrev_b32_e32 v6, 16, v5
	s_mov_b64 s[20:21], 0
	s_branch .LBB38_896
.LBB38_893:
                                        ; implicit-def: $vgpr6
	s_branch .LBB38_902
.LBB38_894:
	s_mov_b64 s[20:21], -1
                                        ; implicit-def: $vgpr6
	s_branch .LBB38_899
.LBB38_895:
	s_mov_b64 s[20:21], -1
                                        ; implicit-def: $vgpr6
.LBB38_896:
	s_andn2_b64 vcc, exec, s[20:21]
	s_cbranch_vccnz .LBB38_898
; %bb.897:
	global_load_dword v5, v[0:1], off
	s_movk_i32 s20, 0x7fff
	s_waitcnt vmcnt(0)
	v_cvt_f32_i32_e32 v5, v5
	v_bfe_u32 v6, v5, 16, 1
	v_add3_u32 v5, v5, v6, s20
	v_lshrrev_b32_e32 v6, 16, v5
.LBB38_898:
	s_mov_b64 s[20:21], 0
.LBB38_899:
	s_andn2_b64 vcc, exec, s[20:21]
	s_cbranch_vccnz .LBB38_901
; %bb.900:
	global_load_sshort v5, v[0:1], off
	s_movk_i32 s20, 0x7fff
	s_waitcnt vmcnt(0)
	v_cvt_f32_i32_e32 v5, v5
	v_bfe_u32 v6, v5, 16, 1
	v_add3_u32 v5, v5, v6, s20
	v_lshrrev_b32_e32 v6, 16, v5
.LBB38_901:
	s_cbranch_execnz .LBB38_907
.LBB38_902:
	v_cmp_lt_i16_e32 vcc, 0, v3
	s_cbranch_vccz .LBB38_904
; %bb.903:
	global_load_sbyte v3, v[0:1], off
	s_movk_i32 s20, 0x7fff
	s_waitcnt vmcnt(0)
	v_cvt_f32_i32_e32 v3, v3
	v_bfe_u32 v5, v3, 16, 1
	v_add3_u32 v3, v3, v5, s20
	v_lshrrev_b32_e32 v6, 16, v3
	s_mov_b64 s[20:21], 0
	s_branch .LBB38_905
.LBB38_904:
	s_mov_b64 s[20:21], -1
                                        ; implicit-def: $vgpr6
.LBB38_905:
	s_andn2_b64 vcc, exec, s[20:21]
	s_cbranch_vccnz .LBB38_907
; %bb.906:
	global_load_ubyte v0, v[0:1], off
	s_movk_i32 s20, 0x7fff
	s_waitcnt vmcnt(0)
	v_cvt_f32_ubyte0_e32 v0, v0
	v_bfe_u32 v1, v0, 16, 1
	v_add3_u32 v0, v0, v1, s20
	v_lshrrev_b32_e32 v6, 16, v0
.LBB38_907:
	s_or_b64 s[0:1], s[0:1], exec
.LBB38_908:
	s_or_b64 exec, exec, s[16:17]
	s_mov_b64 s[22:23], 0
	s_mov_b64 s[20:21], 0
                                        ; implicit-def: $vgpr5
                                        ; implicit-def: $vgpr0_vgpr1
                                        ; implicit-def: $vgpr3
                                        ; implicit-def: $vgpr7
	s_and_saveexec_b64 s[16:17], s[0:1]
	s_cbranch_execz .LBB38_926
; %bb.909:
	v_mul_lo_u32 v0, v2, s12
	v_ashrrev_i32_e32 v1, 31, v0
	v_mov_b32_e32 v2, s9
	v_add_co_u32_e32 v0, vcc, s8, v0
	v_addc_co_u32_e32 v1, vcc, v2, v1, vcc
	v_mov_b32_e32 v2, 0xff
	s_waitcnt vmcnt(0)
	v_and_b32_e32 v5, s15, v2
	v_and_b32_e32 v7, 0x7fff, v6
	v_cmp_gt_i16_e32 vcc, 11, v5
	v_or_b32_e32 v3, v7, v4
	s_cbranch_vccnz .LBB38_929
; %bb.910:
	v_cmp_lt_i16_e32 vcc, 25, v5
	s_mov_b64 s[22:23], -1
	s_mov_b64 s[0:1], s[6:7]
	s_cbranch_vccz .LBB38_947
; %bb.911:
	v_cmp_lt_i16_e32 vcc, 28, v5
	s_mov_b64 s[20:21], -1
	s_mov_b64 s[0:1], s[6:7]
	s_cbranch_vccz .LBB38_931
; %bb.912:
	v_cmp_lt_i16_e32 vcc, 43, v5
	s_mov_b64 s[0:1], s[6:7]
	s_cbranch_vccz .LBB38_923
; %bb.913:
	v_cmp_lt_i16_e32 vcc, 45, v5
	s_mov_b64 s[0:1], s[6:7]
	s_cbranch_vccz .LBB38_917
; %bb.914:
	v_cmp_eq_u16_e32 vcc, 46, v5
	s_mov_b64 s[0:1], -1
	s_cbranch_vccz .LBB38_916
; %bb.915:
	v_and_b32_e32 v2, 0xffff, v3
	global_store_dword v[0:1], v2, off
	s_mov_b64 s[0:1], 0
.LBB38_916:
	s_mov_b64 s[20:21], 0
.LBB38_917:
	s_and_b64 vcc, exec, s[20:21]
	s_cbranch_vccz .LBB38_922
; %bb.918:
	v_cmp_eq_u16_e32 vcc, 44, v5
	s_mov_b64 s[0:1], -1
	s_cbranch_vccz .LBB38_922
; %bb.919:
	v_and_b32_e32 v4, 0xffff, v3
	v_bfe_u32 v2, v4, 7, 8
	s_movk_i32 s0, 0xff
	v_cmp_ne_u32_e32 vcc, s0, v2
	v_mov_b32_e32 v6, 0xff
	s_and_saveexec_b64 s[20:21], vcc
; %bb.920:
	v_lshlrev_b32_e32 v8, 16, v4
	s_mov_b32 s0, 0x3f0000
	v_lshrrev_b32_e32 v6, 7, v4
	v_and_b32_e32 v4, 64, v4
	v_and_or_b32 v2, v8, s0, v2
	v_cmp_ne_u32_e32 vcc, 0, v4
	v_cmp_ne_u32_e64 s[0:1], 0, v2
	s_and_b64 s[0:1], vcc, s[0:1]
	v_cndmask_b32_e64 v2, 0, 1, s[0:1]
	v_add_u32_e32 v6, v6, v2
; %bb.921:
	s_or_b64 exec, exec, s[20:21]
	s_mov_b64 s[0:1], 0
	global_store_byte v[0:1], v6, off
.LBB38_922:
	s_mov_b64 s[20:21], 0
.LBB38_923:
	s_and_b64 vcc, exec, s[20:21]
	s_cbranch_vccz .LBB38_930
; %bb.924:
	v_cmp_eq_u16_e32 vcc, 29, v5
	s_mov_b64 s[0:1], -1
	s_cbranch_vccz .LBB38_930
; %bb.925:
	v_lshlrev_b32_e32 v2, 16, v3
	v_trunc_f32_e32 v2, v2
	v_mul_f32_e32 v4, 0x2f800000, v2
	v_floor_f32_e32 v4, v4
	v_fmac_f32_e32 v2, 0xcf800000, v4
	v_cvt_u32_f32_e32 v9, v4
	v_cvt_u32_f32_e32 v8, v2
	s_mov_b64 s[0:1], 0
	s_mov_b64 s[20:21], 0
	global_store_dwordx2 v[0:1], v[8:9], off
	s_branch .LBB38_931
.LBB38_926:
	s_or_b64 exec, exec, s[16:17]
	s_and_saveexec_b64 s[0:1], s[6:7]
	s_cbranch_execnz .LBB38_989
.LBB38_927:
	s_or_b64 exec, exec, s[0:1]
	s_and_saveexec_b64 s[0:1], s[22:23]
	s_xor_b64 s[0:1], exec, s[0:1]
	s_cbranch_execz .LBB38_990
.LBB38_928:
	v_cmp_ne_u16_e32 vcc, 0, v7
	v_cndmask_b32_e64 v2, 0, 1, vcc
	global_store_byte v[0:1], v2, off
	s_or_b64 exec, exec, s[0:1]
	s_and_saveexec_b64 s[0:1], s[20:21]
	s_xor_b64 s[0:1], exec, s[0:1]
	s_cbranch_execz .LBB38_1028
	s_branch .LBB38_991
.LBB38_929:
	s_mov_b64 s[20:21], -1
	s_mov_b64 s[0:1], s[6:7]
	s_branch .LBB38_988
.LBB38_930:
	s_mov_b64 s[20:21], 0
.LBB38_931:
	s_and_b64 vcc, exec, s[20:21]
	s_cbranch_vccz .LBB38_946
; %bb.932:
	v_cmp_gt_i16_e32 vcc, 27, v5
	s_mov_b64 s[20:21], -1
	s_cbranch_vccnz .LBB38_938
; %bb.933:
	v_cmp_lt_i16_e32 vcc, 27, v5
	s_cbranch_vccz .LBB38_935
; %bb.934:
	v_lshlrev_b32_e32 v2, 16, v3
	v_cvt_u32_f32_e32 v2, v2
	s_mov_b64 s[20:21], 0
	global_store_dword v[0:1], v2, off
.LBB38_935:
	s_andn2_b64 vcc, exec, s[20:21]
	s_cbranch_vccnz .LBB38_937
; %bb.936:
	v_lshlrev_b32_e32 v2, 16, v3
	v_cvt_u32_f32_e32 v2, v2
	global_store_short v[0:1], v2, off
.LBB38_937:
	s_mov_b64 s[20:21], 0
.LBB38_938:
	s_andn2_b64 vcc, exec, s[20:21]
	s_cbranch_vccnz .LBB38_946
; %bb.939:
	v_lshlrev_b32_e32 v6, 16, v3
	v_and_b32_e32 v4, 0x7fffffff, v6
	s_mov_b32 s20, 0x43800000
	v_cmp_gt_u32_e32 vcc, s20, v4
	v_mov_b32_e32 v8, 0x80
	s_and_saveexec_b64 s[20:21], vcc
	s_cbranch_execz .LBB38_945
; %bb.940:
	s_mov_b32 s22, 0x3bffffff
	v_and_b32_e32 v2, 0xffff, v3
	v_cmp_lt_u32_e32 vcc, s22, v4
	s_mov_b64 s[22:23], 0
                                        ; implicit-def: $vgpr4
	s_and_saveexec_b64 s[24:25], vcc
	s_xor_b64 s[24:25], exec, s[24:25]
	s_cbranch_execz .LBB38_1043
; %bb.941:
	v_bfe_u32 v4, v2, 4, 1
	s_mov_b32 s26, 0x487ffff
	v_add3_u32 v4, v6, v4, s26
	s_mov_b64 s[22:23], exec
	v_lshrrev_b32_e32 v4, 20, v4
                                        ; implicit-def: $vgpr6
	s_or_saveexec_b64 s[24:25], s[24:25]
                                        ; implicit-def: $sgpr26
	s_xor_b64 exec, exec, s[24:25]
	s_cbranch_execnz .LBB38_1044
.LBB38_942:
	s_or_b64 exec, exec, s[24:25]
	v_mov_b32_e32 v8, s26
	s_and_saveexec_b64 s[24:25], s[22:23]
.LBB38_943:
	v_lshrrev_b32_e32 v2, 8, v2
	s_movk_i32 s22, 0x80
	v_and_or_b32 v8, v2, s22, v4
.LBB38_944:
	s_or_b64 exec, exec, s[24:25]
.LBB38_945:
	s_or_b64 exec, exec, s[20:21]
	global_store_byte v[0:1], v8, off
.LBB38_946:
	s_mov_b64 s[22:23], 0
.LBB38_947:
	s_mov_b64 s[20:21], 0
	s_and_b64 vcc, exec, s[22:23]
	s_cbranch_vccz .LBB38_987
; %bb.948:
	v_cmp_lt_i16_e32 vcc, 22, v5
	s_mov_b64 s[22:23], -1
	s_cbranch_vccz .LBB38_980
; %bb.949:
	v_cmp_gt_i16_e32 vcc, 24, v5
	s_cbranch_vccnz .LBB38_969
; %bb.950:
	v_cmp_lt_i16_e32 vcc, 24, v5
	s_cbranch_vccz .LBB38_958
; %bb.951:
	v_lshlrev_b32_e32 v6, 16, v3
	v_and_b32_e32 v4, 0x7fffffff, v6
	s_mov_b32 s22, 0x47800000
	v_cmp_gt_u32_e32 vcc, s22, v4
	v_mov_b32_e32 v8, 0x80
	s_and_saveexec_b64 s[22:23], vcc
	s_cbranch_execz .LBB38_957
; %bb.952:
	s_mov_b32 s24, 0x37ffffff
	v_and_b32_e32 v2, 0xffff, v3
	v_cmp_lt_u32_e32 vcc, s24, v4
	s_mov_b64 s[24:25], 0
                                        ; implicit-def: $vgpr4
	s_and_saveexec_b64 s[26:27], vcc
	s_xor_b64 s[26:27], exec, s[26:27]
	s_cbranch_execz .LBB38_1167
; %bb.953:
	v_bfe_u32 v4, v2, 5, 1
	s_mov_b32 s28, 0x88fffff
	v_add3_u32 v4, v6, v4, s28
	s_mov_b64 s[24:25], exec
	v_lshrrev_b32_e32 v4, 21, v4
                                        ; implicit-def: $vgpr6
	s_or_saveexec_b64 s[26:27], s[26:27]
                                        ; implicit-def: $sgpr28
	s_xor_b64 exec, exec, s[26:27]
	s_cbranch_execnz .LBB38_1168
.LBB38_954:
	s_or_b64 exec, exec, s[26:27]
	v_mov_b32_e32 v8, s28
	s_and_saveexec_b64 s[26:27], s[24:25]
.LBB38_955:
	v_lshrrev_b32_e32 v2, 8, v2
	s_movk_i32 s24, 0x80
	v_and_or_b32 v8, v2, s24, v4
.LBB38_956:
	s_or_b64 exec, exec, s[26:27]
.LBB38_957:
	s_or_b64 exec, exec, s[22:23]
	s_mov_b64 s[22:23], 0
	global_store_byte v[0:1], v8, off
.LBB38_958:
	s_and_b64 vcc, exec, s[22:23]
	s_cbranch_vccz .LBB38_968
; %bb.959:
	v_lshlrev_b32_e32 v6, 16, v3
	v_and_b32_e32 v8, 0x7fffffff, v6
	s_mov_b32 s22, 0x43f00000
	v_and_b32_e32 v2, 0xffff, v3
	v_cmp_gt_u32_e32 vcc, s22, v8
                                        ; implicit-def: $vgpr4
	s_and_saveexec_b64 s[22:23], vcc
	s_xor_b64 s[22:23], exec, s[22:23]
	s_cbranch_execz .LBB38_965
; %bb.960:
	s_mov_b32 s24, 0x3c7fffff
	v_cmp_lt_u32_e32 vcc, s24, v8
                                        ; implicit-def: $vgpr4
	s_and_saveexec_b64 s[24:25], vcc
	s_xor_b64 s[24:25], exec, s[24:25]
; %bb.961:
	v_bfe_u32 v4, v2, 4, 1
	s_mov_b32 s26, 0x407ffff
	v_add3_u32 v4, v6, v4, s26
	v_lshrrev_b32_e32 v6, 20, v4
	v_and_b32_e32 v4, 0xff00000, v4
	s_mov_b32 s26, 0x7f00000
	v_mov_b32_e32 v8, 0x7e
	v_cmp_ne_u32_e32 vcc, s26, v4
	v_cndmask_b32_e32 v4, v8, v6, vcc
                                        ; implicit-def: $vgpr6
; %bb.962:
	s_andn2_saveexec_b64 s[24:25], s[24:25]
; %bb.963:
	s_mov_b32 s26, 0x46800000
	v_add_f32_e64 v4, |v6|, s26
; %bb.964:
	s_or_b64 exec, exec, s[24:25]
                                        ; implicit-def: $vgpr8
.LBB38_965:
	s_andn2_saveexec_b64 s[22:23], s[22:23]
; %bb.966:
	s_mov_b32 s24, 0x7f800000
	v_mov_b32_e32 v4, 0x7e
	v_mov_b32_e32 v6, 0x7f
	v_cmp_lt_u32_e32 vcc, s24, v8
	v_cndmask_b32_e32 v4, v4, v6, vcc
; %bb.967:
	s_or_b64 exec, exec, s[22:23]
	v_lshrrev_b32_e32 v2, 8, v2
	s_movk_i32 s22, 0x80
	v_and_or_b32 v2, v2, s22, v4
	global_store_byte v[0:1], v2, off
.LBB38_968:
	s_mov_b64 s[22:23], 0
.LBB38_969:
	s_andn2_b64 vcc, exec, s[22:23]
	s_cbranch_vccnz .LBB38_979
; %bb.970:
	v_lshlrev_b32_e32 v6, 16, v3
	v_and_b32_e32 v8, 0x7fffffff, v6
	s_mov_b32 s22, 0x47800000
	v_and_b32_e32 v2, 0xffff, v3
	v_cmp_gt_u32_e32 vcc, s22, v8
                                        ; implicit-def: $vgpr4
	s_and_saveexec_b64 s[22:23], vcc
	s_xor_b64 s[22:23], exec, s[22:23]
	s_cbranch_execz .LBB38_976
; %bb.971:
	s_mov_b32 s24, 0x387fffff
	v_cmp_lt_u32_e32 vcc, s24, v8
                                        ; implicit-def: $vgpr4
	s_and_saveexec_b64 s[24:25], vcc
	s_xor_b64 s[24:25], exec, s[24:25]
; %bb.972:
	v_bfe_u32 v4, v2, 5, 1
	s_mov_b32 s26, 0x80fffff
	v_add3_u32 v4, v6, v4, s26
	v_lshrrev_b32_e32 v4, 21, v4
                                        ; implicit-def: $vgpr6
; %bb.973:
	s_andn2_saveexec_b64 s[24:25], s[24:25]
; %bb.974:
	s_mov_b32 s26, 0x43000000
	v_add_f32_e64 v4, |v6|, s26
; %bb.975:
	s_or_b64 exec, exec, s[24:25]
                                        ; implicit-def: $vgpr8
.LBB38_976:
	s_andn2_saveexec_b64 s[22:23], s[22:23]
; %bb.977:
	s_mov_b32 s24, 0x7f800000
	v_mov_b32_e32 v4, 0x7c
	v_mov_b32_e32 v6, 0x7f
	v_cmp_lt_u32_e32 vcc, s24, v8
	v_cndmask_b32_e32 v4, v4, v6, vcc
; %bb.978:
	s_or_b64 exec, exec, s[22:23]
	v_lshrrev_b32_e32 v2, 8, v2
	s_movk_i32 s22, 0x80
	v_and_or_b32 v2, v2, s22, v4
	global_store_byte v[0:1], v2, off
.LBB38_979:
	s_mov_b64 s[22:23], 0
.LBB38_980:
	s_andn2_b64 vcc, exec, s[22:23]
	s_mov_b64 s[22:23], 0
	s_cbranch_vccnz .LBB38_988
; %bb.981:
	v_cmp_lt_i16_e32 vcc, 14, v5
	s_mov_b64 s[24:25], -1
	s_cbranch_vccz .LBB38_985
; %bb.982:
	v_cmp_eq_u16_e32 vcc, 15, v5
	s_mov_b64 s[0:1], -1
	s_cbranch_vccz .LBB38_984
; %bb.983:
	global_store_short v[0:1], v3, off
	s_mov_b64 s[0:1], 0
.LBB38_984:
	s_mov_b64 s[24:25], 0
.LBB38_985:
	s_and_b64 vcc, exec, s[24:25]
	s_cbranch_vccz .LBB38_988
; %bb.986:
	v_cmp_ne_u16_e32 vcc, 11, v5
	s_andn2_b64 s[0:1], s[0:1], exec
	s_and_b64 s[24:25], vcc, exec
	s_mov_b64 s[22:23], -1
	s_or_b64 s[0:1], s[0:1], s[24:25]
	s_branch .LBB38_988
.LBB38_987:
	s_mov_b64 s[22:23], 0
.LBB38_988:
	s_andn2_b64 s[6:7], s[6:7], exec
	s_and_b64 s[0:1], s[0:1], exec
	s_and_b64 s[20:21], s[20:21], exec
	;; [unrolled: 1-line block ×3, first 2 shown]
	s_or_b64 s[6:7], s[6:7], s[0:1]
	s_or_b64 exec, exec, s[16:17]
	s_and_saveexec_b64 s[0:1], s[6:7]
	s_cbranch_execz .LBB38_927
.LBB38_989:
	s_or_b64 s[18:19], s[18:19], exec
	s_andn2_b64 s[22:23], s[22:23], exec
	s_trap 2
	s_or_b64 exec, exec, s[0:1]
	s_and_saveexec_b64 s[0:1], s[22:23]
	s_xor_b64 s[0:1], exec, s[0:1]
	s_cbranch_execnz .LBB38_928
.LBB38_990:
	s_or_b64 exec, exec, s[0:1]
	s_and_saveexec_b64 s[0:1], s[20:21]
	s_xor_b64 s[0:1], exec, s[0:1]
	s_cbranch_execz .LBB38_1028
.LBB38_991:
	s_waitcnt vmcnt(0)
	v_cmp_gt_i16_e32 vcc, 5, v5
	s_mov_b64 s[6:7], -1
	s_cbranch_vccnz .LBB38_1012
; %bb.992:
	v_cmp_gt_i16_e32 vcc, 8, v5
	s_cbranch_vccnz .LBB38_1002
; %bb.993:
	v_cmp_gt_i16_e32 vcc, 9, v5
	s_cbranch_vccnz .LBB38_999
; %bb.994:
	v_cmp_lt_i16_e32 vcc, 9, v5
	s_cbranch_vccz .LBB38_996
; %bb.995:
	v_lshlrev_b32_e32 v2, 16, v3
	v_mov_b32_e32 v8, 0
	v_cvt_f64_f32_e32 v[6:7], v2
	v_mov_b32_e32 v9, v8
	s_mov_b64 s[6:7], 0
	global_store_dwordx4 v[0:1], v[6:9], off
.LBB38_996:
	s_andn2_b64 vcc, exec, s[6:7]
	s_cbranch_vccnz .LBB38_998
; %bb.997:
	v_lshlrev_b32_e32 v6, 16, v3
	v_mov_b32_e32 v7, 0
	global_store_dwordx2 v[0:1], v[6:7], off
.LBB38_998:
	s_mov_b64 s[6:7], 0
.LBB38_999:
	s_andn2_b64 vcc, exec, s[6:7]
	s_cbranch_vccnz .LBB38_1001
; %bb.1000:
	v_lshlrev_b32_e32 v2, 16, v3
	v_cvt_f16_f32_e32 v2, v2
	global_store_dword v[0:1], v2, off
.LBB38_1001:
	s_mov_b64 s[6:7], 0
.LBB38_1002:
	s_andn2_b64 vcc, exec, s[6:7]
	s_cbranch_vccnz .LBB38_1011
; %bb.1003:
	v_cmp_gt_i16_e32 vcc, 6, v5
	s_mov_b64 s[6:7], -1
	s_cbranch_vccnz .LBB38_1009
; %bb.1004:
	v_cmp_lt_i16_e32 vcc, 6, v5
	s_cbranch_vccz .LBB38_1006
; %bb.1005:
	v_lshlrev_b32_e32 v2, 16, v3
	v_cvt_f64_f32_e32 v[6:7], v2
	s_mov_b64 s[6:7], 0
	global_store_dwordx2 v[0:1], v[6:7], off
.LBB38_1006:
	s_andn2_b64 vcc, exec, s[6:7]
	s_cbranch_vccnz .LBB38_1008
; %bb.1007:
	v_lshlrev_b32_e32 v2, 16, v3
	global_store_dword v[0:1], v2, off
.LBB38_1008:
	s_mov_b64 s[6:7], 0
.LBB38_1009:
	s_andn2_b64 vcc, exec, s[6:7]
	s_cbranch_vccnz .LBB38_1011
; %bb.1010:
	v_lshlrev_b32_e32 v2, 16, v3
	v_cvt_f16_f32_e32 v2, v2
	global_store_short v[0:1], v2, off
.LBB38_1011:
	s_mov_b64 s[6:7], 0
.LBB38_1012:
	s_andn2_b64 vcc, exec, s[6:7]
	s_cbranch_vccnz .LBB38_1028
; %bb.1013:
	v_cmp_gt_i16_e32 vcc, 2, v5
	s_mov_b64 s[6:7], -1
	s_cbranch_vccnz .LBB38_1023
; %bb.1014:
	v_cmp_gt_i16_e32 vcc, 3, v5
	s_cbranch_vccnz .LBB38_1020
; %bb.1015:
	v_cmp_lt_i16_e32 vcc, 3, v5
	s_cbranch_vccz .LBB38_1017
; %bb.1016:
	v_lshlrev_b32_e32 v2, 16, v3
	v_trunc_f32_e32 v2, v2
	s_mov_b32 s6, 0x2f800000
	v_mul_f32_e64 v4, |v2|, s6
	v_floor_f32_e32 v4, v4
	s_mov_b32 s6, 0xcf800000
	v_cvt_u32_f32_e32 v6, v4
	v_fma_f32 v4, v4, s6, |v2|
	v_cvt_u32_f32_e32 v4, v4
	v_ashrrev_i32_e32 v2, 31, v2
	v_xor_b32_e32 v7, v6, v2
	s_mov_b64 s[6:7], 0
	v_xor_b32_e32 v4, v4, v2
	v_sub_co_u32_e32 v6, vcc, v4, v2
	v_subb_co_u32_e32 v7, vcc, v7, v2, vcc
	global_store_dwordx2 v[0:1], v[6:7], off
.LBB38_1017:
	s_andn2_b64 vcc, exec, s[6:7]
	s_cbranch_vccnz .LBB38_1019
; %bb.1018:
	v_lshlrev_b32_e32 v2, 16, v3
	v_cvt_i32_f32_e32 v2, v2
	global_store_dword v[0:1], v2, off
.LBB38_1019:
	s_mov_b64 s[6:7], 0
.LBB38_1020:
	s_andn2_b64 vcc, exec, s[6:7]
	s_cbranch_vccnz .LBB38_1022
; %bb.1021:
	v_lshlrev_b32_e32 v2, 16, v3
	v_cvt_i32_f32_e32 v2, v2
	global_store_short v[0:1], v2, off
.LBB38_1022:
	s_mov_b64 s[6:7], 0
.LBB38_1023:
	s_andn2_b64 vcc, exec, s[6:7]
	s_cbranch_vccnz .LBB38_1028
; %bb.1024:
	v_cmp_lt_i16_e32 vcc, 0, v5
	s_mov_b64 s[6:7], -1
	v_lshlrev_b32_e32 v2, 16, v3
	s_cbranch_vccz .LBB38_1026
; %bb.1025:
	v_cvt_i32_f32_e32 v3, v2
	s_mov_b64 s[6:7], 0
	global_store_byte v[0:1], v3, off
.LBB38_1026:
	s_andn2_b64 vcc, exec, s[6:7]
	s_cbranch_vccnz .LBB38_1028
; %bb.1027:
	v_trunc_f32_e32 v2, v2
	s_mov_b32 s6, 0x2f800000
	v_mul_f32_e64 v3, |v2|, s6
	v_floor_f32_e32 v3, v3
	s_mov_b32 s6, 0xcf800000
	v_fma_f32 v3, v3, s6, |v2|
	v_cvt_u32_f32_e32 v3, v3
	v_ashrrev_i32_e32 v2, 31, v2
	v_xor_b32_e32 v3, v3, v2
	v_sub_u32_e32 v2, v3, v2
	global_store_byte v[0:1], v2, off
.LBB38_1028:
	s_or_b64 exec, exec, s[0:1]
	s_and_b64 s[6:7], s[18:19], exec
                                        ; implicit-def: $vgpr2
                                        ; implicit-def: $vgpr3
.LBB38_1029:
	s_or_saveexec_b64 s[4:5], s[4:5]
	s_mov_b64 s[0:1], 0
                                        ; implicit-def: $vgpr4
                                        ; implicit-def: $vgpr0_vgpr1
                                        ; implicit-def: $vgpr5
                                        ; implicit-def: $vgpr6
	s_xor_b64 exec, exec, s[4:5]
	s_cbranch_execz .LBB38_1996
; %bb.1030:
	s_waitcnt vmcnt(0)
	v_mul_lo_u32 v5, s13, v2
	v_ashrrev_i32_e32 v1, 31, v5
	v_mov_b32_e32 v4, s11
	v_add_co_u32_e32 v0, vcc, s10, v5
	v_addc_co_u32_e32 v1, vcc, v4, v1, vcc
	v_cmp_gt_i16_e64 s[0:1], 11, v3
	s_and_b64 vcc, exec, s[0:1]
	s_cbranch_vccnz .LBB38_1037
; %bb.1031:
	v_cmp_lt_i16_e32 vcc, 25, v3
	s_mov_b64 s[18:19], 0
	s_cbranch_vccz .LBB38_1039
; %bb.1032:
	v_cmp_lt_i16_e32 vcc, 28, v3
	s_cbranch_vccz .LBB38_1040
; %bb.1033:
	v_cmp_lt_i16_e32 vcc, 43, v3
	;; [unrolled: 3-line block ×3, first 2 shown]
	s_cbranch_vccz .LBB38_1042
; %bb.1035:
	v_cmp_eq_u16_e32 vcc, 46, v3
	s_mov_b64 s[16:17], 0
	s_cbranch_vccz .LBB38_1045
; %bb.1036:
	global_load_dword v4, v[0:1], off
	s_mov_b64 s[20:21], -1
	s_branch .LBB38_1046
.LBB38_1037:
	s_mov_b64 s[20:21], 0
                                        ; implicit-def: $vgpr4
	s_mov_b64 s[16:17], s[6:7]
	s_cbranch_execnz .LBB38_1108
.LBB38_1038:
	s_andn2_b64 vcc, exec, s[20:21]
	s_cbranch_vccz .LBB38_1153
	s_branch .LBB38_1994
.LBB38_1039:
	s_mov_b64 s[20:21], 0
                                        ; implicit-def: $vgpr4
	s_cbranch_execnz .LBB38_1073
	s_branch .LBB38_1104
.LBB38_1040:
	s_mov_b64 s[20:21], 0
                                        ; implicit-def: $vgpr4
	s_cbranch_execz .LBB38_1072
	s_branch .LBB38_1055
.LBB38_1041:
	s_mov_b64 s[20:21], 0
                                        ; implicit-def: $vgpr4
	s_cbranch_execnz .LBB38_1051
	s_branch .LBB38_1054
.LBB38_1042:
	s_mov_b64 s[16:17], -1
	s_mov_b64 s[20:21], 0
                                        ; implicit-def: $vgpr4
	s_branch .LBB38_1046
.LBB38_1043:
	s_or_saveexec_b64 s[24:25], s[24:25]
                                        ; implicit-def: $sgpr26
	s_xor_b64 exec, exec, s[24:25]
	s_cbranch_execz .LBB38_942
.LBB38_1044:
	s_mov_b32 s26, 0x46000000
	v_add_f32_e64 v4, |v6|, s26
	v_and_b32_e32 v4, 0xff, v4
	v_cmp_ne_u32_e32 vcc, 0, v4
	s_andn2_b64 s[22:23], s[22:23], exec
	s_and_b64 s[28:29], vcc, exec
	s_mov_b32 s26, 0
	s_or_b64 s[22:23], s[22:23], s[28:29]
	s_or_b64 exec, exec, s[24:25]
	v_mov_b32_e32 v8, s26
	s_and_saveexec_b64 s[24:25], s[22:23]
	s_cbranch_execnz .LBB38_943
	s_branch .LBB38_944
.LBB38_1045:
	s_mov_b64 s[2:3], -1
                                        ; implicit-def: $vgpr4
	s_mov_b64 s[20:21], 0
.LBB38_1046:
	s_and_b64 vcc, exec, s[16:17]
	s_cbranch_vccz .LBB38_1049
; %bb.1047:
	v_cmp_eq_u16_e32 vcc, 44, v3
	s_cbranch_vccz .LBB38_1050
; %bb.1048:
	global_load_ubyte v4, v[0:1], off
	s_movk_i32 s16, 0xff
	v_mov_b32_e32 v6, 0x7f800001
	v_mov_b32_e32 v7, 0x400000
	;; [unrolled: 1-line block ×3, first 2 shown]
	s_mov_b64 s[2:3], 0
	s_mov_b64 s[20:21], -1
	s_waitcnt vmcnt(0)
	v_lshlrev_b32_e32 v9, 23, v4
	v_cmp_ne_u32_e32 vcc, s16, v4
	v_cndmask_b32_e32 v6, v6, v9, vcc
	v_cmp_ne_u32_e32 vcc, 0, v4
	v_cndmask_b32_e32 v4, v7, v6, vcc
	v_add_u32_e32 v6, 0x7fff, v4
	v_lshrrev_b32_e32 v6, 16, v6
	v_cmp_o_f32_e32 vcc, v4, v4
	v_cndmask_b32_e32 v4, v8, v6, vcc
.LBB38_1049:
	s_branch .LBB38_1054
.LBB38_1050:
	s_mov_b64 s[2:3], -1
                                        ; implicit-def: $vgpr4
	s_branch .LBB38_1054
.LBB38_1051:
	v_cmp_eq_u16_e32 vcc, 29, v3
	s_cbranch_vccz .LBB38_1053
; %bb.1052:
	global_load_dwordx2 v[6:7], v[0:1], off
	s_movk_i32 s16, 0x7fff
	s_mov_b64 s[2:3], 0
	s_mov_b64 s[20:21], -1
	s_waitcnt vmcnt(0)
	v_ffbh_u32_e32 v4, v7
	v_min_u32_e32 v4, 32, v4
	v_lshlrev_b64 v[6:7], v4, v[6:7]
	v_min_u32_e32 v6, 1, v6
	v_or_b32_e32 v6, v7, v6
	v_cvt_f32_u32_e32 v6, v6
	v_sub_u32_e32 v4, 32, v4
	v_ldexp_f32 v4, v6, v4
	v_bfe_u32 v6, v4, 16, 1
	v_add3_u32 v4, v4, v6, s16
	v_lshrrev_b32_e32 v4, 16, v4
	s_branch .LBB38_1054
.LBB38_1053:
	s_mov_b64 s[2:3], -1
                                        ; implicit-def: $vgpr4
.LBB38_1054:
	s_branch .LBB38_1072
.LBB38_1055:
	v_cmp_gt_i16_e32 vcc, 27, v3
	s_cbranch_vccnz .LBB38_1058
; %bb.1056:
	v_cmp_lt_i16_e32 vcc, 27, v3
	s_cbranch_vccz .LBB38_1059
; %bb.1057:
	global_load_dword v4, v[0:1], off
	s_movk_i32 s16, 0x7fff
	s_waitcnt vmcnt(0)
	v_cvt_f32_u32_e32 v4, v4
	v_bfe_u32 v6, v4, 16, 1
	v_add3_u32 v4, v4, v6, s16
	v_lshrrev_b32_e32 v4, 16, v4
	s_mov_b64 s[16:17], 0
	s_branch .LBB38_1060
.LBB38_1058:
	s_mov_b64 s[16:17], -1
                                        ; implicit-def: $vgpr4
	s_branch .LBB38_1063
.LBB38_1059:
	s_mov_b64 s[16:17], -1
                                        ; implicit-def: $vgpr4
.LBB38_1060:
	s_andn2_b64 vcc, exec, s[16:17]
	s_cbranch_vccnz .LBB38_1062
; %bb.1061:
	global_load_ushort v4, v[0:1], off
	s_movk_i32 s16, 0x7fff
	s_waitcnt vmcnt(0)
	v_cvt_f32_u32_e32 v4, v4
	v_bfe_u32 v6, v4, 16, 1
	v_add3_u32 v4, v4, v6, s16
	v_lshrrev_b32_e32 v4, 16, v4
.LBB38_1062:
	s_mov_b64 s[16:17], 0
.LBB38_1063:
	s_andn2_b64 vcc, exec, s[16:17]
	s_cbranch_vccnz .LBB38_1071
; %bb.1064:
	global_load_ubyte v4, v[0:1], off
	s_movk_i32 s16, 0x7f
                                        ; implicit-def: $sgpr24
	s_waitcnt vmcnt(0)
	v_cmp_lt_i16_e32 vcc, s16, v4
	s_mov_b64 s[16:17], 0
	s_and_saveexec_b64 s[20:21], vcc
	s_xor_b64 s[20:21], exec, s[20:21]
	s_cbranch_execz .LBB38_1084
; %bb.1065:
	s_movk_i32 s16, 0x80
	v_cmp_eq_u16_e32 vcc, s16, v4
	s_mov_b64 s[16:17], -1
                                        ; implicit-def: $sgpr24
	s_and_saveexec_b64 s[22:23], vcc
; %bb.1066:
	s_mov_b32 s24, 0x7f800001
	s_xor_b64 s[16:17], exec, -1
; %bb.1067:
	s_or_b64 exec, exec, s[22:23]
	s_and_b64 s[16:17], s[16:17], exec
	s_or_saveexec_b64 s[20:21], s[20:21]
	v_mov_b32_e32 v6, s24
	s_xor_b64 exec, exec, s[20:21]
	s_cbranch_execnz .LBB38_1085
.LBB38_1068:
	s_or_b64 exec, exec, s[20:21]
	s_and_saveexec_b64 s[20:21], s[16:17]
	s_cbranch_execz .LBB38_1070
.LBB38_1069:
	v_lshlrev_b32_e32 v6, 24, v4
	v_and_b32_e32 v4, 0xffff, v4
	v_and_b32_e32 v7, 7, v4
	v_ffbh_u32_e32 v9, v7
	v_min_u32_e32 v9, 32, v9
	v_subrev_u32_e32 v10, 28, v9
	v_bfe_u32 v8, v4, 3, 4
	v_lshlrev_b32_e32 v4, v10, v4
	v_sub_u32_e32 v9, 29, v9
	v_and_b32_e32 v4, 7, v4
	v_cmp_eq_u32_e32 vcc, 0, v8
	v_cndmask_b32_e32 v8, v8, v9, vcc
	v_cndmask_b32_e32 v4, v7, v4, vcc
	v_mov_b32_e32 v7, 0x3b800000
	v_lshlrev_b32_e32 v4, 20, v4
	v_and_b32_e32 v6, 0x80000000, v6
	v_lshl_add_u32 v7, v8, 23, v7
	v_or3_b32 v6, v6, v7, v4
.LBB38_1070:
	s_or_b64 exec, exec, s[20:21]
	v_bfe_u32 v4, v6, 16, 1
	s_movk_i32 s16, 0x7fff
	v_add3_u32 v4, v6, v4, s16
	v_lshrrev_b32_e32 v4, 16, v4
	v_mov_b32_e32 v7, 0x7fc0
	v_cmp_o_f32_e32 vcc, v6, v6
	v_cndmask_b32_e32 v4, v7, v4, vcc
.LBB38_1071:
	s_mov_b64 s[20:21], -1
.LBB38_1072:
	s_branch .LBB38_1104
.LBB38_1073:
	v_cmp_lt_i16_e32 vcc, 22, v3
	s_cbranch_vccz .LBB38_1083
; %bb.1074:
	v_cmp_gt_i16_e32 vcc, 24, v3
	s_cbranch_vccnz .LBB38_1086
; %bb.1075:
	v_cmp_lt_i16_e32 vcc, 24, v3
	s_cbranch_vccz .LBB38_1087
; %bb.1076:
	global_load_ubyte v4, v[0:1], off
	s_movk_i32 s16, 0x7f
                                        ; implicit-def: $sgpr22
	s_waitcnt vmcnt(0)
	v_cmp_lt_i16_e32 vcc, s16, v4
	s_mov_b64 s[16:17], 0
	s_and_saveexec_b64 s[18:19], vcc
	s_xor_b64 s[18:19], exec, s[18:19]
	s_cbranch_execz .LBB38_1098
; %bb.1077:
	s_movk_i32 s16, 0x80
	v_cmp_eq_u16_e32 vcc, s16, v4
	s_mov_b64 s[16:17], -1
                                        ; implicit-def: $sgpr22
	s_and_saveexec_b64 s[20:21], vcc
; %bb.1078:
	s_mov_b32 s22, 0x7f800001
	s_xor_b64 s[16:17], exec, -1
; %bb.1079:
	s_or_b64 exec, exec, s[20:21]
	s_and_b64 s[16:17], s[16:17], exec
	s_or_saveexec_b64 s[18:19], s[18:19]
	v_mov_b32_e32 v6, s22
	s_xor_b64 exec, exec, s[18:19]
	s_cbranch_execnz .LBB38_1099
.LBB38_1080:
	s_or_b64 exec, exec, s[18:19]
	s_and_saveexec_b64 s[18:19], s[16:17]
	s_cbranch_execz .LBB38_1082
.LBB38_1081:
	v_lshlrev_b32_e32 v6, 24, v4
	v_and_b32_e32 v4, 0xffff, v4
	v_and_b32_e32 v7, 3, v4
	v_ffbh_u32_e32 v9, v7
	v_min_u32_e32 v9, 32, v9
	v_subrev_u32_e32 v10, 29, v9
	v_bfe_u32 v8, v4, 2, 5
	v_lshlrev_b32_e32 v4, v10, v4
	v_sub_u32_e32 v9, 30, v9
	v_and_b32_e32 v4, 3, v4
	v_cmp_eq_u32_e32 vcc, 0, v8
	v_cndmask_b32_e32 v8, v8, v9, vcc
	v_cndmask_b32_e32 v4, v7, v4, vcc
	v_mov_b32_e32 v7, 0x37800000
	v_lshlrev_b32_e32 v4, 21, v4
	v_and_b32_e32 v6, 0x80000000, v6
	v_lshl_add_u32 v7, v8, 23, v7
	v_or3_b32 v6, v6, v7, v4
.LBB38_1082:
	s_or_b64 exec, exec, s[18:19]
	v_bfe_u32 v4, v6, 16, 1
	s_movk_i32 s16, 0x7fff
	v_add3_u32 v4, v6, v4, s16
	v_lshrrev_b32_e32 v4, 16, v4
	v_mov_b32_e32 v7, 0x7fc0
	v_cmp_o_f32_e32 vcc, v6, v6
	v_cndmask_b32_e32 v4, v7, v4, vcc
	s_mov_b64 s[16:17], 0
	s_branch .LBB38_1088
.LBB38_1083:
                                        ; implicit-def: $vgpr4
	s_mov_b64 s[18:19], 0
	s_branch .LBB38_1094
.LBB38_1084:
	s_or_saveexec_b64 s[20:21], s[20:21]
	v_mov_b32_e32 v6, s24
	s_xor_b64 exec, exec, s[20:21]
	s_cbranch_execz .LBB38_1068
.LBB38_1085:
	v_cmp_ne_u16_e32 vcc, 0, v4
	s_andn2_b64 s[16:17], s[16:17], exec
	s_and_b64 s[22:23], vcc, exec
	v_mov_b32_e32 v6, 0
	s_or_b64 s[16:17], s[16:17], s[22:23]
	s_or_b64 exec, exec, s[20:21]
	s_and_saveexec_b64 s[20:21], s[16:17]
	s_cbranch_execnz .LBB38_1069
	s_branch .LBB38_1070
.LBB38_1086:
	s_mov_b64 s[16:17], -1
                                        ; implicit-def: $vgpr4
	s_branch .LBB38_1091
.LBB38_1087:
	s_mov_b64 s[16:17], -1
                                        ; implicit-def: $vgpr4
.LBB38_1088:
	s_and_b64 vcc, exec, s[16:17]
	s_cbranch_vccz .LBB38_1090
; %bb.1089:
	global_load_ubyte v4, v[0:1], off
	s_mov_b32 s16, 0x7f800000
	s_brev_b32 s17, 1
	s_movk_i32 s18, 0x7fff
	v_mov_b32_e32 v6, 0x7fc0
	s_waitcnt vmcnt(0)
	v_lshlrev_b32_e32 v4, 24, v4
	v_and_b32_e32 v7, 0x7f000000, v4
	v_ffbh_u32_e32 v8, v7
	v_min_u32_e32 v8, 32, v8
	v_sub_u32_e64 v8, v8, 4 clamp
	v_lshlrev_b32_e32 v10, v8, v7
	v_lshlrev_b32_e32 v8, 23, v8
	v_lshrrev_b32_e32 v10, 4, v10
	v_add_u32_e32 v9, 0x1000000, v7
	v_sub_u32_e32 v8, v10, v8
	v_ashrrev_i32_e32 v9, 8, v9
	v_add_u32_e32 v8, 0x3c000000, v8
	v_and_or_b32 v8, v9, s16, v8
	v_cmp_ne_u32_e32 vcc, 0, v7
	v_cndmask_b32_e32 v7, 0, v8, vcc
	v_and_or_b32 v4, v4, s17, v7
	v_bfe_u32 v7, v7, 16, 1
	v_add3_u32 v7, v4, v7, s18
	v_lshrrev_b32_e32 v7, 16, v7
	v_cmp_o_f32_e32 vcc, v4, v4
	v_cndmask_b32_e32 v4, v6, v7, vcc
.LBB38_1090:
	s_mov_b64 s[16:17], 0
.LBB38_1091:
	s_andn2_b64 vcc, exec, s[16:17]
	s_cbranch_vccnz .LBB38_1093
; %bb.1092:
	global_load_ubyte v4, v[0:1], off
	s_movk_i32 s16, 0x7f00
	s_brev_b32 s17, 16
	s_brev_b32 s18, 1
	s_movk_i32 s19, 0x7fff
	v_mov_b32_e32 v6, 0x7fc0
	s_waitcnt vmcnt(0)
	v_lshlrev_b16_e32 v7, 8, v4
	v_lshlrev_b32_e32 v4, 25, v4
	v_lshrrev_b32_e32 v8, 4, v4
	v_and_or_b32 v9, v7, s16, 0.5
	v_or_b32_e32 v8, 0x70000000, v8
	v_add_f32_e32 v9, -0.5, v9
	v_mul_f32_e32 v8, 0x7800000, v8
	v_cmp_gt_u32_e32 vcc, s17, v4
	v_bfe_i32 v7, v7, 0, 16
	v_cndmask_b32_e32 v4, v8, v9, vcc
	v_and_or_b32 v7, v7, s18, v4
	v_bfe_u32 v4, v4, 16, 1
	v_add3_u32 v4, v7, v4, s19
	v_lshrrev_b32_e32 v4, 16, v4
	v_cmp_o_f32_e32 vcc, v7, v7
	v_cndmask_b32_e32 v4, v6, v4, vcc
.LBB38_1093:
	s_mov_b64 s[20:21], -1
	s_mov_b64 s[18:19], 0
	s_cbranch_execnz .LBB38_1104
.LBB38_1094:
	v_cmp_lt_i16_e32 vcc, 14, v3
	s_cbranch_vccz .LBB38_1097
; %bb.1095:
	v_cmp_eq_u16_e32 vcc, 15, v3
	s_cbranch_vccz .LBB38_1100
; %bb.1096:
	global_load_ushort v4, v[0:1], off
	s_mov_b64 s[2:3], 0
	s_mov_b64 s[20:21], -1
	s_branch .LBB38_1101
.LBB38_1097:
	s_mov_b64 s[16:17], -1
                                        ; implicit-def: $vgpr4
	s_branch .LBB38_1102
.LBB38_1098:
	s_or_saveexec_b64 s[18:19], s[18:19]
	v_mov_b32_e32 v6, s22
	s_xor_b64 exec, exec, s[18:19]
	s_cbranch_execz .LBB38_1080
.LBB38_1099:
	v_cmp_ne_u16_e32 vcc, 0, v4
	s_andn2_b64 s[16:17], s[16:17], exec
	s_and_b64 s[20:21], vcc, exec
	v_mov_b32_e32 v6, 0
	s_or_b64 s[16:17], s[16:17], s[20:21]
	s_or_b64 exec, exec, s[18:19]
	s_and_saveexec_b64 s[18:19], s[16:17]
	s_cbranch_execnz .LBB38_1081
	s_branch .LBB38_1082
.LBB38_1100:
	s_mov_b64 s[2:3], -1
                                        ; implicit-def: $vgpr4
.LBB38_1101:
	s_mov_b64 s[16:17], 0
.LBB38_1102:
	s_and_b64 vcc, exec, s[16:17]
	s_cbranch_vccz .LBB38_1104
; %bb.1103:
	v_cmp_ne_u16_e64 s[2:3], 11, v3
	s_mov_b64 s[18:19], -1
                                        ; implicit-def: $vgpr4
.LBB38_1104:
	s_and_b64 vcc, exec, s[2:3]
	s_mov_b64 s[16:17], s[6:7]
	s_cbranch_vccnz .LBB38_1165
; %bb.1105:
	s_andn2_b64 vcc, exec, s[18:19]
	s_cbranch_vccnz .LBB38_1107
.LBB38_1106:
	global_load_ubyte v4, v[0:1], off
	s_mov_b64 s[20:21], -1
	s_waitcnt vmcnt(0)
	v_cmp_ne_u16_e32 vcc, 0, v4
	v_cndmask_b32_e64 v4, 0, 1.0, vcc
	v_lshrrev_b32_e32 v4, 16, v4
.LBB38_1107:
	s_branch .LBB38_1038
.LBB38_1108:
	v_cmp_gt_i16_e32 vcc, 5, v3
	s_cbranch_vccnz .LBB38_1113
; %bb.1109:
	v_cmp_gt_i16_e32 vcc, 8, v3
	s_cbranch_vccnz .LBB38_1114
; %bb.1110:
	;; [unrolled: 3-line block ×3, first 2 shown]
	v_cmp_lt_i16_e32 vcc, 9, v3
	s_cbranch_vccz .LBB38_1116
; %bb.1112:
	global_load_dwordx2 v[6:7], v[0:1], off
	s_movk_i32 s2, 0x7fff
	s_waitcnt vmcnt(1)
	v_mov_b32_e32 v4, 0x7fc0
	s_waitcnt vmcnt(0)
	v_cvt_f32_f64_e32 v6, v[6:7]
	v_bfe_u32 v7, v6, 16, 1
	v_add3_u32 v7, v6, v7, s2
	v_lshrrev_b32_e32 v7, 16, v7
	v_cmp_o_f32_e32 vcc, v6, v6
	v_cndmask_b32_e32 v4, v4, v7, vcc
	s_mov_b64 s[2:3], 0
	s_branch .LBB38_1117
.LBB38_1113:
                                        ; implicit-def: $vgpr4
	s_branch .LBB38_1134
.LBB38_1114:
                                        ; implicit-def: $vgpr4
	s_branch .LBB38_1123
.LBB38_1115:
	s_mov_b64 s[2:3], -1
                                        ; implicit-def: $vgpr4
	s_branch .LBB38_1120
.LBB38_1116:
	s_mov_b64 s[2:3], -1
                                        ; implicit-def: $vgpr4
.LBB38_1117:
	s_andn2_b64 vcc, exec, s[2:3]
	s_cbranch_vccnz .LBB38_1119
; %bb.1118:
	global_load_dword v4, v[0:1], off
	s_movk_i32 s2, 0x7fff
	v_mov_b32_e32 v6, 0x7fc0
	s_waitcnt vmcnt(0)
	v_bfe_u32 v7, v4, 16, 1
	v_add3_u32 v7, v4, v7, s2
	v_lshrrev_b32_e32 v7, 16, v7
	v_cmp_o_f32_e32 vcc, v4, v4
	v_cndmask_b32_e32 v4, v6, v7, vcc
.LBB38_1119:
	s_mov_b64 s[2:3], 0
.LBB38_1120:
	s_andn2_b64 vcc, exec, s[2:3]
	s_cbranch_vccnz .LBB38_1122
; %bb.1121:
	global_load_dword v4, v[0:1], off
	s_movk_i32 s2, 0x7fff
	v_mov_b32_e32 v7, 0x7fc0
	s_waitcnt vmcnt(0)
	v_cvt_f32_f16_e32 v6, v4
	v_cmp_o_f16_e32 vcc, v4, v4
	v_bfe_u32 v8, v6, 16, 1
	v_add3_u32 v6, v6, v8, s2
	v_lshrrev_b32_e32 v6, 16, v6
	v_cndmask_b32_e32 v4, v7, v6, vcc
.LBB38_1122:
	s_cbranch_execnz .LBB38_1133
.LBB38_1123:
	v_cmp_gt_i16_e32 vcc, 6, v3
	s_cbranch_vccnz .LBB38_1126
; %bb.1124:
	v_cmp_lt_i16_e32 vcc, 6, v3
	s_cbranch_vccz .LBB38_1127
; %bb.1125:
	global_load_dwordx2 v[6:7], v[0:1], off
	s_movk_i32 s2, 0x7fff
	s_waitcnt vmcnt(1)
	v_mov_b32_e32 v4, 0x7fc0
	s_waitcnt vmcnt(0)
	v_cvt_f32_f64_e32 v6, v[6:7]
	v_bfe_u32 v7, v6, 16, 1
	v_add3_u32 v7, v6, v7, s2
	v_lshrrev_b32_e32 v7, 16, v7
	v_cmp_o_f32_e32 vcc, v6, v6
	v_cndmask_b32_e32 v4, v4, v7, vcc
	s_mov_b64 s[2:3], 0
	s_branch .LBB38_1128
.LBB38_1126:
	s_mov_b64 s[2:3], -1
                                        ; implicit-def: $vgpr4
	s_branch .LBB38_1131
.LBB38_1127:
	s_mov_b64 s[2:3], -1
                                        ; implicit-def: $vgpr4
.LBB38_1128:
	s_andn2_b64 vcc, exec, s[2:3]
	s_cbranch_vccnz .LBB38_1130
; %bb.1129:
	global_load_dword v4, v[0:1], off
	s_movk_i32 s2, 0x7fff
	v_mov_b32_e32 v6, 0x7fc0
	s_waitcnt vmcnt(0)
	v_bfe_u32 v7, v4, 16, 1
	v_add3_u32 v7, v4, v7, s2
	v_lshrrev_b32_e32 v7, 16, v7
	v_cmp_o_f32_e32 vcc, v4, v4
	v_cndmask_b32_e32 v4, v6, v7, vcc
.LBB38_1130:
	s_mov_b64 s[2:3], 0
.LBB38_1131:
	s_andn2_b64 vcc, exec, s[2:3]
	s_cbranch_vccnz .LBB38_1133
; %bb.1132:
	global_load_ushort v4, v[0:1], off
	s_movk_i32 s2, 0x7fff
	v_mov_b32_e32 v7, 0x7fc0
	s_waitcnt vmcnt(0)
	v_cvt_f32_f16_e32 v6, v4
	v_cmp_o_f16_e32 vcc, v4, v4
	v_bfe_u32 v8, v6, 16, 1
	v_add3_u32 v6, v6, v8, s2
	v_lshrrev_b32_e32 v6, 16, v6
	v_cndmask_b32_e32 v4, v7, v6, vcc
.LBB38_1133:
	s_cbranch_execnz .LBB38_1152
.LBB38_1134:
	v_cmp_gt_i16_e32 vcc, 2, v3
	s_cbranch_vccnz .LBB38_1138
; %bb.1135:
	v_cmp_gt_i16_e32 vcc, 3, v3
	s_cbranch_vccnz .LBB38_1139
; %bb.1136:
	v_cmp_lt_i16_e32 vcc, 3, v3
	s_cbranch_vccz .LBB38_1140
; %bb.1137:
	global_load_dwordx2 v[6:7], v[0:1], off
	s_movk_i32 s2, 0x7fff
	s_waitcnt vmcnt(0)
	v_xor_b32_e32 v8, v6, v7
	v_ffbh_i32_e32 v4, v7
	v_ashrrev_i32_e32 v8, 31, v8
	v_add_u32_e32 v4, -1, v4
	v_add_u32_e32 v8, 32, v8
	v_min_u32_e32 v4, v4, v8
	v_lshlrev_b64 v[6:7], v4, v[6:7]
	v_min_u32_e32 v6, 1, v6
	v_or_b32_e32 v6, v7, v6
	v_cvt_f32_i32_e32 v6, v6
	v_sub_u32_e32 v4, 32, v4
	v_ldexp_f32 v4, v6, v4
	v_bfe_u32 v6, v4, 16, 1
	v_add3_u32 v4, v4, v6, s2
	v_lshrrev_b32_e32 v4, 16, v4
	s_mov_b64 s[2:3], 0
	s_branch .LBB38_1141
.LBB38_1138:
                                        ; implicit-def: $vgpr4
	s_branch .LBB38_1147
.LBB38_1139:
	s_mov_b64 s[2:3], -1
                                        ; implicit-def: $vgpr4
	s_branch .LBB38_1144
.LBB38_1140:
	s_mov_b64 s[2:3], -1
                                        ; implicit-def: $vgpr4
.LBB38_1141:
	s_andn2_b64 vcc, exec, s[2:3]
	s_cbranch_vccnz .LBB38_1143
; %bb.1142:
	global_load_dword v4, v[0:1], off
	s_movk_i32 s2, 0x7fff
	s_waitcnt vmcnt(0)
	v_cvt_f32_i32_e32 v4, v4
	v_bfe_u32 v6, v4, 16, 1
	v_add3_u32 v4, v4, v6, s2
	v_lshrrev_b32_e32 v4, 16, v4
.LBB38_1143:
	s_mov_b64 s[2:3], 0
.LBB38_1144:
	s_andn2_b64 vcc, exec, s[2:3]
	s_cbranch_vccnz .LBB38_1146
; %bb.1145:
	global_load_sshort v4, v[0:1], off
	s_movk_i32 s2, 0x7fff
	s_waitcnt vmcnt(0)
	v_cvt_f32_i32_e32 v4, v4
	v_bfe_u32 v6, v4, 16, 1
	v_add3_u32 v4, v4, v6, s2
	v_lshrrev_b32_e32 v4, 16, v4
.LBB38_1146:
	s_cbranch_execnz .LBB38_1152
.LBB38_1147:
	v_cmp_lt_i16_e32 vcc, 0, v3
	s_cbranch_vccz .LBB38_1149
; %bb.1148:
	global_load_sbyte v4, v[0:1], off
	s_movk_i32 s2, 0x7fff
	s_waitcnt vmcnt(0)
	v_cvt_f32_i32_e32 v4, v4
	v_bfe_u32 v6, v4, 16, 1
	v_add3_u32 v4, v4, v6, s2
	v_lshrrev_b32_e32 v4, 16, v4
	s_mov_b64 s[2:3], 0
	s_branch .LBB38_1150
.LBB38_1149:
	s_mov_b64 s[2:3], -1
                                        ; implicit-def: $vgpr4
.LBB38_1150:
	s_andn2_b64 vcc, exec, s[2:3]
	s_cbranch_vccnz .LBB38_1152
; %bb.1151:
	global_load_ubyte v0, v[0:1], off
	s_movk_i32 s2, 0x7fff
	s_waitcnt vmcnt(0)
	v_cvt_f32_ubyte0_e32 v0, v0
	v_bfe_u32 v1, v0, 16, 1
	v_add3_u32 v0, v0, v1, s2
	v_lshrrev_b32_e32 v4, 16, v0
.LBB38_1152:
.LBB38_1153:
	s_lshl_b32 s13, s13, 7
	v_add_u32_e32 v6, s13, v5
	v_ashrrev_i32_e32 v1, 31, v6
	v_mov_b32_e32 v5, s11
	v_add_co_u32_e32 v0, vcc, s10, v6
	v_addc_co_u32_e32 v1, vcc, v5, v1, vcc
	s_and_b64 vcc, exec, s[0:1]
	s_cbranch_vccnz .LBB38_1160
; %bb.1154:
	v_cmp_lt_i16_e32 vcc, 25, v3
	s_mov_b64 s[18:19], 0
	s_cbranch_vccz .LBB38_1162
; %bb.1155:
	v_cmp_lt_i16_e32 vcc, 28, v3
	s_cbranch_vccz .LBB38_1163
; %bb.1156:
	v_cmp_lt_i16_e32 vcc, 43, v3
	;; [unrolled: 3-line block ×3, first 2 shown]
	s_cbranch_vccz .LBB38_1166
; %bb.1158:
	v_cmp_eq_u16_e32 vcc, 46, v3
	s_mov_b64 s[22:23], 0
	s_cbranch_vccz .LBB38_1169
; %bb.1159:
	global_load_dword v5, v[0:1], off
	s_mov_b64 s[2:3], 0
	s_mov_b64 s[20:21], -1
	s_branch .LBB38_1170
.LBB38_1160:
	s_mov_b64 s[20:21], 0
                                        ; implicit-def: $vgpr5
	s_cbranch_execnz .LBB38_1235
.LBB38_1161:
	s_andn2_b64 vcc, exec, s[20:21]
	s_cbranch_vccnz .LBB38_1994
	s_branch .LBB38_1282
.LBB38_1162:
	s_mov_b64 s[20:21], 0
	s_mov_b64 s[2:3], 0
                                        ; implicit-def: $vgpr5
	s_cbranch_execnz .LBB38_1199
	s_branch .LBB38_1231
.LBB38_1163:
	s_mov_b64 s[22:23], -1
	s_mov_b64 s[20:21], 0
	s_mov_b64 s[2:3], 0
                                        ; implicit-def: $vgpr5
	s_branch .LBB38_1180
.LBB38_1164:
	s_mov_b64 s[22:23], -1
	s_mov_b64 s[20:21], 0
	s_mov_b64 s[2:3], 0
                                        ; implicit-def: $vgpr5
	s_branch .LBB38_1175
.LBB38_1165:
	s_or_b64 s[16:17], s[6:7], exec
	s_trap 2
                                        ; implicit-def: $vgpr4
	s_cbranch_execz .LBB38_1106
	s_branch .LBB38_1107
.LBB38_1166:
	s_mov_b64 s[22:23], -1
	s_mov_b64 s[20:21], 0
	s_mov_b64 s[2:3], 0
                                        ; implicit-def: $vgpr5
	s_branch .LBB38_1170
.LBB38_1167:
	s_or_saveexec_b64 s[26:27], s[26:27]
                                        ; implicit-def: $sgpr28
	s_xor_b64 exec, exec, s[26:27]
	s_cbranch_execz .LBB38_954
.LBB38_1168:
	s_mov_b32 s28, 0x42800000
	v_add_f32_e64 v4, |v6|, s28
	v_and_b32_e32 v4, 0xff, v4
	v_cmp_ne_u32_e32 vcc, 0, v4
	s_andn2_b64 s[24:25], s[24:25], exec
	s_and_b64 s[30:31], vcc, exec
	s_mov_b32 s28, 0
	s_or_b64 s[24:25], s[24:25], s[30:31]
	s_or_b64 exec, exec, s[26:27]
	v_mov_b32_e32 v8, s28
	s_and_saveexec_b64 s[26:27], s[24:25]
	s_cbranch_execnz .LBB38_955
	s_branch .LBB38_956
.LBB38_1169:
	s_mov_b64 s[2:3], -1
                                        ; implicit-def: $vgpr5
	s_mov_b64 s[20:21], 0
.LBB38_1170:
	s_and_b64 vcc, exec, s[22:23]
	s_cbranch_vccz .LBB38_1174
; %bb.1171:
	v_cmp_eq_u16_e32 vcc, 44, v3
	s_cbranch_vccz .LBB38_1173
; %bb.1172:
	global_load_ubyte v5, v[0:1], off
	s_movk_i32 s20, 0xff
	v_mov_b32_e32 v7, 0x7f800001
	v_mov_b32_e32 v8, 0x400000
	;; [unrolled: 1-line block ×3, first 2 shown]
	s_mov_b64 s[2:3], 0
	s_waitcnt vmcnt(0)
	v_lshlrev_b32_e32 v10, 23, v5
	v_cmp_ne_u32_e32 vcc, s20, v5
	v_cndmask_b32_e32 v7, v7, v10, vcc
	v_cmp_ne_u32_e32 vcc, 0, v5
	v_cndmask_b32_e32 v5, v8, v7, vcc
	v_add_u32_e32 v7, 0x7fff, v5
	v_lshrrev_b32_e32 v7, 16, v7
	v_cmp_o_f32_e32 vcc, v5, v5
	v_cndmask_b32_e32 v5, v9, v7, vcc
	s_mov_b64 s[20:21], -1
	s_branch .LBB38_1174
.LBB38_1173:
	s_mov_b64 s[2:3], -1
                                        ; implicit-def: $vgpr5
.LBB38_1174:
	s_mov_b64 s[22:23], 0
.LBB38_1175:
	s_and_b64 vcc, exec, s[22:23]
	s_cbranch_vccz .LBB38_1179
; %bb.1176:
	v_cmp_eq_u16_e32 vcc, 29, v3
	s_cbranch_vccz .LBB38_1178
; %bb.1177:
	global_load_dwordx2 v[8:9], v[0:1], off
	s_movk_i32 s20, 0x7fff
	s_mov_b64 s[2:3], 0
	s_mov_b64 s[22:23], 0
	s_waitcnt vmcnt(0)
	v_ffbh_u32_e32 v5, v9
	v_min_u32_e32 v5, 32, v5
	v_lshlrev_b64 v[8:9], v5, v[8:9]
	v_min_u32_e32 v7, 1, v8
	v_or_b32_e32 v7, v9, v7
	v_cvt_f32_u32_e32 v7, v7
	v_sub_u32_e32 v5, 32, v5
	v_ldexp_f32 v5, v7, v5
	v_bfe_u32 v7, v5, 16, 1
	v_add3_u32 v5, v5, v7, s20
	v_lshrrev_b32_e32 v5, 16, v5
	s_mov_b64 s[20:21], -1
	s_branch .LBB38_1180
.LBB38_1178:
	s_mov_b64 s[2:3], -1
                                        ; implicit-def: $vgpr5
.LBB38_1179:
	s_mov_b64 s[22:23], 0
.LBB38_1180:
	s_and_b64 vcc, exec, s[22:23]
	s_cbranch_vccz .LBB38_1198
; %bb.1181:
	v_cmp_gt_i16_e32 vcc, 27, v3
	s_cbranch_vccnz .LBB38_1184
; %bb.1182:
	v_cmp_lt_i16_e32 vcc, 27, v3
	s_cbranch_vccz .LBB38_1185
; %bb.1183:
	global_load_dword v5, v[0:1], off
	s_movk_i32 s20, 0x7fff
	s_waitcnt vmcnt(0)
	v_cvt_f32_u32_e32 v5, v5
	v_bfe_u32 v7, v5, 16, 1
	v_add3_u32 v5, v5, v7, s20
	v_lshrrev_b32_e32 v5, 16, v5
	s_mov_b64 s[20:21], 0
	s_branch .LBB38_1186
.LBB38_1184:
	s_mov_b64 s[20:21], -1
                                        ; implicit-def: $vgpr5
	s_branch .LBB38_1189
.LBB38_1185:
	s_mov_b64 s[20:21], -1
                                        ; implicit-def: $vgpr5
.LBB38_1186:
	s_andn2_b64 vcc, exec, s[20:21]
	s_cbranch_vccnz .LBB38_1188
; %bb.1187:
	global_load_ushort v5, v[0:1], off
	s_movk_i32 s20, 0x7fff
	s_waitcnt vmcnt(0)
	v_cvt_f32_u32_e32 v5, v5
	v_bfe_u32 v7, v5, 16, 1
	v_add3_u32 v5, v5, v7, s20
	v_lshrrev_b32_e32 v5, 16, v5
.LBB38_1188:
	s_mov_b64 s[20:21], 0
.LBB38_1189:
	s_andn2_b64 vcc, exec, s[20:21]
	s_cbranch_vccnz .LBB38_1197
; %bb.1190:
	global_load_ubyte v5, v[0:1], off
	s_movk_i32 s20, 0x7f
                                        ; implicit-def: $sgpr26
	s_waitcnt vmcnt(0)
	v_cmp_lt_i16_e32 vcc, s20, v5
	s_mov_b64 s[20:21], 0
	s_and_saveexec_b64 s[22:23], vcc
	s_xor_b64 s[22:23], exec, s[22:23]
	s_cbranch_execz .LBB38_1210
; %bb.1191:
	s_movk_i32 s20, 0x80
	v_cmp_eq_u16_e32 vcc, s20, v5
	s_mov_b64 s[20:21], -1
                                        ; implicit-def: $sgpr26
	s_and_saveexec_b64 s[24:25], vcc
; %bb.1192:
	s_mov_b32 s26, 0x7f800001
	s_xor_b64 s[20:21], exec, -1
; %bb.1193:
	s_or_b64 exec, exec, s[24:25]
	s_and_b64 s[20:21], s[20:21], exec
	s_or_saveexec_b64 s[22:23], s[22:23]
	v_mov_b32_e32 v7, s26
	s_xor_b64 exec, exec, s[22:23]
	s_cbranch_execnz .LBB38_1211
.LBB38_1194:
	s_or_b64 exec, exec, s[22:23]
	s_and_saveexec_b64 s[22:23], s[20:21]
	s_cbranch_execz .LBB38_1196
.LBB38_1195:
	v_lshlrev_b32_e32 v7, 24, v5
	v_and_b32_e32 v5, 0xffff, v5
	v_and_b32_e32 v8, 7, v5
	v_ffbh_u32_e32 v10, v8
	v_min_u32_e32 v10, 32, v10
	v_subrev_u32_e32 v11, 28, v10
	v_bfe_u32 v9, v5, 3, 4
	v_lshlrev_b32_e32 v5, v11, v5
	v_sub_u32_e32 v10, 29, v10
	v_and_b32_e32 v5, 7, v5
	v_cmp_eq_u32_e32 vcc, 0, v9
	v_cndmask_b32_e32 v9, v9, v10, vcc
	v_cndmask_b32_e32 v5, v8, v5, vcc
	v_mov_b32_e32 v8, 0x3b800000
	v_lshlrev_b32_e32 v5, 20, v5
	v_and_b32_e32 v7, 0x80000000, v7
	v_lshl_add_u32 v8, v9, 23, v8
	v_or3_b32 v7, v7, v8, v5
.LBB38_1196:
	s_or_b64 exec, exec, s[22:23]
	v_bfe_u32 v5, v7, 16, 1
	s_movk_i32 s20, 0x7fff
	v_add3_u32 v5, v7, v5, s20
	v_lshrrev_b32_e32 v5, 16, v5
	v_mov_b32_e32 v8, 0x7fc0
	v_cmp_o_f32_e32 vcc, v7, v7
	v_cndmask_b32_e32 v5, v8, v5, vcc
.LBB38_1197:
	s_mov_b64 s[20:21], -1
.LBB38_1198:
	s_branch .LBB38_1231
.LBB38_1199:
	v_cmp_lt_i16_e32 vcc, 22, v3
	s_cbranch_vccz .LBB38_1209
; %bb.1200:
	v_cmp_gt_i16_e32 vcc, 24, v3
	s_cbranch_vccnz .LBB38_1212
; %bb.1201:
	v_cmp_lt_i16_e32 vcc, 24, v3
	s_cbranch_vccz .LBB38_1213
; %bb.1202:
	global_load_ubyte v5, v[0:1], off
	s_movk_i32 s18, 0x7f
                                        ; implicit-def: $sgpr24
	s_waitcnt vmcnt(0)
	v_cmp_lt_i16_e32 vcc, s18, v5
	s_mov_b64 s[18:19], 0
	s_and_saveexec_b64 s[20:21], vcc
	s_xor_b64 s[20:21], exec, s[20:21]
	s_cbranch_execz .LBB38_1225
; %bb.1203:
	s_movk_i32 s18, 0x80
	v_cmp_eq_u16_e32 vcc, s18, v5
	s_mov_b64 s[18:19], -1
                                        ; implicit-def: $sgpr24
	s_and_saveexec_b64 s[22:23], vcc
; %bb.1204:
	s_mov_b32 s24, 0x7f800001
	s_xor_b64 s[18:19], exec, -1
; %bb.1205:
	s_or_b64 exec, exec, s[22:23]
	s_and_b64 s[18:19], s[18:19], exec
	s_or_saveexec_b64 s[20:21], s[20:21]
	v_mov_b32_e32 v7, s24
	s_xor_b64 exec, exec, s[20:21]
	s_cbranch_execnz .LBB38_1226
.LBB38_1206:
	s_or_b64 exec, exec, s[20:21]
	s_and_saveexec_b64 s[20:21], s[18:19]
	s_cbranch_execz .LBB38_1208
.LBB38_1207:
	v_lshlrev_b32_e32 v7, 24, v5
	v_and_b32_e32 v5, 0xffff, v5
	v_and_b32_e32 v8, 3, v5
	v_ffbh_u32_e32 v10, v8
	v_min_u32_e32 v10, 32, v10
	v_subrev_u32_e32 v11, 29, v10
	v_bfe_u32 v9, v5, 2, 5
	v_lshlrev_b32_e32 v5, v11, v5
	v_sub_u32_e32 v10, 30, v10
	v_and_b32_e32 v5, 3, v5
	v_cmp_eq_u32_e32 vcc, 0, v9
	v_cndmask_b32_e32 v9, v9, v10, vcc
	v_cndmask_b32_e32 v5, v8, v5, vcc
	v_mov_b32_e32 v8, 0x37800000
	v_lshlrev_b32_e32 v5, 21, v5
	v_and_b32_e32 v7, 0x80000000, v7
	v_lshl_add_u32 v8, v9, 23, v8
	v_or3_b32 v7, v7, v8, v5
.LBB38_1208:
	s_or_b64 exec, exec, s[20:21]
	v_bfe_u32 v5, v7, 16, 1
	s_movk_i32 s18, 0x7fff
	v_add3_u32 v5, v7, v5, s18
	v_lshrrev_b32_e32 v5, 16, v5
	v_mov_b32_e32 v8, 0x7fc0
	v_cmp_o_f32_e32 vcc, v7, v7
	v_cndmask_b32_e32 v5, v8, v5, vcc
	s_mov_b64 s[18:19], 0
	s_branch .LBB38_1214
.LBB38_1209:
	s_mov_b64 s[18:19], -1
                                        ; implicit-def: $vgpr5
	s_branch .LBB38_1220
.LBB38_1210:
	s_or_saveexec_b64 s[22:23], s[22:23]
	v_mov_b32_e32 v7, s26
	s_xor_b64 exec, exec, s[22:23]
	s_cbranch_execz .LBB38_1194
.LBB38_1211:
	v_cmp_ne_u16_e32 vcc, 0, v5
	s_andn2_b64 s[20:21], s[20:21], exec
	s_and_b64 s[24:25], vcc, exec
	v_mov_b32_e32 v7, 0
	s_or_b64 s[20:21], s[20:21], s[24:25]
	s_or_b64 exec, exec, s[22:23]
	s_and_saveexec_b64 s[22:23], s[20:21]
	s_cbranch_execnz .LBB38_1195
	s_branch .LBB38_1196
.LBB38_1212:
	s_mov_b64 s[18:19], -1
                                        ; implicit-def: $vgpr5
	s_branch .LBB38_1217
.LBB38_1213:
	s_mov_b64 s[18:19], -1
                                        ; implicit-def: $vgpr5
.LBB38_1214:
	s_and_b64 vcc, exec, s[18:19]
	s_cbranch_vccz .LBB38_1216
; %bb.1215:
	global_load_ubyte v5, v[0:1], off
	s_mov_b32 s18, 0x7f800000
	s_brev_b32 s19, 1
	s_movk_i32 s20, 0x7fff
	v_mov_b32_e32 v7, 0x7fc0
	s_waitcnt vmcnt(0)
	v_lshlrev_b32_e32 v5, 24, v5
	v_and_b32_e32 v8, 0x7f000000, v5
	v_ffbh_u32_e32 v9, v8
	v_min_u32_e32 v9, 32, v9
	v_sub_u32_e64 v9, v9, 4 clamp
	v_lshlrev_b32_e32 v11, v9, v8
	v_lshlrev_b32_e32 v9, 23, v9
	v_lshrrev_b32_e32 v11, 4, v11
	v_add_u32_e32 v10, 0x1000000, v8
	v_sub_u32_e32 v9, v11, v9
	v_ashrrev_i32_e32 v10, 8, v10
	v_add_u32_e32 v9, 0x3c000000, v9
	v_and_or_b32 v9, v10, s18, v9
	v_cmp_ne_u32_e32 vcc, 0, v8
	v_cndmask_b32_e32 v8, 0, v9, vcc
	v_and_or_b32 v5, v5, s19, v8
	v_bfe_u32 v8, v8, 16, 1
	v_add3_u32 v8, v5, v8, s20
	v_lshrrev_b32_e32 v8, 16, v8
	v_cmp_o_f32_e32 vcc, v5, v5
	v_cndmask_b32_e32 v5, v7, v8, vcc
.LBB38_1216:
	s_mov_b64 s[18:19], 0
.LBB38_1217:
	s_andn2_b64 vcc, exec, s[18:19]
	s_cbranch_vccnz .LBB38_1219
; %bb.1218:
	global_load_ubyte v5, v[0:1], off
	s_movk_i32 s18, 0x7f00
	s_brev_b32 s19, 16
	s_brev_b32 s20, 1
	s_movk_i32 s21, 0x7fff
	v_mov_b32_e32 v7, 0x7fc0
	s_waitcnt vmcnt(0)
	v_lshlrev_b16_e32 v8, 8, v5
	v_lshlrev_b32_e32 v5, 25, v5
	v_lshrrev_b32_e32 v9, 4, v5
	v_and_or_b32 v10, v8, s18, 0.5
	v_or_b32_e32 v9, 0x70000000, v9
	v_add_f32_e32 v10, -0.5, v10
	v_mul_f32_e32 v9, 0x7800000, v9
	v_cmp_gt_u32_e32 vcc, s19, v5
	v_bfe_i32 v8, v8, 0, 16
	v_cndmask_b32_e32 v5, v9, v10, vcc
	v_and_or_b32 v8, v8, s20, v5
	v_bfe_u32 v5, v5, 16, 1
	v_add3_u32 v5, v8, v5, s21
	v_lshrrev_b32_e32 v5, 16, v5
	v_cmp_o_f32_e32 vcc, v8, v8
	v_cndmask_b32_e32 v5, v7, v5, vcc
.LBB38_1219:
	s_mov_b64 s[18:19], 0
	s_mov_b64 s[20:21], -1
.LBB38_1220:
	s_andn2_b64 vcc, exec, s[18:19]
	s_mov_b64 s[18:19], 0
	s_cbranch_vccnz .LBB38_1231
; %bb.1221:
	v_cmp_lt_i16_e32 vcc, 14, v3
	s_cbranch_vccz .LBB38_1224
; %bb.1222:
	v_cmp_eq_u16_e32 vcc, 15, v3
	s_cbranch_vccz .LBB38_1227
; %bb.1223:
	global_load_ushort v5, v[0:1], off
	s_mov_b64 s[2:3], 0
	s_mov_b64 s[20:21], -1
	s_branch .LBB38_1228
.LBB38_1224:
	s_mov_b64 s[22:23], -1
                                        ; implicit-def: $vgpr5
	s_branch .LBB38_1229
.LBB38_1225:
	s_or_saveexec_b64 s[20:21], s[20:21]
	v_mov_b32_e32 v7, s24
	s_xor_b64 exec, exec, s[20:21]
	s_cbranch_execz .LBB38_1206
.LBB38_1226:
	v_cmp_ne_u16_e32 vcc, 0, v5
	s_andn2_b64 s[18:19], s[18:19], exec
	s_and_b64 s[22:23], vcc, exec
	v_mov_b32_e32 v7, 0
	s_or_b64 s[18:19], s[18:19], s[22:23]
	s_or_b64 exec, exec, s[20:21]
	s_and_saveexec_b64 s[20:21], s[18:19]
	s_cbranch_execnz .LBB38_1207
	s_branch .LBB38_1208
.LBB38_1227:
	s_mov_b64 s[2:3], -1
                                        ; implicit-def: $vgpr5
.LBB38_1228:
	s_mov_b64 s[22:23], 0
.LBB38_1229:
	s_and_b64 vcc, exec, s[22:23]
	s_cbranch_vccz .LBB38_1231
; %bb.1230:
	v_cmp_ne_u16_e64 s[2:3], 11, v3
	s_mov_b64 s[18:19], -1
                                        ; implicit-def: $vgpr5
.LBB38_1231:
	s_and_b64 vcc, exec, s[2:3]
	s_cbranch_vccnz .LBB38_1294
; %bb.1232:
	s_andn2_b64 vcc, exec, s[18:19]
	s_cbranch_vccnz .LBB38_1234
.LBB38_1233:
	global_load_ubyte v5, v[0:1], off
	s_mov_b64 s[20:21], -1
	s_waitcnt vmcnt(0)
	v_cmp_ne_u16_e32 vcc, 0, v5
	v_cndmask_b32_e64 v5, 0, 1.0, vcc
	v_lshrrev_b32_e32 v5, 16, v5
.LBB38_1234:
	s_branch .LBB38_1161
.LBB38_1235:
	v_cmp_gt_i16_e32 vcc, 5, v3
	s_cbranch_vccnz .LBB38_1240
; %bb.1236:
	v_cmp_gt_i16_e32 vcc, 8, v3
	s_cbranch_vccnz .LBB38_1241
; %bb.1237:
	;; [unrolled: 3-line block ×3, first 2 shown]
	v_cmp_lt_i16_e32 vcc, 9, v3
	s_cbranch_vccz .LBB38_1243
; %bb.1239:
	global_load_dwordx2 v[8:9], v[0:1], off
	s_movk_i32 s2, 0x7fff
	s_waitcnt vmcnt(1)
	v_mov_b32_e32 v5, 0x7fc0
	s_waitcnt vmcnt(0)
	v_cvt_f32_f64_e32 v7, v[8:9]
	v_bfe_u32 v8, v7, 16, 1
	v_add3_u32 v8, v7, v8, s2
	v_lshrrev_b32_e32 v8, 16, v8
	v_cmp_o_f32_e32 vcc, v7, v7
	v_cndmask_b32_e32 v5, v5, v8, vcc
	s_mov_b64 s[2:3], 0
	s_branch .LBB38_1244
.LBB38_1240:
                                        ; implicit-def: $vgpr5
	s_branch .LBB38_1262
.LBB38_1241:
	s_mov_b64 s[2:3], -1
                                        ; implicit-def: $vgpr5
	s_branch .LBB38_1250
.LBB38_1242:
	s_mov_b64 s[2:3], -1
                                        ; implicit-def: $vgpr5
	s_branch .LBB38_1247
.LBB38_1243:
	s_mov_b64 s[2:3], -1
                                        ; implicit-def: $vgpr5
.LBB38_1244:
	s_andn2_b64 vcc, exec, s[2:3]
	s_cbranch_vccnz .LBB38_1246
; %bb.1245:
	global_load_dword v5, v[0:1], off
	s_movk_i32 s2, 0x7fff
	v_mov_b32_e32 v7, 0x7fc0
	s_waitcnt vmcnt(0)
	v_bfe_u32 v8, v5, 16, 1
	v_add3_u32 v8, v5, v8, s2
	v_lshrrev_b32_e32 v8, 16, v8
	v_cmp_o_f32_e32 vcc, v5, v5
	v_cndmask_b32_e32 v5, v7, v8, vcc
.LBB38_1246:
	s_mov_b64 s[2:3], 0
.LBB38_1247:
	s_andn2_b64 vcc, exec, s[2:3]
	s_cbranch_vccnz .LBB38_1249
; %bb.1248:
	global_load_dword v5, v[0:1], off
	s_movk_i32 s2, 0x7fff
	v_mov_b32_e32 v8, 0x7fc0
	s_waitcnt vmcnt(0)
	v_cvt_f32_f16_e32 v7, v5
	v_cmp_o_f16_e32 vcc, v5, v5
	v_bfe_u32 v9, v7, 16, 1
	v_add3_u32 v7, v7, v9, s2
	v_lshrrev_b32_e32 v7, 16, v7
	v_cndmask_b32_e32 v5, v8, v7, vcc
.LBB38_1249:
	s_mov_b64 s[2:3], 0
.LBB38_1250:
	s_andn2_b64 vcc, exec, s[2:3]
	s_cbranch_vccnz .LBB38_1261
; %bb.1251:
	v_cmp_gt_i16_e32 vcc, 6, v3
	s_cbranch_vccnz .LBB38_1254
; %bb.1252:
	v_cmp_lt_i16_e32 vcc, 6, v3
	s_cbranch_vccz .LBB38_1255
; %bb.1253:
	global_load_dwordx2 v[8:9], v[0:1], off
	s_movk_i32 s2, 0x7fff
	s_waitcnt vmcnt(1)
	v_mov_b32_e32 v5, 0x7fc0
	s_waitcnt vmcnt(0)
	v_cvt_f32_f64_e32 v7, v[8:9]
	v_bfe_u32 v8, v7, 16, 1
	v_add3_u32 v8, v7, v8, s2
	v_lshrrev_b32_e32 v8, 16, v8
	v_cmp_o_f32_e32 vcc, v7, v7
	v_cndmask_b32_e32 v5, v5, v8, vcc
	s_mov_b64 s[2:3], 0
	s_branch .LBB38_1256
.LBB38_1254:
	s_mov_b64 s[2:3], -1
                                        ; implicit-def: $vgpr5
	s_branch .LBB38_1259
.LBB38_1255:
	s_mov_b64 s[2:3], -1
                                        ; implicit-def: $vgpr5
.LBB38_1256:
	s_andn2_b64 vcc, exec, s[2:3]
	s_cbranch_vccnz .LBB38_1258
; %bb.1257:
	global_load_dword v5, v[0:1], off
	s_movk_i32 s2, 0x7fff
	v_mov_b32_e32 v7, 0x7fc0
	s_waitcnt vmcnt(0)
	v_bfe_u32 v8, v5, 16, 1
	v_add3_u32 v8, v5, v8, s2
	v_lshrrev_b32_e32 v8, 16, v8
	v_cmp_o_f32_e32 vcc, v5, v5
	v_cndmask_b32_e32 v5, v7, v8, vcc
.LBB38_1258:
	s_mov_b64 s[2:3], 0
.LBB38_1259:
	s_andn2_b64 vcc, exec, s[2:3]
	s_cbranch_vccnz .LBB38_1261
; %bb.1260:
	global_load_ushort v5, v[0:1], off
	s_movk_i32 s2, 0x7fff
	v_mov_b32_e32 v8, 0x7fc0
	s_waitcnt vmcnt(0)
	v_cvt_f32_f16_e32 v7, v5
	v_cmp_o_f16_e32 vcc, v5, v5
	v_bfe_u32 v9, v7, 16, 1
	v_add3_u32 v7, v7, v9, s2
	v_lshrrev_b32_e32 v7, 16, v7
	v_cndmask_b32_e32 v5, v8, v7, vcc
.LBB38_1261:
	s_cbranch_execnz .LBB38_1281
.LBB38_1262:
	v_cmp_gt_i16_e32 vcc, 2, v3
	s_cbranch_vccnz .LBB38_1266
; %bb.1263:
	v_cmp_gt_i16_e32 vcc, 3, v3
	s_cbranch_vccnz .LBB38_1267
; %bb.1264:
	v_cmp_lt_i16_e32 vcc, 3, v3
	s_cbranch_vccz .LBB38_1268
; %bb.1265:
	global_load_dwordx2 v[8:9], v[0:1], off
	s_movk_i32 s2, 0x7fff
	s_waitcnt vmcnt(0)
	v_xor_b32_e32 v7, v8, v9
	v_ffbh_i32_e32 v5, v9
	v_ashrrev_i32_e32 v7, 31, v7
	v_add_u32_e32 v5, -1, v5
	v_add_u32_e32 v7, 32, v7
	v_min_u32_e32 v5, v5, v7
	v_lshlrev_b64 v[8:9], v5, v[8:9]
	v_min_u32_e32 v7, 1, v8
	v_or_b32_e32 v7, v9, v7
	v_cvt_f32_i32_e32 v7, v7
	v_sub_u32_e32 v5, 32, v5
	v_ldexp_f32 v5, v7, v5
	v_bfe_u32 v7, v5, 16, 1
	v_add3_u32 v5, v5, v7, s2
	v_lshrrev_b32_e32 v5, 16, v5
	s_mov_b64 s[2:3], 0
	s_branch .LBB38_1269
.LBB38_1266:
	s_mov_b64 s[2:3], -1
                                        ; implicit-def: $vgpr5
	s_branch .LBB38_1275
.LBB38_1267:
	s_mov_b64 s[2:3], -1
                                        ; implicit-def: $vgpr5
	s_branch .LBB38_1272
.LBB38_1268:
	s_mov_b64 s[2:3], -1
                                        ; implicit-def: $vgpr5
.LBB38_1269:
	s_andn2_b64 vcc, exec, s[2:3]
	s_cbranch_vccnz .LBB38_1271
; %bb.1270:
	global_load_dword v5, v[0:1], off
	s_movk_i32 s2, 0x7fff
	s_waitcnt vmcnt(0)
	v_cvt_f32_i32_e32 v5, v5
	v_bfe_u32 v7, v5, 16, 1
	v_add3_u32 v5, v5, v7, s2
	v_lshrrev_b32_e32 v5, 16, v5
.LBB38_1271:
	s_mov_b64 s[2:3], 0
.LBB38_1272:
	s_andn2_b64 vcc, exec, s[2:3]
	s_cbranch_vccnz .LBB38_1274
; %bb.1273:
	global_load_sshort v5, v[0:1], off
	s_movk_i32 s2, 0x7fff
	s_waitcnt vmcnt(0)
	v_cvt_f32_i32_e32 v5, v5
	v_bfe_u32 v7, v5, 16, 1
	v_add3_u32 v5, v5, v7, s2
	v_lshrrev_b32_e32 v5, 16, v5
.LBB38_1274:
	s_mov_b64 s[2:3], 0
.LBB38_1275:
	s_andn2_b64 vcc, exec, s[2:3]
	s_cbranch_vccnz .LBB38_1281
; %bb.1276:
	v_cmp_lt_i16_e32 vcc, 0, v3
	s_cbranch_vccz .LBB38_1278
; %bb.1277:
	global_load_sbyte v5, v[0:1], off
	s_movk_i32 s2, 0x7fff
	s_waitcnt vmcnt(0)
	v_cvt_f32_i32_e32 v5, v5
	v_bfe_u32 v7, v5, 16, 1
	v_add3_u32 v5, v5, v7, s2
	v_lshrrev_b32_e32 v5, 16, v5
	s_mov_b64 s[2:3], 0
	s_branch .LBB38_1279
.LBB38_1278:
	s_mov_b64 s[2:3], -1
                                        ; implicit-def: $vgpr5
.LBB38_1279:
	s_andn2_b64 vcc, exec, s[2:3]
	s_cbranch_vccnz .LBB38_1281
; %bb.1280:
	global_load_ubyte v0, v[0:1], off
	s_movk_i32 s2, 0x7fff
	s_waitcnt vmcnt(0)
	v_cvt_f32_ubyte0_e32 v0, v0
	v_bfe_u32 v1, v0, 16, 1
	v_add3_u32 v0, v0, v1, s2
	v_lshrrev_b32_e32 v5, 16, v0
.LBB38_1281:
.LBB38_1282:
	v_add_u32_e32 v7, s13, v6
	v_ashrrev_i32_e32 v1, 31, v7
	v_mov_b32_e32 v6, s11
	v_add_co_u32_e32 v0, vcc, s10, v7
	v_addc_co_u32_e32 v1, vcc, v6, v1, vcc
	s_and_b64 vcc, exec, s[0:1]
	s_cbranch_vccnz .LBB38_1289
; %bb.1283:
	v_cmp_lt_i16_e32 vcc, 25, v3
	s_mov_b64 s[18:19], 0
	s_cbranch_vccz .LBB38_1291
; %bb.1284:
	v_cmp_lt_i16_e32 vcc, 28, v3
	s_cbranch_vccz .LBB38_1292
; %bb.1285:
	v_cmp_lt_i16_e32 vcc, 43, v3
	;; [unrolled: 3-line block ×3, first 2 shown]
	s_cbranch_vccz .LBB38_1295
; %bb.1287:
	v_cmp_eq_u16_e32 vcc, 46, v3
	s_mov_b64 s[22:23], 0
	s_cbranch_vccz .LBB38_1296
; %bb.1288:
	global_load_dword v6, v[0:1], off
	s_mov_b64 s[2:3], 0
	s_mov_b64 s[20:21], -1
	s_branch .LBB38_1297
.LBB38_1289:
	s_mov_b64 s[20:21], 0
                                        ; implicit-def: $vgpr6
	s_cbranch_execnz .LBB38_1363
.LBB38_1290:
	s_andn2_b64 vcc, exec, s[20:21]
	s_cbranch_vccnz .LBB38_1994
	s_branch .LBB38_1411
.LBB38_1291:
	s_mov_b64 s[22:23], -1
	s_mov_b64 s[20:21], 0
	s_mov_b64 s[2:3], 0
                                        ; implicit-def: $vgpr6
	s_branch .LBB38_1326
.LBB38_1292:
	s_mov_b64 s[22:23], -1
	s_mov_b64 s[20:21], 0
	s_mov_b64 s[2:3], 0
                                        ; implicit-def: $vgpr6
	s_branch .LBB38_1307
.LBB38_1293:
	s_mov_b64 s[22:23], -1
	s_mov_b64 s[20:21], 0
	s_mov_b64 s[2:3], 0
                                        ; implicit-def: $vgpr6
	s_branch .LBB38_1302
.LBB38_1294:
	s_trap 2
	s_or_b64 s[16:17], s[16:17], exec
                                        ; implicit-def: $vgpr5
	s_cbranch_execz .LBB38_1233
	s_branch .LBB38_1234
.LBB38_1295:
	s_mov_b64 s[22:23], -1
	s_mov_b64 s[20:21], 0
	s_mov_b64 s[2:3], 0
                                        ; implicit-def: $vgpr6
	s_branch .LBB38_1297
.LBB38_1296:
	s_mov_b64 s[2:3], -1
                                        ; implicit-def: $vgpr6
	s_mov_b64 s[20:21], 0
.LBB38_1297:
	s_and_b64 vcc, exec, s[22:23]
	s_cbranch_vccz .LBB38_1301
; %bb.1298:
	v_cmp_eq_u16_e32 vcc, 44, v3
	s_cbranch_vccz .LBB38_1300
; %bb.1299:
	global_load_ubyte v6, v[0:1], off
	s_movk_i32 s20, 0xff
	v_mov_b32_e32 v8, 0x7f800001
	v_mov_b32_e32 v9, 0x400000
	;; [unrolled: 1-line block ×3, first 2 shown]
	s_mov_b64 s[2:3], 0
	s_waitcnt vmcnt(0)
	v_lshlrev_b32_e32 v11, 23, v6
	v_cmp_ne_u32_e32 vcc, s20, v6
	v_cndmask_b32_e32 v8, v8, v11, vcc
	v_cmp_ne_u32_e32 vcc, 0, v6
	v_cndmask_b32_e32 v6, v9, v8, vcc
	v_add_u32_e32 v8, 0x7fff, v6
	v_lshrrev_b32_e32 v8, 16, v8
	v_cmp_o_f32_e32 vcc, v6, v6
	v_cndmask_b32_e32 v6, v10, v8, vcc
	s_mov_b64 s[20:21], -1
	s_branch .LBB38_1301
.LBB38_1300:
	s_mov_b64 s[2:3], -1
                                        ; implicit-def: $vgpr6
.LBB38_1301:
	s_mov_b64 s[22:23], 0
.LBB38_1302:
	s_and_b64 vcc, exec, s[22:23]
	s_cbranch_vccz .LBB38_1306
; %bb.1303:
	v_cmp_eq_u16_e32 vcc, 29, v3
	s_cbranch_vccz .LBB38_1305
; %bb.1304:
	global_load_dwordx2 v[8:9], v[0:1], off
	s_movk_i32 s20, 0x7fff
	s_mov_b64 s[2:3], 0
	s_mov_b64 s[22:23], 0
	s_waitcnt vmcnt(0)
	v_ffbh_u32_e32 v6, v9
	v_min_u32_e32 v6, 32, v6
	v_lshlrev_b64 v[8:9], v6, v[8:9]
	v_min_u32_e32 v8, 1, v8
	v_or_b32_e32 v8, v9, v8
	v_cvt_f32_u32_e32 v8, v8
	v_sub_u32_e32 v6, 32, v6
	v_ldexp_f32 v6, v8, v6
	v_bfe_u32 v8, v6, 16, 1
	v_add3_u32 v6, v6, v8, s20
	v_lshrrev_b32_e32 v6, 16, v6
	s_mov_b64 s[20:21], -1
	s_branch .LBB38_1307
.LBB38_1305:
	s_mov_b64 s[2:3], -1
                                        ; implicit-def: $vgpr6
.LBB38_1306:
	s_mov_b64 s[22:23], 0
.LBB38_1307:
	s_and_b64 vcc, exec, s[22:23]
	s_cbranch_vccz .LBB38_1325
; %bb.1308:
	v_cmp_gt_i16_e32 vcc, 27, v3
	s_cbranch_vccnz .LBB38_1311
; %bb.1309:
	v_cmp_lt_i16_e32 vcc, 27, v3
	s_cbranch_vccz .LBB38_1312
; %bb.1310:
	global_load_dword v6, v[0:1], off
	s_movk_i32 s20, 0x7fff
	s_waitcnt vmcnt(0)
	v_cvt_f32_u32_e32 v6, v6
	v_bfe_u32 v8, v6, 16, 1
	v_add3_u32 v6, v6, v8, s20
	v_lshrrev_b32_e32 v6, 16, v6
	s_mov_b64 s[20:21], 0
	s_branch .LBB38_1313
.LBB38_1311:
	s_mov_b64 s[20:21], -1
                                        ; implicit-def: $vgpr6
	s_branch .LBB38_1316
.LBB38_1312:
	s_mov_b64 s[20:21], -1
                                        ; implicit-def: $vgpr6
.LBB38_1313:
	s_andn2_b64 vcc, exec, s[20:21]
	s_cbranch_vccnz .LBB38_1315
; %bb.1314:
	global_load_ushort v6, v[0:1], off
	s_movk_i32 s20, 0x7fff
	s_waitcnt vmcnt(0)
	v_cvt_f32_u32_e32 v6, v6
	v_bfe_u32 v8, v6, 16, 1
	v_add3_u32 v6, v6, v8, s20
	v_lshrrev_b32_e32 v6, 16, v6
.LBB38_1315:
	s_mov_b64 s[20:21], 0
.LBB38_1316:
	s_andn2_b64 vcc, exec, s[20:21]
	s_cbranch_vccnz .LBB38_1324
; %bb.1317:
	global_load_ubyte v6, v[0:1], off
	s_movk_i32 s20, 0x7f
                                        ; implicit-def: $sgpr26
	s_waitcnt vmcnt(0)
	v_cmp_lt_i16_e32 vcc, s20, v6
	s_mov_b64 s[20:21], 0
	s_and_saveexec_b64 s[22:23], vcc
	s_xor_b64 s[22:23], exec, s[22:23]
	s_cbranch_execz .LBB38_1338
; %bb.1318:
	s_movk_i32 s20, 0x80
	v_cmp_eq_u16_e32 vcc, s20, v6
	s_mov_b64 s[20:21], -1
                                        ; implicit-def: $sgpr26
	s_and_saveexec_b64 s[24:25], vcc
; %bb.1319:
	s_mov_b32 s26, 0x7f800001
	s_xor_b64 s[20:21], exec, -1
; %bb.1320:
	s_or_b64 exec, exec, s[24:25]
	s_and_b64 s[20:21], s[20:21], exec
	s_or_saveexec_b64 s[22:23], s[22:23]
	v_mov_b32_e32 v8, s26
	s_xor_b64 exec, exec, s[22:23]
	s_cbranch_execnz .LBB38_1339
.LBB38_1321:
	s_or_b64 exec, exec, s[22:23]
	s_and_saveexec_b64 s[22:23], s[20:21]
	s_cbranch_execz .LBB38_1323
.LBB38_1322:
	v_lshlrev_b32_e32 v8, 24, v6
	v_and_b32_e32 v6, 0xffff, v6
	v_and_b32_e32 v9, 7, v6
	v_ffbh_u32_e32 v11, v9
	v_min_u32_e32 v11, 32, v11
	v_subrev_u32_e32 v12, 28, v11
	v_bfe_u32 v10, v6, 3, 4
	v_lshlrev_b32_e32 v6, v12, v6
	v_sub_u32_e32 v11, 29, v11
	v_and_b32_e32 v6, 7, v6
	v_cmp_eq_u32_e32 vcc, 0, v10
	v_cndmask_b32_e32 v10, v10, v11, vcc
	v_cndmask_b32_e32 v6, v9, v6, vcc
	v_mov_b32_e32 v9, 0x3b800000
	v_lshlrev_b32_e32 v6, 20, v6
	v_and_b32_e32 v8, 0x80000000, v8
	v_lshl_add_u32 v9, v10, 23, v9
	v_or3_b32 v8, v8, v9, v6
.LBB38_1323:
	s_or_b64 exec, exec, s[22:23]
	v_bfe_u32 v6, v8, 16, 1
	s_movk_i32 s20, 0x7fff
	v_add3_u32 v6, v8, v6, s20
	v_lshrrev_b32_e32 v6, 16, v6
	v_mov_b32_e32 v9, 0x7fc0
	v_cmp_o_f32_e32 vcc, v8, v8
	v_cndmask_b32_e32 v6, v9, v6, vcc
.LBB38_1324:
	s_mov_b64 s[20:21], -1
.LBB38_1325:
	s_mov_b64 s[22:23], 0
.LBB38_1326:
	s_and_b64 vcc, exec, s[22:23]
	s_cbranch_vccz .LBB38_1359
; %bb.1327:
	v_cmp_lt_i16_e32 vcc, 22, v3
	s_cbranch_vccz .LBB38_1337
; %bb.1328:
	v_cmp_gt_i16_e32 vcc, 24, v3
	s_cbranch_vccnz .LBB38_1340
; %bb.1329:
	v_cmp_lt_i16_e32 vcc, 24, v3
	s_cbranch_vccz .LBB38_1341
; %bb.1330:
	global_load_ubyte v6, v[0:1], off
	s_movk_i32 s18, 0x7f
                                        ; implicit-def: $sgpr24
	s_waitcnt vmcnt(0)
	v_cmp_lt_i16_e32 vcc, s18, v6
	s_mov_b64 s[18:19], 0
	s_and_saveexec_b64 s[20:21], vcc
	s_xor_b64 s[20:21], exec, s[20:21]
	s_cbranch_execz .LBB38_1353
; %bb.1331:
	s_movk_i32 s18, 0x80
	v_cmp_eq_u16_e32 vcc, s18, v6
	s_mov_b64 s[18:19], -1
                                        ; implicit-def: $sgpr24
	s_and_saveexec_b64 s[22:23], vcc
; %bb.1332:
	s_mov_b32 s24, 0x7f800001
	s_xor_b64 s[18:19], exec, -1
; %bb.1333:
	s_or_b64 exec, exec, s[22:23]
	s_and_b64 s[18:19], s[18:19], exec
	s_or_saveexec_b64 s[20:21], s[20:21]
	v_mov_b32_e32 v8, s24
	s_xor_b64 exec, exec, s[20:21]
	s_cbranch_execnz .LBB38_1354
.LBB38_1334:
	s_or_b64 exec, exec, s[20:21]
	s_and_saveexec_b64 s[20:21], s[18:19]
	s_cbranch_execz .LBB38_1336
.LBB38_1335:
	v_lshlrev_b32_e32 v8, 24, v6
	v_and_b32_e32 v6, 0xffff, v6
	v_and_b32_e32 v9, 3, v6
	v_ffbh_u32_e32 v11, v9
	v_min_u32_e32 v11, 32, v11
	v_subrev_u32_e32 v12, 29, v11
	v_bfe_u32 v10, v6, 2, 5
	v_lshlrev_b32_e32 v6, v12, v6
	v_sub_u32_e32 v11, 30, v11
	v_and_b32_e32 v6, 3, v6
	v_cmp_eq_u32_e32 vcc, 0, v10
	v_cndmask_b32_e32 v10, v10, v11, vcc
	v_cndmask_b32_e32 v6, v9, v6, vcc
	v_mov_b32_e32 v9, 0x37800000
	v_lshlrev_b32_e32 v6, 21, v6
	v_and_b32_e32 v8, 0x80000000, v8
	v_lshl_add_u32 v9, v10, 23, v9
	v_or3_b32 v8, v8, v9, v6
.LBB38_1336:
	s_or_b64 exec, exec, s[20:21]
	v_bfe_u32 v6, v8, 16, 1
	s_movk_i32 s18, 0x7fff
	v_add3_u32 v6, v8, v6, s18
	v_lshrrev_b32_e32 v6, 16, v6
	v_mov_b32_e32 v9, 0x7fc0
	v_cmp_o_f32_e32 vcc, v8, v8
	v_cndmask_b32_e32 v6, v9, v6, vcc
	s_mov_b64 s[18:19], 0
	s_branch .LBB38_1342
.LBB38_1337:
	s_mov_b64 s[18:19], -1
                                        ; implicit-def: $vgpr6
	s_branch .LBB38_1348
.LBB38_1338:
	s_or_saveexec_b64 s[22:23], s[22:23]
	v_mov_b32_e32 v8, s26
	s_xor_b64 exec, exec, s[22:23]
	s_cbranch_execz .LBB38_1321
.LBB38_1339:
	v_cmp_ne_u16_e32 vcc, 0, v6
	s_andn2_b64 s[20:21], s[20:21], exec
	s_and_b64 s[24:25], vcc, exec
	v_mov_b32_e32 v8, 0
	s_or_b64 s[20:21], s[20:21], s[24:25]
	s_or_b64 exec, exec, s[22:23]
	s_and_saveexec_b64 s[22:23], s[20:21]
	s_cbranch_execnz .LBB38_1322
	s_branch .LBB38_1323
.LBB38_1340:
	s_mov_b64 s[18:19], -1
                                        ; implicit-def: $vgpr6
	s_branch .LBB38_1345
.LBB38_1341:
	s_mov_b64 s[18:19], -1
                                        ; implicit-def: $vgpr6
.LBB38_1342:
	s_and_b64 vcc, exec, s[18:19]
	s_cbranch_vccz .LBB38_1344
; %bb.1343:
	global_load_ubyte v6, v[0:1], off
	s_mov_b32 s18, 0x7f800000
	s_brev_b32 s19, 1
	s_movk_i32 s20, 0x7fff
	v_mov_b32_e32 v8, 0x7fc0
	s_waitcnt vmcnt(0)
	v_lshlrev_b32_e32 v6, 24, v6
	v_and_b32_e32 v9, 0x7f000000, v6
	v_ffbh_u32_e32 v10, v9
	v_min_u32_e32 v10, 32, v10
	v_sub_u32_e64 v10, v10, 4 clamp
	v_lshlrev_b32_e32 v12, v10, v9
	v_lshlrev_b32_e32 v10, 23, v10
	v_lshrrev_b32_e32 v12, 4, v12
	v_add_u32_e32 v11, 0x1000000, v9
	v_sub_u32_e32 v10, v12, v10
	v_ashrrev_i32_e32 v11, 8, v11
	v_add_u32_e32 v10, 0x3c000000, v10
	v_and_or_b32 v10, v11, s18, v10
	v_cmp_ne_u32_e32 vcc, 0, v9
	v_cndmask_b32_e32 v9, 0, v10, vcc
	v_and_or_b32 v6, v6, s19, v9
	v_bfe_u32 v9, v9, 16, 1
	v_add3_u32 v9, v6, v9, s20
	v_lshrrev_b32_e32 v9, 16, v9
	v_cmp_o_f32_e32 vcc, v6, v6
	v_cndmask_b32_e32 v6, v8, v9, vcc
.LBB38_1344:
	s_mov_b64 s[18:19], 0
.LBB38_1345:
	s_andn2_b64 vcc, exec, s[18:19]
	s_cbranch_vccnz .LBB38_1347
; %bb.1346:
	global_load_ubyte v6, v[0:1], off
	s_movk_i32 s18, 0x7f00
	s_brev_b32 s19, 16
	s_brev_b32 s20, 1
	s_movk_i32 s21, 0x7fff
	v_mov_b32_e32 v8, 0x7fc0
	s_waitcnt vmcnt(0)
	v_lshlrev_b16_e32 v9, 8, v6
	v_lshlrev_b32_e32 v6, 25, v6
	v_lshrrev_b32_e32 v10, 4, v6
	v_and_or_b32 v11, v9, s18, 0.5
	v_or_b32_e32 v10, 0x70000000, v10
	v_add_f32_e32 v11, -0.5, v11
	v_mul_f32_e32 v10, 0x7800000, v10
	v_cmp_gt_u32_e32 vcc, s19, v6
	v_bfe_i32 v9, v9, 0, 16
	v_cndmask_b32_e32 v6, v10, v11, vcc
	v_and_or_b32 v9, v9, s20, v6
	v_bfe_u32 v6, v6, 16, 1
	v_add3_u32 v6, v9, v6, s21
	v_lshrrev_b32_e32 v6, 16, v6
	v_cmp_o_f32_e32 vcc, v9, v9
	v_cndmask_b32_e32 v6, v8, v6, vcc
.LBB38_1347:
	s_mov_b64 s[18:19], 0
	s_mov_b64 s[20:21], -1
.LBB38_1348:
	s_andn2_b64 vcc, exec, s[18:19]
	s_mov_b64 s[18:19], 0
	s_cbranch_vccnz .LBB38_1359
; %bb.1349:
	v_cmp_lt_i16_e32 vcc, 14, v3
	s_cbranch_vccz .LBB38_1352
; %bb.1350:
	v_cmp_eq_u16_e32 vcc, 15, v3
	s_cbranch_vccz .LBB38_1355
; %bb.1351:
	global_load_ushort v6, v[0:1], off
	s_mov_b64 s[2:3], 0
	s_mov_b64 s[20:21], -1
	s_branch .LBB38_1356
.LBB38_1352:
	s_mov_b64 s[22:23], -1
                                        ; implicit-def: $vgpr6
	s_branch .LBB38_1357
.LBB38_1353:
	s_or_saveexec_b64 s[20:21], s[20:21]
	v_mov_b32_e32 v8, s24
	s_xor_b64 exec, exec, s[20:21]
	s_cbranch_execz .LBB38_1334
.LBB38_1354:
	v_cmp_ne_u16_e32 vcc, 0, v6
	s_andn2_b64 s[18:19], s[18:19], exec
	s_and_b64 s[22:23], vcc, exec
	v_mov_b32_e32 v8, 0
	s_or_b64 s[18:19], s[18:19], s[22:23]
	s_or_b64 exec, exec, s[20:21]
	s_and_saveexec_b64 s[20:21], s[18:19]
	s_cbranch_execnz .LBB38_1335
	s_branch .LBB38_1336
.LBB38_1355:
	s_mov_b64 s[2:3], -1
                                        ; implicit-def: $vgpr6
.LBB38_1356:
	s_mov_b64 s[22:23], 0
.LBB38_1357:
	s_and_b64 vcc, exec, s[22:23]
	s_cbranch_vccz .LBB38_1359
; %bb.1358:
	v_cmp_ne_u16_e64 s[2:3], 11, v3
	s_mov_b64 s[18:19], -1
                                        ; implicit-def: $vgpr6
.LBB38_1359:
	s_and_b64 vcc, exec, s[2:3]
	s_cbranch_vccnz .LBB38_1422
; %bb.1360:
	s_andn2_b64 vcc, exec, s[18:19]
	s_cbranch_vccnz .LBB38_1362
.LBB38_1361:
	global_load_ubyte v6, v[0:1], off
	s_mov_b64 s[20:21], -1
	s_waitcnt vmcnt(0)
	v_cmp_ne_u16_e32 vcc, 0, v6
	v_cndmask_b32_e64 v6, 0, 1.0, vcc
	v_lshrrev_b32_e32 v6, 16, v6
.LBB38_1362:
	s_branch .LBB38_1290
.LBB38_1363:
	v_cmp_gt_i16_e32 vcc, 5, v3
	s_cbranch_vccnz .LBB38_1368
; %bb.1364:
	v_cmp_gt_i16_e32 vcc, 8, v3
	s_cbranch_vccnz .LBB38_1369
; %bb.1365:
	v_cmp_gt_i16_e32 vcc, 9, v3
	s_cbranch_vccnz .LBB38_1370
; %bb.1366:
	v_cmp_lt_i16_e32 vcc, 9, v3
	s_cbranch_vccz .LBB38_1371
; %bb.1367:
	global_load_dwordx2 v[8:9], v[0:1], off
	s_movk_i32 s2, 0x7fff
	s_waitcnt vmcnt(1)
	v_mov_b32_e32 v6, 0x7fc0
	s_waitcnt vmcnt(0)
	v_cvt_f32_f64_e32 v8, v[8:9]
	v_bfe_u32 v9, v8, 16, 1
	v_add3_u32 v9, v8, v9, s2
	v_lshrrev_b32_e32 v9, 16, v9
	v_cmp_o_f32_e32 vcc, v8, v8
	v_cndmask_b32_e32 v6, v6, v9, vcc
	s_mov_b64 s[2:3], 0
	s_branch .LBB38_1372
.LBB38_1368:
	s_mov_b64 s[2:3], -1
                                        ; implicit-def: $vgpr6
	s_branch .LBB38_1390
.LBB38_1369:
	s_mov_b64 s[2:3], -1
                                        ; implicit-def: $vgpr6
	s_branch .LBB38_1378
.LBB38_1370:
	s_mov_b64 s[2:3], -1
                                        ; implicit-def: $vgpr6
	s_branch .LBB38_1375
.LBB38_1371:
	s_mov_b64 s[2:3], -1
                                        ; implicit-def: $vgpr6
.LBB38_1372:
	s_andn2_b64 vcc, exec, s[2:3]
	s_cbranch_vccnz .LBB38_1374
; %bb.1373:
	global_load_dword v6, v[0:1], off
	s_movk_i32 s2, 0x7fff
	v_mov_b32_e32 v8, 0x7fc0
	s_waitcnt vmcnt(0)
	v_bfe_u32 v9, v6, 16, 1
	v_add3_u32 v9, v6, v9, s2
	v_lshrrev_b32_e32 v9, 16, v9
	v_cmp_o_f32_e32 vcc, v6, v6
	v_cndmask_b32_e32 v6, v8, v9, vcc
.LBB38_1374:
	s_mov_b64 s[2:3], 0
.LBB38_1375:
	s_andn2_b64 vcc, exec, s[2:3]
	s_cbranch_vccnz .LBB38_1377
; %bb.1376:
	global_load_dword v6, v[0:1], off
	s_movk_i32 s2, 0x7fff
	v_mov_b32_e32 v9, 0x7fc0
	s_waitcnt vmcnt(0)
	v_cvt_f32_f16_e32 v8, v6
	v_cmp_o_f16_e32 vcc, v6, v6
	v_bfe_u32 v10, v8, 16, 1
	v_add3_u32 v8, v8, v10, s2
	v_lshrrev_b32_e32 v8, 16, v8
	v_cndmask_b32_e32 v6, v9, v8, vcc
.LBB38_1377:
	s_mov_b64 s[2:3], 0
.LBB38_1378:
	s_andn2_b64 vcc, exec, s[2:3]
	s_cbranch_vccnz .LBB38_1389
; %bb.1379:
	v_cmp_gt_i16_e32 vcc, 6, v3
	s_cbranch_vccnz .LBB38_1382
; %bb.1380:
	v_cmp_lt_i16_e32 vcc, 6, v3
	s_cbranch_vccz .LBB38_1383
; %bb.1381:
	global_load_dwordx2 v[8:9], v[0:1], off
	s_movk_i32 s2, 0x7fff
	s_waitcnt vmcnt(1)
	v_mov_b32_e32 v6, 0x7fc0
	s_waitcnt vmcnt(0)
	v_cvt_f32_f64_e32 v8, v[8:9]
	v_bfe_u32 v9, v8, 16, 1
	v_add3_u32 v9, v8, v9, s2
	v_lshrrev_b32_e32 v9, 16, v9
	v_cmp_o_f32_e32 vcc, v8, v8
	v_cndmask_b32_e32 v6, v6, v9, vcc
	s_mov_b64 s[2:3], 0
	s_branch .LBB38_1384
.LBB38_1382:
	s_mov_b64 s[2:3], -1
                                        ; implicit-def: $vgpr6
	s_branch .LBB38_1387
.LBB38_1383:
	s_mov_b64 s[2:3], -1
                                        ; implicit-def: $vgpr6
.LBB38_1384:
	s_andn2_b64 vcc, exec, s[2:3]
	s_cbranch_vccnz .LBB38_1386
; %bb.1385:
	global_load_dword v6, v[0:1], off
	s_movk_i32 s2, 0x7fff
	v_mov_b32_e32 v8, 0x7fc0
	s_waitcnt vmcnt(0)
	v_bfe_u32 v9, v6, 16, 1
	v_add3_u32 v9, v6, v9, s2
	v_lshrrev_b32_e32 v9, 16, v9
	v_cmp_o_f32_e32 vcc, v6, v6
	v_cndmask_b32_e32 v6, v8, v9, vcc
.LBB38_1386:
	s_mov_b64 s[2:3], 0
.LBB38_1387:
	s_andn2_b64 vcc, exec, s[2:3]
	s_cbranch_vccnz .LBB38_1389
; %bb.1388:
	global_load_ushort v6, v[0:1], off
	s_movk_i32 s2, 0x7fff
	v_mov_b32_e32 v9, 0x7fc0
	s_waitcnt vmcnt(0)
	v_cvt_f32_f16_e32 v8, v6
	v_cmp_o_f16_e32 vcc, v6, v6
	v_bfe_u32 v10, v8, 16, 1
	v_add3_u32 v8, v8, v10, s2
	v_lshrrev_b32_e32 v8, 16, v8
	v_cndmask_b32_e32 v6, v9, v8, vcc
.LBB38_1389:
	s_mov_b64 s[2:3], 0
.LBB38_1390:
	s_andn2_b64 vcc, exec, s[2:3]
	s_cbranch_vccnz .LBB38_1410
; %bb.1391:
	v_cmp_gt_i16_e32 vcc, 2, v3
	s_cbranch_vccnz .LBB38_1395
; %bb.1392:
	v_cmp_gt_i16_e32 vcc, 3, v3
	s_cbranch_vccnz .LBB38_1396
; %bb.1393:
	v_cmp_lt_i16_e32 vcc, 3, v3
	s_cbranch_vccz .LBB38_1397
; %bb.1394:
	global_load_dwordx2 v[8:9], v[0:1], off
	s_movk_i32 s2, 0x7fff
	s_waitcnt vmcnt(0)
	v_xor_b32_e32 v10, v8, v9
	v_ffbh_i32_e32 v6, v9
	v_ashrrev_i32_e32 v10, 31, v10
	v_add_u32_e32 v6, -1, v6
	v_add_u32_e32 v10, 32, v10
	v_min_u32_e32 v6, v6, v10
	v_lshlrev_b64 v[8:9], v6, v[8:9]
	v_min_u32_e32 v8, 1, v8
	v_or_b32_e32 v8, v9, v8
	v_cvt_f32_i32_e32 v8, v8
	v_sub_u32_e32 v6, 32, v6
	v_ldexp_f32 v6, v8, v6
	v_bfe_u32 v8, v6, 16, 1
	v_add3_u32 v6, v6, v8, s2
	v_lshrrev_b32_e32 v6, 16, v6
	s_mov_b64 s[2:3], 0
	s_branch .LBB38_1398
.LBB38_1395:
	s_mov_b64 s[2:3], -1
                                        ; implicit-def: $vgpr6
	s_branch .LBB38_1404
.LBB38_1396:
	s_mov_b64 s[2:3], -1
                                        ; implicit-def: $vgpr6
	s_branch .LBB38_1401
.LBB38_1397:
	s_mov_b64 s[2:3], -1
                                        ; implicit-def: $vgpr6
.LBB38_1398:
	s_andn2_b64 vcc, exec, s[2:3]
	s_cbranch_vccnz .LBB38_1400
; %bb.1399:
	global_load_dword v6, v[0:1], off
	s_movk_i32 s2, 0x7fff
	s_waitcnt vmcnt(0)
	v_cvt_f32_i32_e32 v6, v6
	v_bfe_u32 v8, v6, 16, 1
	v_add3_u32 v6, v6, v8, s2
	v_lshrrev_b32_e32 v6, 16, v6
.LBB38_1400:
	s_mov_b64 s[2:3], 0
.LBB38_1401:
	s_andn2_b64 vcc, exec, s[2:3]
	s_cbranch_vccnz .LBB38_1403
; %bb.1402:
	global_load_sshort v6, v[0:1], off
	s_movk_i32 s2, 0x7fff
	s_waitcnt vmcnt(0)
	v_cvt_f32_i32_e32 v6, v6
	v_bfe_u32 v8, v6, 16, 1
	v_add3_u32 v6, v6, v8, s2
	v_lshrrev_b32_e32 v6, 16, v6
.LBB38_1403:
	s_mov_b64 s[2:3], 0
.LBB38_1404:
	s_andn2_b64 vcc, exec, s[2:3]
	s_cbranch_vccnz .LBB38_1410
; %bb.1405:
	v_cmp_lt_i16_e32 vcc, 0, v3
	s_cbranch_vccz .LBB38_1407
; %bb.1406:
	global_load_sbyte v6, v[0:1], off
	s_movk_i32 s2, 0x7fff
	s_waitcnt vmcnt(0)
	v_cvt_f32_i32_e32 v6, v6
	v_bfe_u32 v8, v6, 16, 1
	v_add3_u32 v6, v6, v8, s2
	v_lshrrev_b32_e32 v6, 16, v6
	s_mov_b64 s[2:3], 0
	s_branch .LBB38_1408
.LBB38_1407:
	s_mov_b64 s[2:3], -1
                                        ; implicit-def: $vgpr6
.LBB38_1408:
	s_andn2_b64 vcc, exec, s[2:3]
	s_cbranch_vccnz .LBB38_1410
; %bb.1409:
	global_load_ubyte v0, v[0:1], off
	s_movk_i32 s2, 0x7fff
	s_waitcnt vmcnt(0)
	v_cvt_f32_ubyte0_e32 v0, v0
	v_bfe_u32 v1, v0, 16, 1
	v_add3_u32 v0, v0, v1, s2
	v_lshrrev_b32_e32 v6, 16, v0
.LBB38_1410:
.LBB38_1411:
	v_add_u32_e32 v0, s13, v7
	v_ashrrev_i32_e32 v1, 31, v0
	v_mov_b32_e32 v7, s11
	v_add_co_u32_e32 v0, vcc, s10, v0
	v_addc_co_u32_e32 v1, vcc, v7, v1, vcc
	s_and_b64 vcc, exec, s[0:1]
	s_cbranch_vccnz .LBB38_1418
; %bb.1412:
	v_cmp_lt_i16_e32 vcc, 25, v3
	s_mov_b64 s[2:3], 0
	s_cbranch_vccz .LBB38_1419
; %bb.1413:
	v_cmp_lt_i16_e32 vcc, 28, v3
	s_cbranch_vccz .LBB38_1420
; %bb.1414:
	v_cmp_lt_i16_e32 vcc, 43, v3
	;; [unrolled: 3-line block ×3, first 2 shown]
	s_cbranch_vccz .LBB38_1423
; %bb.1416:
	v_cmp_eq_u16_e32 vcc, 46, v3
	s_mov_b64 s[18:19], 0
	s_cbranch_vccz .LBB38_1424
; %bb.1417:
	global_load_dword v7, v[0:1], off
	s_mov_b64 s[0:1], 0
	s_mov_b64 s[10:11], -1
	s_branch .LBB38_1425
.LBB38_1418:
	s_mov_b64 s[0:1], -1
	s_mov_b64 s[10:11], 0
                                        ; implicit-def: $vgpr7
	s_branch .LBB38_1491
.LBB38_1419:
	s_mov_b64 s[18:19], -1
	s_mov_b64 s[10:11], 0
	s_mov_b64 s[0:1], 0
                                        ; implicit-def: $vgpr7
	s_branch .LBB38_1454
.LBB38_1420:
	s_mov_b64 s[18:19], -1
	s_mov_b64 s[10:11], 0
	s_mov_b64 s[0:1], 0
                                        ; implicit-def: $vgpr7
	s_branch .LBB38_1435
.LBB38_1421:
	s_mov_b64 s[18:19], -1
	s_mov_b64 s[10:11], 0
	s_mov_b64 s[0:1], 0
                                        ; implicit-def: $vgpr7
	s_branch .LBB38_1430
.LBB38_1422:
	s_trap 2
	s_or_b64 s[16:17], s[16:17], exec
                                        ; implicit-def: $vgpr6
	s_cbranch_execz .LBB38_1361
	s_branch .LBB38_1362
.LBB38_1423:
	s_mov_b64 s[18:19], -1
	s_mov_b64 s[10:11], 0
	s_mov_b64 s[0:1], 0
                                        ; implicit-def: $vgpr7
	s_branch .LBB38_1425
.LBB38_1424:
	s_mov_b64 s[0:1], -1
                                        ; implicit-def: $vgpr7
	s_mov_b64 s[10:11], 0
.LBB38_1425:
	s_and_b64 vcc, exec, s[18:19]
	s_cbranch_vccz .LBB38_1429
; %bb.1426:
	v_cmp_eq_u16_e32 vcc, 44, v3
	s_cbranch_vccz .LBB38_1428
; %bb.1427:
	global_load_ubyte v7, v[0:1], off
	s_movk_i32 s10, 0xff
	v_mov_b32_e32 v8, 0x7f800001
	v_mov_b32_e32 v9, 0x400000
	;; [unrolled: 1-line block ×3, first 2 shown]
	s_mov_b64 s[0:1], 0
	s_waitcnt vmcnt(0)
	v_lshlrev_b32_e32 v11, 23, v7
	v_cmp_ne_u32_e32 vcc, s10, v7
	v_cndmask_b32_e32 v8, v8, v11, vcc
	v_cmp_ne_u32_e32 vcc, 0, v7
	v_cndmask_b32_e32 v7, v9, v8, vcc
	v_add_u32_e32 v8, 0x7fff, v7
	v_lshrrev_b32_e32 v8, 16, v8
	v_cmp_o_f32_e32 vcc, v7, v7
	v_cndmask_b32_e32 v7, v10, v8, vcc
	s_mov_b64 s[10:11], -1
	s_branch .LBB38_1429
.LBB38_1428:
	s_mov_b64 s[0:1], -1
                                        ; implicit-def: $vgpr7
.LBB38_1429:
	s_mov_b64 s[18:19], 0
.LBB38_1430:
	s_and_b64 vcc, exec, s[18:19]
	s_cbranch_vccz .LBB38_1434
; %bb.1431:
	v_cmp_eq_u16_e32 vcc, 29, v3
	s_cbranch_vccz .LBB38_1433
; %bb.1432:
	global_load_dwordx2 v[8:9], v[0:1], off
	s_movk_i32 s10, 0x7fff
	s_mov_b64 s[0:1], 0
	s_mov_b64 s[18:19], 0
	s_waitcnt vmcnt(0)
	v_ffbh_u32_e32 v7, v9
	v_min_u32_e32 v7, 32, v7
	v_lshlrev_b64 v[8:9], v7, v[8:9]
	v_min_u32_e32 v8, 1, v8
	v_or_b32_e32 v8, v9, v8
	v_cvt_f32_u32_e32 v8, v8
	v_sub_u32_e32 v7, 32, v7
	v_ldexp_f32 v7, v8, v7
	v_bfe_u32 v8, v7, 16, 1
	v_add3_u32 v7, v7, v8, s10
	v_lshrrev_b32_e32 v7, 16, v7
	s_mov_b64 s[10:11], -1
	s_branch .LBB38_1435
.LBB38_1433:
	s_mov_b64 s[0:1], -1
                                        ; implicit-def: $vgpr7
.LBB38_1434:
	s_mov_b64 s[18:19], 0
.LBB38_1435:
	s_and_b64 vcc, exec, s[18:19]
	s_cbranch_vccz .LBB38_1453
; %bb.1436:
	v_cmp_gt_i16_e32 vcc, 27, v3
	s_cbranch_vccnz .LBB38_1439
; %bb.1437:
	v_cmp_lt_i16_e32 vcc, 27, v3
	s_cbranch_vccz .LBB38_1440
; %bb.1438:
	global_load_dword v7, v[0:1], off
	s_movk_i32 s10, 0x7fff
	s_waitcnt vmcnt(0)
	v_cvt_f32_u32_e32 v7, v7
	v_bfe_u32 v8, v7, 16, 1
	v_add3_u32 v7, v7, v8, s10
	v_lshrrev_b32_e32 v7, 16, v7
	s_mov_b64 s[10:11], 0
	s_branch .LBB38_1441
.LBB38_1439:
	s_mov_b64 s[10:11], -1
                                        ; implicit-def: $vgpr7
	s_branch .LBB38_1444
.LBB38_1440:
	s_mov_b64 s[10:11], -1
                                        ; implicit-def: $vgpr7
.LBB38_1441:
	s_andn2_b64 vcc, exec, s[10:11]
	s_cbranch_vccnz .LBB38_1443
; %bb.1442:
	global_load_ushort v7, v[0:1], off
	s_movk_i32 s10, 0x7fff
	s_waitcnt vmcnt(0)
	v_cvt_f32_u32_e32 v7, v7
	v_bfe_u32 v8, v7, 16, 1
	v_add3_u32 v7, v7, v8, s10
	v_lshrrev_b32_e32 v7, 16, v7
.LBB38_1443:
	s_mov_b64 s[10:11], 0
.LBB38_1444:
	s_andn2_b64 vcc, exec, s[10:11]
	s_cbranch_vccnz .LBB38_1452
; %bb.1445:
	global_load_ubyte v7, v[0:1], off
	s_movk_i32 s10, 0x7f
                                        ; implicit-def: $sgpr13
	s_waitcnt vmcnt(0)
	v_cmp_lt_i16_e32 vcc, s10, v7
	s_mov_b64 s[10:11], 0
	s_and_saveexec_b64 s[18:19], vcc
	s_xor_b64 s[18:19], exec, s[18:19]
	s_cbranch_execz .LBB38_1466
; %bb.1446:
	s_movk_i32 s10, 0x80
	v_cmp_eq_u16_e32 vcc, s10, v7
	s_mov_b64 s[10:11], -1
                                        ; implicit-def: $sgpr13
	s_and_saveexec_b64 s[20:21], vcc
; %bb.1447:
	s_mov_b32 s13, 0x7f800001
	s_xor_b64 s[10:11], exec, -1
; %bb.1448:
	s_or_b64 exec, exec, s[20:21]
	s_and_b64 s[10:11], s[10:11], exec
	s_or_saveexec_b64 s[18:19], s[18:19]
	v_mov_b32_e32 v8, s13
	s_xor_b64 exec, exec, s[18:19]
	s_cbranch_execnz .LBB38_1467
.LBB38_1449:
	s_or_b64 exec, exec, s[18:19]
	s_and_saveexec_b64 s[18:19], s[10:11]
	s_cbranch_execz .LBB38_1451
.LBB38_1450:
	v_lshlrev_b32_e32 v8, 24, v7
	v_and_b32_e32 v7, 0xffff, v7
	v_and_b32_e32 v9, 7, v7
	v_ffbh_u32_e32 v11, v9
	v_min_u32_e32 v11, 32, v11
	v_subrev_u32_e32 v12, 28, v11
	v_bfe_u32 v10, v7, 3, 4
	v_lshlrev_b32_e32 v7, v12, v7
	v_sub_u32_e32 v11, 29, v11
	v_and_b32_e32 v7, 7, v7
	v_cmp_eq_u32_e32 vcc, 0, v10
	v_cndmask_b32_e32 v10, v10, v11, vcc
	v_cndmask_b32_e32 v7, v9, v7, vcc
	v_mov_b32_e32 v9, 0x3b800000
	v_lshlrev_b32_e32 v7, 20, v7
	v_and_b32_e32 v8, 0x80000000, v8
	v_lshl_add_u32 v9, v10, 23, v9
	v_or3_b32 v8, v8, v9, v7
.LBB38_1451:
	s_or_b64 exec, exec, s[18:19]
	v_bfe_u32 v7, v8, 16, 1
	s_movk_i32 s10, 0x7fff
	v_add3_u32 v7, v8, v7, s10
	v_lshrrev_b32_e32 v7, 16, v7
	v_mov_b32_e32 v9, 0x7fc0
	v_cmp_o_f32_e32 vcc, v8, v8
	v_cndmask_b32_e32 v7, v9, v7, vcc
.LBB38_1452:
	s_mov_b64 s[10:11], -1
.LBB38_1453:
	s_mov_b64 s[18:19], 0
.LBB38_1454:
	s_and_b64 vcc, exec, s[18:19]
	s_cbranch_vccz .LBB38_1487
; %bb.1455:
	v_cmp_lt_i16_e32 vcc, 22, v3
	s_cbranch_vccz .LBB38_1465
; %bb.1456:
	v_cmp_gt_i16_e32 vcc, 24, v3
	s_cbranch_vccnz .LBB38_1468
; %bb.1457:
	v_cmp_lt_i16_e32 vcc, 24, v3
	s_cbranch_vccz .LBB38_1469
; %bb.1458:
	global_load_ubyte v7, v[0:1], off
	s_movk_i32 s2, 0x7f
                                        ; implicit-def: $sgpr13
	s_waitcnt vmcnt(0)
	v_cmp_lt_i16_e32 vcc, s2, v7
	s_mov_b64 s[2:3], 0
	s_and_saveexec_b64 s[10:11], vcc
	s_xor_b64 s[10:11], exec, s[10:11]
	s_cbranch_execz .LBB38_1481
; %bb.1459:
	s_movk_i32 s2, 0x80
	v_cmp_eq_u16_e32 vcc, s2, v7
	s_mov_b64 s[2:3], -1
                                        ; implicit-def: $sgpr13
	s_and_saveexec_b64 s[18:19], vcc
; %bb.1460:
	s_mov_b32 s13, 0x7f800001
	s_xor_b64 s[2:3], exec, -1
; %bb.1461:
	s_or_b64 exec, exec, s[18:19]
	s_and_b64 s[2:3], s[2:3], exec
	s_or_saveexec_b64 s[10:11], s[10:11]
	v_mov_b32_e32 v8, s13
	s_xor_b64 exec, exec, s[10:11]
	s_cbranch_execnz .LBB38_1482
.LBB38_1462:
	s_or_b64 exec, exec, s[10:11]
	s_and_saveexec_b64 s[10:11], s[2:3]
	s_cbranch_execz .LBB38_1464
.LBB38_1463:
	v_lshlrev_b32_e32 v8, 24, v7
	v_and_b32_e32 v7, 0xffff, v7
	v_and_b32_e32 v9, 3, v7
	v_ffbh_u32_e32 v11, v9
	v_min_u32_e32 v11, 32, v11
	v_subrev_u32_e32 v12, 29, v11
	v_bfe_u32 v10, v7, 2, 5
	v_lshlrev_b32_e32 v7, v12, v7
	v_sub_u32_e32 v11, 30, v11
	v_and_b32_e32 v7, 3, v7
	v_cmp_eq_u32_e32 vcc, 0, v10
	v_cndmask_b32_e32 v10, v10, v11, vcc
	v_cndmask_b32_e32 v7, v9, v7, vcc
	v_mov_b32_e32 v9, 0x37800000
	v_lshlrev_b32_e32 v7, 21, v7
	v_and_b32_e32 v8, 0x80000000, v8
	v_lshl_add_u32 v9, v10, 23, v9
	v_or3_b32 v8, v8, v9, v7
.LBB38_1464:
	s_or_b64 exec, exec, s[10:11]
	v_bfe_u32 v7, v8, 16, 1
	s_movk_i32 s2, 0x7fff
	v_add3_u32 v7, v8, v7, s2
	v_lshrrev_b32_e32 v7, 16, v7
	v_mov_b32_e32 v9, 0x7fc0
	v_cmp_o_f32_e32 vcc, v8, v8
	v_cndmask_b32_e32 v7, v9, v7, vcc
	s_mov_b64 s[2:3], 0
	s_branch .LBB38_1470
.LBB38_1465:
	s_mov_b64 s[2:3], -1
                                        ; implicit-def: $vgpr7
	s_branch .LBB38_1476
.LBB38_1466:
	s_or_saveexec_b64 s[18:19], s[18:19]
	v_mov_b32_e32 v8, s13
	s_xor_b64 exec, exec, s[18:19]
	s_cbranch_execz .LBB38_1449
.LBB38_1467:
	v_cmp_ne_u16_e32 vcc, 0, v7
	s_andn2_b64 s[10:11], s[10:11], exec
	s_and_b64 s[20:21], vcc, exec
	v_mov_b32_e32 v8, 0
	s_or_b64 s[10:11], s[10:11], s[20:21]
	s_or_b64 exec, exec, s[18:19]
	s_and_saveexec_b64 s[18:19], s[10:11]
	s_cbranch_execnz .LBB38_1450
	s_branch .LBB38_1451
.LBB38_1468:
	s_mov_b64 s[2:3], -1
                                        ; implicit-def: $vgpr7
	s_branch .LBB38_1473
.LBB38_1469:
	s_mov_b64 s[2:3], -1
                                        ; implicit-def: $vgpr7
.LBB38_1470:
	s_and_b64 vcc, exec, s[2:3]
	s_cbranch_vccz .LBB38_1472
; %bb.1471:
	global_load_ubyte v7, v[0:1], off
	s_mov_b32 s2, 0x7f800000
	s_brev_b32 s3, 1
	s_movk_i32 s10, 0x7fff
	v_mov_b32_e32 v8, 0x7fc0
	s_waitcnt vmcnt(0)
	v_lshlrev_b32_e32 v7, 24, v7
	v_and_b32_e32 v9, 0x7f000000, v7
	v_ffbh_u32_e32 v10, v9
	v_min_u32_e32 v10, 32, v10
	v_sub_u32_e64 v10, v10, 4 clamp
	v_lshlrev_b32_e32 v12, v10, v9
	v_lshlrev_b32_e32 v10, 23, v10
	v_lshrrev_b32_e32 v12, 4, v12
	v_add_u32_e32 v11, 0x1000000, v9
	v_sub_u32_e32 v10, v12, v10
	v_ashrrev_i32_e32 v11, 8, v11
	v_add_u32_e32 v10, 0x3c000000, v10
	v_and_or_b32 v10, v11, s2, v10
	v_cmp_ne_u32_e32 vcc, 0, v9
	v_cndmask_b32_e32 v9, 0, v10, vcc
	v_and_or_b32 v7, v7, s3, v9
	v_bfe_u32 v9, v9, 16, 1
	v_add3_u32 v9, v7, v9, s10
	v_lshrrev_b32_e32 v9, 16, v9
	v_cmp_o_f32_e32 vcc, v7, v7
	v_cndmask_b32_e32 v7, v8, v9, vcc
.LBB38_1472:
	s_mov_b64 s[2:3], 0
.LBB38_1473:
	s_andn2_b64 vcc, exec, s[2:3]
	s_cbranch_vccnz .LBB38_1475
; %bb.1474:
	global_load_ubyte v7, v[0:1], off
	s_movk_i32 s2, 0x7f00
	s_brev_b32 s3, 16
	s_brev_b32 s10, 1
	s_movk_i32 s11, 0x7fff
	v_mov_b32_e32 v8, 0x7fc0
	s_waitcnt vmcnt(0)
	v_lshlrev_b16_e32 v9, 8, v7
	v_lshlrev_b32_e32 v7, 25, v7
	v_lshrrev_b32_e32 v10, 4, v7
	v_and_or_b32 v11, v9, s2, 0.5
	v_or_b32_e32 v10, 0x70000000, v10
	v_add_f32_e32 v11, -0.5, v11
	v_mul_f32_e32 v10, 0x7800000, v10
	v_cmp_gt_u32_e32 vcc, s3, v7
	v_bfe_i32 v9, v9, 0, 16
	v_cndmask_b32_e32 v7, v10, v11, vcc
	v_and_or_b32 v9, v9, s10, v7
	v_bfe_u32 v7, v7, 16, 1
	v_add3_u32 v7, v9, v7, s11
	v_lshrrev_b32_e32 v7, 16, v7
	v_cmp_o_f32_e32 vcc, v9, v9
	v_cndmask_b32_e32 v7, v8, v7, vcc
.LBB38_1475:
	s_mov_b64 s[2:3], 0
	s_mov_b64 s[10:11], -1
.LBB38_1476:
	s_andn2_b64 vcc, exec, s[2:3]
	s_mov_b64 s[2:3], 0
	s_cbranch_vccnz .LBB38_1487
; %bb.1477:
	v_cmp_lt_i16_e32 vcc, 14, v3
	s_cbranch_vccz .LBB38_1480
; %bb.1478:
	v_cmp_eq_u16_e32 vcc, 15, v3
	s_cbranch_vccz .LBB38_1483
; %bb.1479:
	global_load_ushort v7, v[0:1], off
	s_mov_b64 s[0:1], 0
	s_mov_b64 s[10:11], -1
	s_branch .LBB38_1484
.LBB38_1480:
	s_mov_b64 s[18:19], -1
                                        ; implicit-def: $vgpr7
	s_branch .LBB38_1485
.LBB38_1481:
	s_or_saveexec_b64 s[10:11], s[10:11]
	v_mov_b32_e32 v8, s13
	s_xor_b64 exec, exec, s[10:11]
	s_cbranch_execz .LBB38_1462
.LBB38_1482:
	v_cmp_ne_u16_e32 vcc, 0, v7
	s_andn2_b64 s[2:3], s[2:3], exec
	s_and_b64 s[18:19], vcc, exec
	v_mov_b32_e32 v8, 0
	s_or_b64 s[2:3], s[2:3], s[18:19]
	s_or_b64 exec, exec, s[10:11]
	s_and_saveexec_b64 s[10:11], s[2:3]
	s_cbranch_execnz .LBB38_1463
	s_branch .LBB38_1464
.LBB38_1483:
	s_mov_b64 s[0:1], -1
                                        ; implicit-def: $vgpr7
.LBB38_1484:
	s_mov_b64 s[18:19], 0
.LBB38_1485:
	s_and_b64 vcc, exec, s[18:19]
	s_cbranch_vccz .LBB38_1487
; %bb.1486:
	v_cmp_ne_u16_e64 s[0:1], 11, v3
	s_mov_b64 s[2:3], -1
                                        ; implicit-def: $vgpr7
.LBB38_1487:
	s_and_b64 vcc, exec, s[0:1]
	s_cbranch_vccnz .LBB38_1551
; %bb.1488:
	s_andn2_b64 vcc, exec, s[2:3]
	s_cbranch_vccnz .LBB38_1490
.LBB38_1489:
	global_load_ubyte v7, v[0:1], off
	s_mov_b64 s[10:11], -1
	s_waitcnt vmcnt(0)
	v_cmp_ne_u16_e32 vcc, 0, v7
	v_cndmask_b32_e64 v7, 0, 1.0, vcc
	v_lshrrev_b32_e32 v7, 16, v7
.LBB38_1490:
	s_mov_b64 s[0:1], 0
.LBB38_1491:
	s_and_b64 vcc, exec, s[0:1]
	s_cbranch_vccz .LBB38_1540
; %bb.1492:
	v_cmp_gt_i16_e32 vcc, 5, v3
	s_cbranch_vccnz .LBB38_1497
; %bb.1493:
	v_cmp_gt_i16_e32 vcc, 8, v3
	s_cbranch_vccnz .LBB38_1498
	;; [unrolled: 3-line block ×3, first 2 shown]
; %bb.1495:
	v_cmp_lt_i16_e32 vcc, 9, v3
	s_cbranch_vccz .LBB38_1500
; %bb.1496:
	global_load_dwordx2 v[8:9], v[0:1], off
	s_movk_i32 s0, 0x7fff
	s_waitcnt vmcnt(1)
	v_mov_b32_e32 v7, 0x7fc0
	s_waitcnt vmcnt(0)
	v_cvt_f32_f64_e32 v8, v[8:9]
	v_bfe_u32 v9, v8, 16, 1
	v_add3_u32 v9, v8, v9, s0
	v_lshrrev_b32_e32 v9, 16, v9
	v_cmp_o_f32_e32 vcc, v8, v8
	v_cndmask_b32_e32 v7, v7, v9, vcc
	s_mov_b64 s[0:1], 0
	s_branch .LBB38_1501
.LBB38_1497:
	s_mov_b64 s[0:1], -1
                                        ; implicit-def: $vgpr7
	s_branch .LBB38_1519
.LBB38_1498:
	s_mov_b64 s[0:1], -1
                                        ; implicit-def: $vgpr7
	s_branch .LBB38_1507
.LBB38_1499:
	s_mov_b64 s[0:1], -1
                                        ; implicit-def: $vgpr7
	s_branch .LBB38_1504
.LBB38_1500:
	s_mov_b64 s[0:1], -1
                                        ; implicit-def: $vgpr7
.LBB38_1501:
	s_andn2_b64 vcc, exec, s[0:1]
	s_cbranch_vccnz .LBB38_1503
; %bb.1502:
	global_load_dword v7, v[0:1], off
	s_movk_i32 s0, 0x7fff
	v_mov_b32_e32 v8, 0x7fc0
	s_waitcnt vmcnt(0)
	v_bfe_u32 v9, v7, 16, 1
	v_add3_u32 v9, v7, v9, s0
	v_lshrrev_b32_e32 v9, 16, v9
	v_cmp_o_f32_e32 vcc, v7, v7
	v_cndmask_b32_e32 v7, v8, v9, vcc
.LBB38_1503:
	s_mov_b64 s[0:1], 0
.LBB38_1504:
	s_andn2_b64 vcc, exec, s[0:1]
	s_cbranch_vccnz .LBB38_1506
; %bb.1505:
	global_load_dword v7, v[0:1], off
	s_movk_i32 s0, 0x7fff
	v_mov_b32_e32 v9, 0x7fc0
	s_waitcnt vmcnt(0)
	v_cvt_f32_f16_e32 v8, v7
	v_cmp_o_f16_e32 vcc, v7, v7
	v_bfe_u32 v10, v8, 16, 1
	v_add3_u32 v8, v8, v10, s0
	v_lshrrev_b32_e32 v8, 16, v8
	v_cndmask_b32_e32 v7, v9, v8, vcc
.LBB38_1506:
	s_mov_b64 s[0:1], 0
.LBB38_1507:
	s_andn2_b64 vcc, exec, s[0:1]
	s_cbranch_vccnz .LBB38_1518
; %bb.1508:
	v_cmp_gt_i16_e32 vcc, 6, v3
	s_cbranch_vccnz .LBB38_1511
; %bb.1509:
	v_cmp_lt_i16_e32 vcc, 6, v3
	s_cbranch_vccz .LBB38_1512
; %bb.1510:
	global_load_dwordx2 v[8:9], v[0:1], off
	s_movk_i32 s0, 0x7fff
	s_waitcnt vmcnt(1)
	v_mov_b32_e32 v7, 0x7fc0
	s_waitcnt vmcnt(0)
	v_cvt_f32_f64_e32 v8, v[8:9]
	v_bfe_u32 v9, v8, 16, 1
	v_add3_u32 v9, v8, v9, s0
	v_lshrrev_b32_e32 v9, 16, v9
	v_cmp_o_f32_e32 vcc, v8, v8
	v_cndmask_b32_e32 v7, v7, v9, vcc
	s_mov_b64 s[0:1], 0
	s_branch .LBB38_1513
.LBB38_1511:
	s_mov_b64 s[0:1], -1
                                        ; implicit-def: $vgpr7
	s_branch .LBB38_1516
.LBB38_1512:
	s_mov_b64 s[0:1], -1
                                        ; implicit-def: $vgpr7
.LBB38_1513:
	s_andn2_b64 vcc, exec, s[0:1]
	s_cbranch_vccnz .LBB38_1515
; %bb.1514:
	global_load_dword v7, v[0:1], off
	s_movk_i32 s0, 0x7fff
	v_mov_b32_e32 v8, 0x7fc0
	s_waitcnt vmcnt(0)
	v_bfe_u32 v9, v7, 16, 1
	v_add3_u32 v9, v7, v9, s0
	v_lshrrev_b32_e32 v9, 16, v9
	v_cmp_o_f32_e32 vcc, v7, v7
	v_cndmask_b32_e32 v7, v8, v9, vcc
.LBB38_1515:
	s_mov_b64 s[0:1], 0
.LBB38_1516:
	s_andn2_b64 vcc, exec, s[0:1]
	s_cbranch_vccnz .LBB38_1518
; %bb.1517:
	global_load_ushort v7, v[0:1], off
	s_movk_i32 s0, 0x7fff
	v_mov_b32_e32 v9, 0x7fc0
	s_waitcnt vmcnt(0)
	v_cvt_f32_f16_e32 v8, v7
	v_cmp_o_f16_e32 vcc, v7, v7
	v_bfe_u32 v10, v8, 16, 1
	v_add3_u32 v8, v8, v10, s0
	v_lshrrev_b32_e32 v8, 16, v8
	v_cndmask_b32_e32 v7, v9, v8, vcc
.LBB38_1518:
	s_mov_b64 s[0:1], 0
.LBB38_1519:
	s_andn2_b64 vcc, exec, s[0:1]
	s_cbranch_vccnz .LBB38_1539
; %bb.1520:
	v_cmp_gt_i16_e32 vcc, 2, v3
	s_cbranch_vccnz .LBB38_1524
; %bb.1521:
	v_cmp_gt_i16_e32 vcc, 3, v3
	s_cbranch_vccnz .LBB38_1525
; %bb.1522:
	v_cmp_lt_i16_e32 vcc, 3, v3
	s_cbranch_vccz .LBB38_1526
; %bb.1523:
	global_load_dwordx2 v[8:9], v[0:1], off
	s_movk_i32 s0, 0x7fff
	s_waitcnt vmcnt(0)
	v_xor_b32_e32 v10, v8, v9
	v_ffbh_i32_e32 v7, v9
	v_ashrrev_i32_e32 v10, 31, v10
	v_add_u32_e32 v7, -1, v7
	v_add_u32_e32 v10, 32, v10
	v_min_u32_e32 v7, v7, v10
	v_lshlrev_b64 v[8:9], v7, v[8:9]
	v_min_u32_e32 v8, 1, v8
	v_or_b32_e32 v8, v9, v8
	v_cvt_f32_i32_e32 v8, v8
	v_sub_u32_e32 v7, 32, v7
	v_ldexp_f32 v7, v8, v7
	v_bfe_u32 v8, v7, 16, 1
	v_add3_u32 v7, v7, v8, s0
	v_lshrrev_b32_e32 v7, 16, v7
	s_mov_b64 s[0:1], 0
	s_branch .LBB38_1527
.LBB38_1524:
	s_mov_b64 s[0:1], -1
                                        ; implicit-def: $vgpr7
	s_branch .LBB38_1533
.LBB38_1525:
	s_mov_b64 s[0:1], -1
                                        ; implicit-def: $vgpr7
	s_branch .LBB38_1530
.LBB38_1526:
	s_mov_b64 s[0:1], -1
                                        ; implicit-def: $vgpr7
.LBB38_1527:
	s_andn2_b64 vcc, exec, s[0:1]
	s_cbranch_vccnz .LBB38_1529
; %bb.1528:
	global_load_dword v7, v[0:1], off
	s_movk_i32 s0, 0x7fff
	s_waitcnt vmcnt(0)
	v_cvt_f32_i32_e32 v7, v7
	v_bfe_u32 v8, v7, 16, 1
	v_add3_u32 v7, v7, v8, s0
	v_lshrrev_b32_e32 v7, 16, v7
.LBB38_1529:
	s_mov_b64 s[0:1], 0
.LBB38_1530:
	s_andn2_b64 vcc, exec, s[0:1]
	s_cbranch_vccnz .LBB38_1532
; %bb.1531:
	global_load_sshort v7, v[0:1], off
	s_movk_i32 s0, 0x7fff
	s_waitcnt vmcnt(0)
	v_cvt_f32_i32_e32 v7, v7
	v_bfe_u32 v8, v7, 16, 1
	v_add3_u32 v7, v7, v8, s0
	v_lshrrev_b32_e32 v7, 16, v7
.LBB38_1532:
	s_mov_b64 s[0:1], 0
.LBB38_1533:
	s_andn2_b64 vcc, exec, s[0:1]
	s_cbranch_vccnz .LBB38_1539
; %bb.1534:
	v_cmp_lt_i16_e32 vcc, 0, v3
	s_cbranch_vccz .LBB38_1536
; %bb.1535:
	global_load_sbyte v3, v[0:1], off
	s_movk_i32 s0, 0x7fff
	s_waitcnt vmcnt(0)
	v_cvt_f32_i32_e32 v3, v3
	v_bfe_u32 v7, v3, 16, 1
	v_add3_u32 v3, v3, v7, s0
	v_lshrrev_b32_e32 v7, 16, v3
	s_mov_b64 s[0:1], 0
	s_branch .LBB38_1537
.LBB38_1536:
	s_mov_b64 s[0:1], -1
                                        ; implicit-def: $vgpr7
.LBB38_1537:
	s_andn2_b64 vcc, exec, s[0:1]
	s_cbranch_vccnz .LBB38_1539
; %bb.1538:
	global_load_ubyte v0, v[0:1], off
	s_movk_i32 s0, 0x7fff
	s_waitcnt vmcnt(0)
	v_cvt_f32_ubyte0_e32 v0, v0
	v_bfe_u32 v1, v0, 16, 1
	v_add3_u32 v0, v0, v1, s0
	v_lshrrev_b32_e32 v7, 16, v0
.LBB38_1539:
	s_mov_b64 s[10:11], -1
.LBB38_1540:
	s_andn2_b64 vcc, exec, s[10:11]
	s_cbranch_vccnz .LBB38_1994
; %bb.1541:
	v_mov_b32_e32 v0, 0xffff8000
	v_mul_lo_u32 v2, s12, v2
	v_and_b32_e32 v3, s14, v0
	v_ashrrev_i32_e32 v1, 31, v2
	v_mov_b32_e32 v9, s9
	v_add_co_u32_e32 v0, vcc, s8, v2
	v_addc_co_u32_e32 v1, vcc, v9, v1, vcc
	v_mov_b32_e32 v9, 11
	s_waitcnt vmcnt(0)
	v_and_b32_e32 v8, 0x7fff, v4
	v_cmp_lt_i16_sdwa s[0:1], s15, v9 src0_sel:BYTE_0 src1_sel:DWORD
	v_or_b32_e32 v4, v8, v3
	s_and_b64 vcc, exec, s[0:1]
	s_cbranch_vccnz .LBB38_1548
; %bb.1542:
	v_mov_b32_e32 v9, 25
	v_cmp_gt_i16_sdwa s[0:1], s15, v9 src0_sel:BYTE_0 src1_sel:DWORD
	s_mov_b64 s[18:19], -1
	s_mov_b64 s[2:3], 0
	s_and_b64 vcc, exec, s[0:1]
	s_mov_b64 s[10:11], 0
	s_mov_b64 s[0:1], 0
	s_cbranch_vccz .LBB38_1580
; %bb.1543:
	v_mov_b32_e32 v9, 28
	v_cmp_gt_i16_sdwa s[0:1], s15, v9 src0_sel:BYTE_0 src1_sel:DWORD
	s_and_b64 vcc, exec, s[0:1]
	s_cbranch_vccz .LBB38_1549
; %bb.1544:
	v_mov_b32_e32 v9, 43
	v_cmp_gt_i16_sdwa s[0:1], s15, v9 src0_sel:BYTE_0 src1_sel:DWORD
	s_and_b64 vcc, exec, s[0:1]
	;; [unrolled: 5-line block ×3, first 2 shown]
	s_cbranch_vccz .LBB38_1552
; %bb.1546:
	v_mov_b32_e32 v9, 46
	v_cmp_eq_u16_sdwa s[10:11], s15, v9 src0_sel:BYTE_0 src1_sel:DWORD
	s_mov_b64 s[0:1], -1
	s_mov_b64 s[18:19], 0
	s_and_b64 vcc, exec, s[10:11]
	s_mov_b64 s[10:11], 0
	s_cbranch_vccz .LBB38_1553
; %bb.1547:
	v_and_b32_e32 v9, 0xffff, v4
	global_store_dword v[0:1], v9, off
	s_mov_b64 s[0:1], 0
	s_mov_b64 s[10:11], -1
	s_branch .LBB38_1553
.LBB38_1548:
	s_mov_b64 s[0:1], -1
	s_mov_b64 s[10:11], 0
	s_branch .LBB38_1624
.LBB38_1549:
	s_mov_b64 s[0:1], 0
	s_branch .LBB38_1563
.LBB38_1550:
	s_mov_b64 s[0:1], 0
	s_branch .LBB38_1559
.LBB38_1551:
	s_trap 2
	s_or_b64 s[16:17], s[16:17], exec
                                        ; implicit-def: $vgpr7
	s_cbranch_execz .LBB38_1489
	s_branch .LBB38_1490
.LBB38_1552:
	s_mov_b64 s[0:1], 0
.LBB38_1553:
	s_and_b64 vcc, exec, s[18:19]
	s_cbranch_vccz .LBB38_1558
; %bb.1554:
	v_mov_b32_e32 v9, 44
	v_cmp_eq_u16_sdwa s[18:19], s15, v9 src0_sel:BYTE_0 src1_sel:DWORD
	s_mov_b64 s[0:1], -1
	s_and_b64 vcc, exec, s[18:19]
	s_cbranch_vccz .LBB38_1558
; %bb.1555:
	v_and_b32_e32 v10, 0xffff, v4
	v_bfe_u32 v9, v10, 7, 8
	s_movk_i32 s0, 0xff
	v_cmp_ne_u32_e32 vcc, s0, v9
	v_mov_b32_e32 v11, 0xff
	s_and_saveexec_b64 s[10:11], vcc
; %bb.1556:
	v_lshlrev_b32_e32 v12, 16, v10
	s_mov_b32 s0, 0x3f0000
	v_lshrrev_b32_e32 v11, 7, v10
	v_and_b32_e32 v10, 64, v10
	v_and_or_b32 v9, v12, s0, v9
	v_cmp_ne_u32_e32 vcc, 0, v10
	v_cmp_ne_u32_e64 s[0:1], 0, v9
	s_and_b64 s[0:1], vcc, s[0:1]
	v_cndmask_b32_e64 v9, 0, 1, s[0:1]
	v_add_u32_e32 v11, v11, v9
; %bb.1557:
	s_or_b64 exec, exec, s[10:11]
	s_mov_b64 s[0:1], 0
	s_mov_b64 s[10:11], -1
	global_store_byte v[0:1], v11, off
.LBB38_1558:
	s_mov_b64 s[18:19], 0
.LBB38_1559:
	s_and_b64 vcc, exec, s[18:19]
	s_cbranch_vccz .LBB38_1562
; %bb.1560:
	v_mov_b32_e32 v9, 29
	v_cmp_eq_u16_sdwa s[18:19], s15, v9 src0_sel:BYTE_0 src1_sel:DWORD
	s_mov_b64 s[0:1], -1
	s_and_b64 vcc, exec, s[18:19]
	s_cbranch_vccz .LBB38_1562
; %bb.1561:
	v_lshlrev_b32_e32 v9, 16, v4
	v_trunc_f32_e32 v9, v9
	v_mul_f32_e32 v10, 0x2f800000, v9
	v_floor_f32_e32 v10, v10
	v_fmac_f32_e32 v9, 0xcf800000, v10
	v_cvt_u32_f32_e32 v11, v10
	v_cvt_u32_f32_e32 v10, v9
	s_mov_b64 s[0:1], 0
	s_mov_b64 s[10:11], -1
	s_mov_b64 s[18:19], 0
	global_store_dwordx2 v[0:1], v[10:11], off
	s_branch .LBB38_1563
.LBB38_1562:
	s_mov_b64 s[18:19], 0
.LBB38_1563:
	s_and_b64 vcc, exec, s[18:19]
	s_cbranch_vccz .LBB38_1579
; %bb.1564:
	v_mov_b32_e32 v9, 27
	v_cmp_lt_i16_sdwa s[18:19], s15, v9 src0_sel:BYTE_0 src1_sel:DWORD
	s_mov_b64 s[10:11], -1
	s_and_b64 vcc, exec, s[18:19]
	s_cbranch_vccnz .LBB38_1570
; %bb.1565:
	v_cmp_gt_i16_sdwa s[18:19], s15, v9 src0_sel:BYTE_0 src1_sel:DWORD
	s_and_b64 vcc, exec, s[18:19]
	s_cbranch_vccz .LBB38_1567
; %bb.1566:
	v_lshlrev_b32_e32 v9, 16, v4
	v_cvt_u32_f32_e32 v9, v9
	s_mov_b64 s[10:11], 0
	global_store_dword v[0:1], v9, off
.LBB38_1567:
	s_andn2_b64 vcc, exec, s[10:11]
	s_cbranch_vccnz .LBB38_1569
; %bb.1568:
	v_lshlrev_b32_e32 v9, 16, v4
	v_cvt_u32_f32_e32 v9, v9
	global_store_short v[0:1], v9, off
.LBB38_1569:
	s_mov_b64 s[10:11], 0
.LBB38_1570:
	s_andn2_b64 vcc, exec, s[10:11]
	s_cbranch_vccnz .LBB38_1578
; %bb.1571:
	v_lshlrev_b32_e32 v11, 16, v4
	v_and_b32_e32 v10, 0x7fffffff, v11
	s_mov_b32 s10, 0x43800000
	v_cmp_gt_u32_e32 vcc, s10, v10
	v_mov_b32_e32 v12, 0x80
	s_and_saveexec_b64 s[10:11], vcc
	s_cbranch_execz .LBB38_1577
; %bb.1572:
	s_mov_b32 s13, 0x3bffffff
	v_and_b32_e32 v9, 0xffff, v4
	v_cmp_lt_u32_e32 vcc, s13, v10
	s_mov_b64 s[18:19], 0
                                        ; implicit-def: $vgpr10
	s_and_saveexec_b64 s[20:21], vcc
	s_xor_b64 s[20:21], exec, s[20:21]
	s_cbranch_execz .LBB38_1673
; %bb.1573:
	v_bfe_u32 v10, v9, 4, 1
	s_mov_b32 s13, 0x487ffff
	v_add3_u32 v10, v11, v10, s13
	s_mov_b64 s[18:19], exec
	v_lshrrev_b32_e32 v10, 20, v10
                                        ; implicit-def: $vgpr11
	s_or_saveexec_b64 s[20:21], s[20:21]
                                        ; implicit-def: $sgpr13
	s_xor_b64 exec, exec, s[20:21]
	s_cbranch_execnz .LBB38_1674
.LBB38_1574:
	s_or_b64 exec, exec, s[20:21]
	v_mov_b32_e32 v12, s13
	s_and_saveexec_b64 s[20:21], s[18:19]
.LBB38_1575:
	v_lshrrev_b32_e32 v9, 8, v9
	s_movk_i32 s13, 0x80
	v_and_or_b32 v12, v9, s13, v10
.LBB38_1576:
	s_or_b64 exec, exec, s[20:21]
.LBB38_1577:
	s_or_b64 exec, exec, s[10:11]
	global_store_byte v[0:1], v12, off
.LBB38_1578:
	s_mov_b64 s[10:11], -1
.LBB38_1579:
	s_mov_b64 s[18:19], 0
.LBB38_1580:
	s_and_b64 vcc, exec, s[18:19]
	s_cbranch_vccz .LBB38_1620
; %bb.1581:
	v_mov_b32_e32 v9, 22
	v_cmp_gt_i16_sdwa s[18:19], s15, v9 src0_sel:BYTE_0 src1_sel:DWORD
	s_mov_b64 s[2:3], -1
	s_and_b64 vcc, exec, s[18:19]
	s_cbranch_vccz .LBB38_1613
; %bb.1582:
	v_mov_b32_e32 v9, 24
	v_cmp_lt_i16_sdwa s[10:11], s15, v9 src0_sel:BYTE_0 src1_sel:DWORD
	s_and_b64 vcc, exec, s[10:11]
	s_cbranch_vccnz .LBB38_1602
; %bb.1583:
	v_cmp_gt_i16_sdwa s[10:11], s15, v9 src0_sel:BYTE_0 src1_sel:DWORD
	s_and_b64 vcc, exec, s[10:11]
	s_cbranch_vccz .LBB38_1591
; %bb.1584:
	v_lshlrev_b32_e32 v11, 16, v4
	v_and_b32_e32 v10, 0x7fffffff, v11
	s_mov_b32 s2, 0x47800000
	v_cmp_gt_u32_e32 vcc, s2, v10
	v_mov_b32_e32 v12, 0x80
	s_and_saveexec_b64 s[2:3], vcc
	s_cbranch_execz .LBB38_1590
; %bb.1585:
	s_mov_b32 s10, 0x37ffffff
	v_and_b32_e32 v9, 0xffff, v4
	v_cmp_lt_u32_e32 vcc, s10, v10
	s_mov_b64 s[10:11], 0
                                        ; implicit-def: $vgpr10
	s_and_saveexec_b64 s[18:19], vcc
	s_xor_b64 s[18:19], exec, s[18:19]
	s_cbranch_execz .LBB38_1677
; %bb.1586:
	v_bfe_u32 v10, v9, 5, 1
	s_mov_b32 s13, 0x88fffff
	v_add3_u32 v10, v11, v10, s13
	s_mov_b64 s[10:11], exec
	v_lshrrev_b32_e32 v10, 21, v10
                                        ; implicit-def: $vgpr11
	s_or_saveexec_b64 s[18:19], s[18:19]
                                        ; implicit-def: $sgpr13
	s_xor_b64 exec, exec, s[18:19]
	s_cbranch_execnz .LBB38_1678
.LBB38_1587:
	s_or_b64 exec, exec, s[18:19]
	v_mov_b32_e32 v12, s13
	s_and_saveexec_b64 s[18:19], s[10:11]
.LBB38_1588:
	v_lshrrev_b32_e32 v9, 8, v9
	s_movk_i32 s10, 0x80
	v_and_or_b32 v12, v9, s10, v10
.LBB38_1589:
	s_or_b64 exec, exec, s[18:19]
.LBB38_1590:
	s_or_b64 exec, exec, s[2:3]
	s_mov_b64 s[2:3], 0
	global_store_byte v[0:1], v12, off
.LBB38_1591:
	s_and_b64 vcc, exec, s[2:3]
	s_cbranch_vccz .LBB38_1601
; %bb.1592:
	v_lshlrev_b32_e32 v11, 16, v4
	v_and_b32_e32 v12, 0x7fffffff, v11
	s_mov_b32 s2, 0x43f00000
	v_and_b32_e32 v9, 0xffff, v4
	v_cmp_gt_u32_e32 vcc, s2, v12
                                        ; implicit-def: $vgpr10
	s_and_saveexec_b64 s[2:3], vcc
	s_xor_b64 s[2:3], exec, s[2:3]
	s_cbranch_execz .LBB38_1598
; %bb.1593:
	s_mov_b32 s10, 0x3c7fffff
	v_cmp_lt_u32_e32 vcc, s10, v12
                                        ; implicit-def: $vgpr10
	s_and_saveexec_b64 s[10:11], vcc
	s_xor_b64 s[10:11], exec, s[10:11]
; %bb.1594:
	v_bfe_u32 v10, v9, 4, 1
	s_mov_b32 s13, 0x407ffff
	v_add3_u32 v10, v11, v10, s13
	v_lshrrev_b32_e32 v11, 20, v10
	v_and_b32_e32 v10, 0xff00000, v10
	s_mov_b32 s13, 0x7f00000
	v_mov_b32_e32 v12, 0x7e
	v_cmp_ne_u32_e32 vcc, s13, v10
	v_cndmask_b32_e32 v10, v12, v11, vcc
                                        ; implicit-def: $vgpr11
; %bb.1595:
	s_andn2_saveexec_b64 s[10:11], s[10:11]
; %bb.1596:
	s_mov_b32 s13, 0x46800000
	v_add_f32_e64 v10, |v11|, s13
; %bb.1597:
	s_or_b64 exec, exec, s[10:11]
                                        ; implicit-def: $vgpr12
.LBB38_1598:
	s_andn2_saveexec_b64 s[2:3], s[2:3]
; %bb.1599:
	s_mov_b32 s10, 0x7f800000
	v_mov_b32_e32 v10, 0x7e
	v_mov_b32_e32 v11, 0x7f
	v_cmp_lt_u32_e32 vcc, s10, v12
	v_cndmask_b32_e32 v10, v10, v11, vcc
; %bb.1600:
	s_or_b64 exec, exec, s[2:3]
	v_lshrrev_b32_e32 v9, 8, v9
	s_movk_i32 s2, 0x80
	v_and_or_b32 v9, v9, s2, v10
	global_store_byte v[0:1], v9, off
.LBB38_1601:
	s_mov_b64 s[2:3], 0
.LBB38_1602:
	s_andn2_b64 vcc, exec, s[2:3]
	s_cbranch_vccnz .LBB38_1612
; %bb.1603:
	v_lshlrev_b32_e32 v11, 16, v4
	v_and_b32_e32 v12, 0x7fffffff, v11
	s_mov_b32 s2, 0x47800000
	v_and_b32_e32 v9, 0xffff, v4
	v_cmp_gt_u32_e32 vcc, s2, v12
                                        ; implicit-def: $vgpr10
	s_and_saveexec_b64 s[2:3], vcc
	s_xor_b64 s[2:3], exec, s[2:3]
	s_cbranch_execz .LBB38_1609
; %bb.1604:
	s_mov_b32 s10, 0x387fffff
	v_cmp_lt_u32_e32 vcc, s10, v12
                                        ; implicit-def: $vgpr10
	s_and_saveexec_b64 s[10:11], vcc
	s_xor_b64 s[10:11], exec, s[10:11]
; %bb.1605:
	v_bfe_u32 v10, v9, 5, 1
	s_mov_b32 s13, 0x80fffff
	v_add3_u32 v10, v11, v10, s13
	v_lshrrev_b32_e32 v10, 21, v10
                                        ; implicit-def: $vgpr11
; %bb.1606:
	s_andn2_saveexec_b64 s[10:11], s[10:11]
; %bb.1607:
	s_mov_b32 s13, 0x43000000
	v_add_f32_e64 v10, |v11|, s13
; %bb.1608:
	s_or_b64 exec, exec, s[10:11]
                                        ; implicit-def: $vgpr12
.LBB38_1609:
	s_andn2_saveexec_b64 s[2:3], s[2:3]
; %bb.1610:
	s_mov_b32 s10, 0x7f800000
	v_mov_b32_e32 v10, 0x7c
	v_mov_b32_e32 v11, 0x7f
	v_cmp_lt_u32_e32 vcc, s10, v12
	v_cndmask_b32_e32 v10, v10, v11, vcc
; %bb.1611:
	s_or_b64 exec, exec, s[2:3]
	v_lshrrev_b32_e32 v9, 8, v9
	s_movk_i32 s2, 0x80
	v_and_or_b32 v9, v9, s2, v10
	global_store_byte v[0:1], v9, off
.LBB38_1612:
	s_mov_b64 s[2:3], 0
	s_mov_b64 s[10:11], -1
.LBB38_1613:
	s_andn2_b64 vcc, exec, s[2:3]
	s_mov_b64 s[2:3], 0
	s_cbranch_vccnz .LBB38_1620
; %bb.1614:
	v_mov_b32_e32 v9, 14
	v_cmp_gt_i16_sdwa s[2:3], s15, v9 src0_sel:BYTE_0 src1_sel:DWORD
	s_mov_b64 s[18:19], -1
	s_and_b64 vcc, exec, s[2:3]
	s_cbranch_vccz .LBB38_1618
; %bb.1615:
	v_mov_b32_e32 v9, 15
	v_cmp_eq_u16_sdwa s[2:3], s15, v9 src0_sel:BYTE_0 src1_sel:DWORD
	s_mov_b64 s[0:1], -1
	s_and_b64 vcc, exec, s[2:3]
	s_cbranch_vccz .LBB38_1617
; %bb.1616:
	global_store_short v[0:1], v4, off
	s_mov_b64 s[0:1], 0
	s_mov_b64 s[10:11], -1
.LBB38_1617:
	s_mov_b64 s[18:19], 0
.LBB38_1618:
	s_mov_b64 s[2:3], 0
	s_and_b64 vcc, exec, s[18:19]
	s_cbranch_vccz .LBB38_1620
; %bb.1619:
	v_mov_b32_e32 v9, 11
	v_cmp_ne_u16_sdwa s[0:1], s15, v9 src0_sel:BYTE_0 src1_sel:DWORD
	s_mov_b64 s[2:3], -1
.LBB38_1620:
	s_and_b64 vcc, exec, s[0:1]
	s_cbranch_vccnz .LBB38_1676
; %bb.1621:
	s_andn2_b64 vcc, exec, s[2:3]
	s_cbranch_vccnz .LBB38_1623
.LBB38_1622:
	v_cmp_ne_u16_e32 vcc, 0, v8
	v_cndmask_b32_e64 v8, 0, 1, vcc
	s_mov_b64 s[10:11], -1
	global_store_byte v[0:1], v8, off
.LBB38_1623:
	s_mov_b64 s[0:1], 0
.LBB38_1624:
	s_and_b64 vcc, exec, s[0:1]
	s_cbranch_vccz .LBB38_1663
; %bb.1625:
	v_mov_b32_e32 v8, 5
	v_cmp_lt_i16_sdwa s[2:3], s15, v8 src0_sel:BYTE_0 src1_sel:DWORD
	s_mov_b64 s[0:1], -1
	s_and_b64 vcc, exec, s[2:3]
	s_cbranch_vccnz .LBB38_1646
; %bb.1626:
	v_mov_b32_e32 v8, 8
	v_cmp_lt_i16_sdwa s[2:3], s15, v8 src0_sel:BYTE_0 src1_sel:DWORD
	s_and_b64 vcc, exec, s[2:3]
	s_cbranch_vccnz .LBB38_1636
; %bb.1627:
	v_mov_b32_e32 v8, 9
	v_cmp_lt_i16_sdwa s[2:3], s15, v8 src0_sel:BYTE_0 src1_sel:DWORD
	s_and_b64 vcc, exec, s[2:3]
	s_cbranch_vccnz .LBB38_1633
; %bb.1628:
	v_cmp_gt_i16_sdwa s[2:3], s15, v8 src0_sel:BYTE_0 src1_sel:DWORD
	s_and_b64 vcc, exec, s[2:3]
	s_cbranch_vccz .LBB38_1630
; %bb.1629:
	v_lshlrev_b32_e32 v8, 16, v4
	v_mov_b32_e32 v10, 0
	v_cvt_f64_f32_e32 v[8:9], v8
	v_mov_b32_e32 v11, v10
	global_store_dwordx4 v[0:1], v[8:11], off
	s_mov_b64 s[0:1], 0
.LBB38_1630:
	s_andn2_b64 vcc, exec, s[0:1]
	s_cbranch_vccnz .LBB38_1632
; %bb.1631:
	v_lshlrev_b32_e32 v8, 16, v4
	v_mov_b32_e32 v9, 0
	global_store_dwordx2 v[0:1], v[8:9], off
.LBB38_1632:
	s_mov_b64 s[0:1], 0
.LBB38_1633:
	s_andn2_b64 vcc, exec, s[0:1]
	s_cbranch_vccnz .LBB38_1635
; %bb.1634:
	v_lshlrev_b32_e32 v8, 16, v4
	v_cvt_f16_f32_e32 v8, v8
	global_store_dword v[0:1], v8, off
.LBB38_1635:
	s_mov_b64 s[0:1], 0
.LBB38_1636:
	s_andn2_b64 vcc, exec, s[0:1]
	s_cbranch_vccnz .LBB38_1645
; %bb.1637:
	v_mov_b32_e32 v8, 6
	v_cmp_lt_i16_sdwa s[2:3], s15, v8 src0_sel:BYTE_0 src1_sel:DWORD
	s_mov_b64 s[0:1], -1
	s_and_b64 vcc, exec, s[2:3]
	s_cbranch_vccnz .LBB38_1643
; %bb.1638:
	v_cmp_gt_i16_sdwa s[2:3], s15, v8 src0_sel:BYTE_0 src1_sel:DWORD
	s_and_b64 vcc, exec, s[2:3]
	s_cbranch_vccz .LBB38_1640
; %bb.1639:
	v_lshlrev_b32_e32 v8, 16, v4
	v_cvt_f64_f32_e32 v[8:9], v8
	global_store_dwordx2 v[0:1], v[8:9], off
	s_mov_b64 s[0:1], 0
.LBB38_1640:
	s_andn2_b64 vcc, exec, s[0:1]
	s_cbranch_vccnz .LBB38_1642
; %bb.1641:
	v_lshlrev_b32_e32 v8, 16, v4
	global_store_dword v[0:1], v8, off
.LBB38_1642:
	s_mov_b64 s[0:1], 0
.LBB38_1643:
	s_andn2_b64 vcc, exec, s[0:1]
	s_cbranch_vccnz .LBB38_1645
; %bb.1644:
	v_lshlrev_b32_e32 v8, 16, v4
	v_cvt_f16_f32_e32 v8, v8
	global_store_short v[0:1], v8, off
.LBB38_1645:
	s_mov_b64 s[0:1], 0
.LBB38_1646:
	s_andn2_b64 vcc, exec, s[0:1]
	s_cbranch_vccnz .LBB38_1662
; %bb.1647:
	v_mov_b32_e32 v8, 2
	v_cmp_lt_i16_sdwa s[2:3], s15, v8 src0_sel:BYTE_0 src1_sel:DWORD
	s_mov_b64 s[0:1], -1
	s_and_b64 vcc, exec, s[2:3]
	s_cbranch_vccnz .LBB38_1657
; %bb.1648:
	v_mov_b32_e32 v8, 3
	v_cmp_lt_i16_sdwa s[2:3], s15, v8 src0_sel:BYTE_0 src1_sel:DWORD
	s_and_b64 vcc, exec, s[2:3]
	s_cbranch_vccnz .LBB38_1654
; %bb.1649:
	v_cmp_gt_i16_sdwa s[2:3], s15, v8 src0_sel:BYTE_0 src1_sel:DWORD
	s_and_b64 vcc, exec, s[2:3]
	s_cbranch_vccz .LBB38_1651
; %bb.1650:
	v_lshlrev_b32_e32 v8, 16, v4
	v_trunc_f32_e32 v8, v8
	s_mov_b32 s0, 0x2f800000
	v_mul_f32_e64 v9, |v8|, s0
	v_floor_f32_e32 v9, v9
	s_mov_b32 s0, 0xcf800000
	v_cvt_u32_f32_e32 v10, v9
	v_fma_f32 v9, v9, s0, |v8|
	v_cvt_u32_f32_e32 v9, v9
	v_ashrrev_i32_e32 v11, 31, v8
	v_xor_b32_e32 v10, v10, v11
	s_mov_b64 s[0:1], 0
	v_xor_b32_e32 v8, v9, v11
	v_sub_co_u32_e32 v8, vcc, v8, v11
	v_subb_co_u32_e32 v9, vcc, v10, v11, vcc
	global_store_dwordx2 v[0:1], v[8:9], off
.LBB38_1651:
	s_andn2_b64 vcc, exec, s[0:1]
	s_cbranch_vccnz .LBB38_1653
; %bb.1652:
	v_lshlrev_b32_e32 v8, 16, v4
	v_cvt_i32_f32_e32 v8, v8
	global_store_dword v[0:1], v8, off
.LBB38_1653:
	s_mov_b64 s[0:1], 0
.LBB38_1654:
	s_andn2_b64 vcc, exec, s[0:1]
	s_cbranch_vccnz .LBB38_1656
; %bb.1655:
	v_lshlrev_b32_e32 v8, 16, v4
	v_cvt_i32_f32_e32 v8, v8
	global_store_short v[0:1], v8, off
.LBB38_1656:
	s_mov_b64 s[0:1], 0
.LBB38_1657:
	s_andn2_b64 vcc, exec, s[0:1]
	s_cbranch_vccnz .LBB38_1662
; %bb.1658:
	v_mov_b32_e32 v8, 0
	v_cmp_gt_i16_sdwa s[2:3], s15, v8 src0_sel:BYTE_0 src1_sel:DWORD
	s_mov_b64 s[0:1], -1
	s_and_b64 vcc, exec, s[2:3]
	v_lshlrev_b32_e32 v4, 16, v4
	s_cbranch_vccz .LBB38_1660
; %bb.1659:
	v_cvt_i32_f32_e32 v8, v4
	s_mov_b64 s[0:1], 0
	global_store_byte v[0:1], v8, off
.LBB38_1660:
	s_andn2_b64 vcc, exec, s[0:1]
	s_cbranch_vccnz .LBB38_1662
; %bb.1661:
	v_trunc_f32_e32 v4, v4
	s_mov_b32 s0, 0x2f800000
	v_mul_f32_e64 v8, |v4|, s0
	v_floor_f32_e32 v8, v8
	s_mov_b32 s0, 0xcf800000
	v_fma_f32 v8, v8, s0, |v4|
	v_cvt_u32_f32_e32 v8, v8
	v_ashrrev_i32_e32 v4, 31, v4
	v_xor_b32_e32 v8, v8, v4
	v_sub_u32_e32 v4, v8, v4
	global_store_byte v[0:1], v4, off
.LBB38_1662:
	s_mov_b64 s[10:11], -1
.LBB38_1663:
	s_andn2_b64 vcc, exec, s[10:11]
	s_cbranch_vccnz .LBB38_1994
; %bb.1664:
	s_lshl_b32 s14, s12, 7
	v_add_u32_e32 v2, s14, v2
	v_ashrrev_i32_e32 v1, 31, v2
	v_mov_b32_e32 v8, s9
	v_add_co_u32_e32 v0, vcc, s8, v2
	v_addc_co_u32_e32 v1, vcc, v8, v1, vcc
	v_mov_b32_e32 v8, 11
	v_and_b32_e32 v5, 0x7fff, v5
	v_cmp_lt_i16_sdwa s[0:1], s15, v8 src0_sel:BYTE_0 src1_sel:DWORD
	v_or_b32_e32 v4, v5, v3
	s_and_b64 vcc, exec, s[0:1]
	s_cbranch_vccnz .LBB38_1671
; %bb.1665:
	v_mov_b32_e32 v8, 25
	v_cmp_gt_i16_sdwa s[0:1], s15, v8 src0_sel:BYTE_0 src1_sel:DWORD
	s_mov_b64 s[12:13], -1
	s_mov_b64 s[2:3], 0
	s_and_b64 vcc, exec, s[0:1]
	s_mov_b64 s[10:11], 0
	s_mov_b64 s[0:1], 0
	s_cbranch_vccz .LBB38_1707
; %bb.1666:
	v_mov_b32_e32 v8, 28
	v_cmp_gt_i16_sdwa s[0:1], s15, v8 src0_sel:BYTE_0 src1_sel:DWORD
	s_and_b64 vcc, exec, s[0:1]
	s_cbranch_vccz .LBB38_1672
; %bb.1667:
	v_mov_b32_e32 v8, 43
	v_cmp_gt_i16_sdwa s[0:1], s15, v8 src0_sel:BYTE_0 src1_sel:DWORD
	s_and_b64 vcc, exec, s[0:1]
	s_cbranch_vccz .LBB38_1675
; %bb.1668:
	v_mov_b32_e32 v8, 45
	v_cmp_gt_i16_sdwa s[0:1], s15, v8 src0_sel:BYTE_0 src1_sel:DWORD
	s_and_b64 vcc, exec, s[0:1]
	s_cbranch_vccz .LBB38_1679
; %bb.1669:
	v_mov_b32_e32 v8, 46
	v_cmp_eq_u16_sdwa s[10:11], s15, v8 src0_sel:BYTE_0 src1_sel:DWORD
	s_mov_b64 s[0:1], -1
	s_mov_b64 s[12:13], 0
	s_and_b64 vcc, exec, s[10:11]
	s_mov_b64 s[10:11], 0
	s_cbranch_vccz .LBB38_1680
; %bb.1670:
	v_and_b32_e32 v8, 0xffff, v4
	global_store_dword v[0:1], v8, off
	s_mov_b64 s[0:1], 0
	s_mov_b64 s[10:11], -1
	s_branch .LBB38_1680
.LBB38_1671:
	s_mov_b64 s[0:1], -1
	s_mov_b64 s[10:11], 0
	s_branch .LBB38_1751
.LBB38_1672:
	s_mov_b64 s[0:1], 0
	s_branch .LBB38_1690
.LBB38_1673:
	s_or_saveexec_b64 s[20:21], s[20:21]
                                        ; implicit-def: $sgpr13
	s_xor_b64 exec, exec, s[20:21]
	s_cbranch_execz .LBB38_1574
.LBB38_1674:
	s_mov_b32 s13, 0x46000000
	v_add_f32_e64 v10, |v11|, s13
	v_and_b32_e32 v10, 0xff, v10
	v_cmp_ne_u32_e32 vcc, 0, v10
	s_andn2_b64 s[18:19], s[18:19], exec
	s_and_b64 s[22:23], vcc, exec
	s_mov_b32 s13, 0
	s_or_b64 s[18:19], s[18:19], s[22:23]
	s_or_b64 exec, exec, s[20:21]
	v_mov_b32_e32 v12, s13
	s_and_saveexec_b64 s[20:21], s[18:19]
	s_cbranch_execnz .LBB38_1575
	s_branch .LBB38_1576
.LBB38_1675:
	s_mov_b64 s[0:1], 0
	s_branch .LBB38_1686
.LBB38_1676:
	s_trap 2
	s_or_b64 s[16:17], s[16:17], exec
	s_cbranch_execz .LBB38_1622
	s_branch .LBB38_1623
.LBB38_1677:
	s_or_saveexec_b64 s[18:19], s[18:19]
                                        ; implicit-def: $sgpr13
	s_xor_b64 exec, exec, s[18:19]
	s_cbranch_execz .LBB38_1587
.LBB38_1678:
	s_mov_b32 s13, 0x42800000
	v_add_f32_e64 v10, |v11|, s13
	v_and_b32_e32 v10, 0xff, v10
	v_cmp_ne_u32_e32 vcc, 0, v10
	s_andn2_b64 s[10:11], s[10:11], exec
	s_and_b64 s[20:21], vcc, exec
	s_mov_b32 s13, 0
	s_or_b64 s[10:11], s[10:11], s[20:21]
	s_or_b64 exec, exec, s[18:19]
	v_mov_b32_e32 v12, s13
	s_and_saveexec_b64 s[18:19], s[10:11]
	s_cbranch_execnz .LBB38_1588
	s_branch .LBB38_1589
.LBB38_1679:
	s_mov_b64 s[0:1], 0
.LBB38_1680:
	s_and_b64 vcc, exec, s[12:13]
	s_cbranch_vccz .LBB38_1685
; %bb.1681:
	v_mov_b32_e32 v8, 44
	v_cmp_eq_u16_sdwa s[12:13], s15, v8 src0_sel:BYTE_0 src1_sel:DWORD
	s_mov_b64 s[0:1], -1
	s_and_b64 vcc, exec, s[12:13]
	s_cbranch_vccz .LBB38_1685
; %bb.1682:
	v_and_b32_e32 v9, 0xffff, v4
	v_bfe_u32 v8, v9, 7, 8
	s_movk_i32 s0, 0xff
	v_cmp_ne_u32_e32 vcc, s0, v8
	v_mov_b32_e32 v10, 0xff
	s_and_saveexec_b64 s[10:11], vcc
; %bb.1683:
	v_lshlrev_b32_e32 v11, 16, v9
	s_mov_b32 s0, 0x3f0000
	v_lshrrev_b32_e32 v10, 7, v9
	v_and_b32_e32 v9, 64, v9
	v_and_or_b32 v8, v11, s0, v8
	v_cmp_ne_u32_e32 vcc, 0, v9
	v_cmp_ne_u32_e64 s[0:1], 0, v8
	s_and_b64 s[0:1], vcc, s[0:1]
	v_cndmask_b32_e64 v8, 0, 1, s[0:1]
	v_add_u32_e32 v10, v10, v8
; %bb.1684:
	s_or_b64 exec, exec, s[10:11]
	s_mov_b64 s[0:1], 0
	s_mov_b64 s[10:11], -1
	global_store_byte v[0:1], v10, off
.LBB38_1685:
	s_mov_b64 s[12:13], 0
.LBB38_1686:
	s_and_b64 vcc, exec, s[12:13]
	s_cbranch_vccz .LBB38_1689
; %bb.1687:
	v_mov_b32_e32 v8, 29
	v_cmp_eq_u16_sdwa s[12:13], s15, v8 src0_sel:BYTE_0 src1_sel:DWORD
	s_mov_b64 s[0:1], -1
	s_and_b64 vcc, exec, s[12:13]
	s_cbranch_vccz .LBB38_1689
; %bb.1688:
	v_lshlrev_b32_e32 v8, 16, v4
	v_trunc_f32_e32 v8, v8
	v_mul_f32_e32 v9, 0x2f800000, v8
	v_floor_f32_e32 v10, v9
	v_fmac_f32_e32 v8, 0xcf800000, v10
	v_cvt_u32_f32_e32 v9, v10
	v_cvt_u32_f32_e32 v8, v8
	s_mov_b64 s[0:1], 0
	s_mov_b64 s[10:11], -1
	s_mov_b64 s[12:13], 0
	global_store_dwordx2 v[0:1], v[8:9], off
	s_branch .LBB38_1690
.LBB38_1689:
	s_mov_b64 s[12:13], 0
.LBB38_1690:
	s_and_b64 vcc, exec, s[12:13]
	s_cbranch_vccz .LBB38_1706
; %bb.1691:
	v_mov_b32_e32 v8, 27
	v_cmp_lt_i16_sdwa s[12:13], s15, v8 src0_sel:BYTE_0 src1_sel:DWORD
	s_mov_b64 s[10:11], -1
	s_and_b64 vcc, exec, s[12:13]
	s_cbranch_vccnz .LBB38_1697
; %bb.1692:
	v_cmp_gt_i16_sdwa s[12:13], s15, v8 src0_sel:BYTE_0 src1_sel:DWORD
	s_and_b64 vcc, exec, s[12:13]
	s_cbranch_vccz .LBB38_1694
; %bb.1693:
	v_lshlrev_b32_e32 v8, 16, v4
	v_cvt_u32_f32_e32 v8, v8
	s_mov_b64 s[10:11], 0
	global_store_dword v[0:1], v8, off
.LBB38_1694:
	s_andn2_b64 vcc, exec, s[10:11]
	s_cbranch_vccnz .LBB38_1696
; %bb.1695:
	v_lshlrev_b32_e32 v8, 16, v4
	v_cvt_u32_f32_e32 v8, v8
	global_store_short v[0:1], v8, off
.LBB38_1696:
	s_mov_b64 s[10:11], 0
.LBB38_1697:
	s_andn2_b64 vcc, exec, s[10:11]
	s_cbranch_vccnz .LBB38_1705
; %bb.1698:
	v_lshlrev_b32_e32 v10, 16, v4
	v_and_b32_e32 v9, 0x7fffffff, v10
	s_mov_b32 s10, 0x43800000
	v_cmp_gt_u32_e32 vcc, s10, v9
	v_mov_b32_e32 v11, 0x80
	s_and_saveexec_b64 s[10:11], vcc
	s_cbranch_execz .LBB38_1704
; %bb.1699:
	s_mov_b32 s12, 0x3bffffff
	v_and_b32_e32 v8, 0xffff, v4
	v_cmp_lt_u32_e32 vcc, s12, v9
	s_mov_b64 s[12:13], 0
                                        ; implicit-def: $vgpr9
	s_and_saveexec_b64 s[18:19], vcc
	s_xor_b64 s[18:19], exec, s[18:19]
	s_cbranch_execz .LBB38_1800
; %bb.1700:
	v_bfe_u32 v9, v8, 4, 1
	s_mov_b32 s20, 0x487ffff
	v_add3_u32 v9, v10, v9, s20
	s_mov_b64 s[12:13], exec
	v_lshrrev_b32_e32 v9, 20, v9
                                        ; implicit-def: $vgpr10
	s_or_saveexec_b64 s[18:19], s[18:19]
                                        ; implicit-def: $sgpr20
	s_xor_b64 exec, exec, s[18:19]
	s_cbranch_execnz .LBB38_1801
.LBB38_1701:
	s_or_b64 exec, exec, s[18:19]
	v_mov_b32_e32 v11, s20
	s_and_saveexec_b64 s[18:19], s[12:13]
.LBB38_1702:
	v_lshrrev_b32_e32 v8, 8, v8
	s_movk_i32 s12, 0x80
	v_and_or_b32 v11, v8, s12, v9
.LBB38_1703:
	s_or_b64 exec, exec, s[18:19]
.LBB38_1704:
	s_or_b64 exec, exec, s[10:11]
	global_store_byte v[0:1], v11, off
.LBB38_1705:
	s_mov_b64 s[10:11], -1
.LBB38_1706:
	s_mov_b64 s[12:13], 0
.LBB38_1707:
	s_and_b64 vcc, exec, s[12:13]
	s_cbranch_vccz .LBB38_1747
; %bb.1708:
	v_mov_b32_e32 v8, 22
	v_cmp_gt_i16_sdwa s[12:13], s15, v8 src0_sel:BYTE_0 src1_sel:DWORD
	s_mov_b64 s[2:3], -1
	s_and_b64 vcc, exec, s[12:13]
	s_cbranch_vccz .LBB38_1740
; %bb.1709:
	v_mov_b32_e32 v8, 24
	v_cmp_lt_i16_sdwa s[10:11], s15, v8 src0_sel:BYTE_0 src1_sel:DWORD
	s_and_b64 vcc, exec, s[10:11]
	s_cbranch_vccnz .LBB38_1729
; %bb.1710:
	v_cmp_gt_i16_sdwa s[10:11], s15, v8 src0_sel:BYTE_0 src1_sel:DWORD
	s_and_b64 vcc, exec, s[10:11]
	s_cbranch_vccz .LBB38_1718
; %bb.1711:
	v_lshlrev_b32_e32 v10, 16, v4
	v_and_b32_e32 v9, 0x7fffffff, v10
	s_mov_b32 s2, 0x47800000
	v_cmp_gt_u32_e32 vcc, s2, v9
	v_mov_b32_e32 v11, 0x80
	s_and_saveexec_b64 s[2:3], vcc
	s_cbranch_execz .LBB38_1717
; %bb.1712:
	s_mov_b32 s10, 0x37ffffff
	v_and_b32_e32 v8, 0xffff, v4
	v_cmp_lt_u32_e32 vcc, s10, v9
	s_mov_b64 s[10:11], 0
                                        ; implicit-def: $vgpr9
	s_and_saveexec_b64 s[12:13], vcc
	s_xor_b64 s[12:13], exec, s[12:13]
	s_cbranch_execz .LBB38_1804
; %bb.1713:
	v_bfe_u32 v9, v8, 5, 1
	s_mov_b32 s18, 0x88fffff
	v_add3_u32 v9, v10, v9, s18
	s_mov_b64 s[10:11], exec
	v_lshrrev_b32_e32 v9, 21, v9
                                        ; implicit-def: $vgpr10
	s_or_saveexec_b64 s[12:13], s[12:13]
                                        ; implicit-def: $sgpr18
	s_xor_b64 exec, exec, s[12:13]
	s_cbranch_execnz .LBB38_1805
.LBB38_1714:
	s_or_b64 exec, exec, s[12:13]
	v_mov_b32_e32 v11, s18
	s_and_saveexec_b64 s[12:13], s[10:11]
.LBB38_1715:
	v_lshrrev_b32_e32 v8, 8, v8
	s_movk_i32 s10, 0x80
	v_and_or_b32 v11, v8, s10, v9
.LBB38_1716:
	s_or_b64 exec, exec, s[12:13]
.LBB38_1717:
	s_or_b64 exec, exec, s[2:3]
	s_mov_b64 s[2:3], 0
	global_store_byte v[0:1], v11, off
.LBB38_1718:
	s_and_b64 vcc, exec, s[2:3]
	s_cbranch_vccz .LBB38_1728
; %bb.1719:
	v_lshlrev_b32_e32 v10, 16, v4
	v_and_b32_e32 v11, 0x7fffffff, v10
	s_mov_b32 s2, 0x43f00000
	v_and_b32_e32 v8, 0xffff, v4
	v_cmp_gt_u32_e32 vcc, s2, v11
                                        ; implicit-def: $vgpr9
	s_and_saveexec_b64 s[2:3], vcc
	s_xor_b64 s[2:3], exec, s[2:3]
	s_cbranch_execz .LBB38_1725
; %bb.1720:
	s_mov_b32 s10, 0x3c7fffff
	v_cmp_lt_u32_e32 vcc, s10, v11
                                        ; implicit-def: $vgpr9
	s_and_saveexec_b64 s[10:11], vcc
	s_xor_b64 s[10:11], exec, s[10:11]
; %bb.1721:
	v_bfe_u32 v9, v8, 4, 1
	s_mov_b32 s12, 0x407ffff
	v_add3_u32 v9, v10, v9, s12
	v_lshrrev_b32_e32 v10, 20, v9
	v_and_b32_e32 v9, 0xff00000, v9
	s_mov_b32 s12, 0x7f00000
	v_mov_b32_e32 v11, 0x7e
	v_cmp_ne_u32_e32 vcc, s12, v9
	v_cndmask_b32_e32 v9, v11, v10, vcc
                                        ; implicit-def: $vgpr10
; %bb.1722:
	s_andn2_saveexec_b64 s[10:11], s[10:11]
; %bb.1723:
	s_mov_b32 s12, 0x46800000
	v_add_f32_e64 v9, |v10|, s12
; %bb.1724:
	s_or_b64 exec, exec, s[10:11]
                                        ; implicit-def: $vgpr11
.LBB38_1725:
	s_andn2_saveexec_b64 s[2:3], s[2:3]
; %bb.1726:
	s_mov_b32 s10, 0x7f800000
	v_mov_b32_e32 v9, 0x7e
	v_mov_b32_e32 v10, 0x7f
	v_cmp_lt_u32_e32 vcc, s10, v11
	v_cndmask_b32_e32 v9, v9, v10, vcc
; %bb.1727:
	s_or_b64 exec, exec, s[2:3]
	v_lshrrev_b32_e32 v8, 8, v8
	s_movk_i32 s2, 0x80
	v_and_or_b32 v8, v8, s2, v9
	global_store_byte v[0:1], v8, off
.LBB38_1728:
	s_mov_b64 s[2:3], 0
.LBB38_1729:
	s_andn2_b64 vcc, exec, s[2:3]
	s_cbranch_vccnz .LBB38_1739
; %bb.1730:
	v_lshlrev_b32_e32 v10, 16, v4
	v_and_b32_e32 v11, 0x7fffffff, v10
	s_mov_b32 s2, 0x47800000
	v_and_b32_e32 v8, 0xffff, v4
	v_cmp_gt_u32_e32 vcc, s2, v11
                                        ; implicit-def: $vgpr9
	s_and_saveexec_b64 s[2:3], vcc
	s_xor_b64 s[2:3], exec, s[2:3]
	s_cbranch_execz .LBB38_1736
; %bb.1731:
	s_mov_b32 s10, 0x387fffff
	v_cmp_lt_u32_e32 vcc, s10, v11
                                        ; implicit-def: $vgpr9
	s_and_saveexec_b64 s[10:11], vcc
	s_xor_b64 s[10:11], exec, s[10:11]
; %bb.1732:
	v_bfe_u32 v9, v8, 5, 1
	s_mov_b32 s12, 0x80fffff
	v_add3_u32 v9, v10, v9, s12
	v_lshrrev_b32_e32 v9, 21, v9
                                        ; implicit-def: $vgpr10
; %bb.1733:
	s_andn2_saveexec_b64 s[10:11], s[10:11]
; %bb.1734:
	s_mov_b32 s12, 0x43000000
	v_add_f32_e64 v9, |v10|, s12
; %bb.1735:
	s_or_b64 exec, exec, s[10:11]
                                        ; implicit-def: $vgpr11
.LBB38_1736:
	s_andn2_saveexec_b64 s[2:3], s[2:3]
; %bb.1737:
	s_mov_b32 s10, 0x7f800000
	v_mov_b32_e32 v9, 0x7c
	v_mov_b32_e32 v10, 0x7f
	v_cmp_lt_u32_e32 vcc, s10, v11
	v_cndmask_b32_e32 v9, v9, v10, vcc
; %bb.1738:
	s_or_b64 exec, exec, s[2:3]
	v_lshrrev_b32_e32 v8, 8, v8
	s_movk_i32 s2, 0x80
	v_and_or_b32 v8, v8, s2, v9
	global_store_byte v[0:1], v8, off
.LBB38_1739:
	s_mov_b64 s[2:3], 0
	s_mov_b64 s[10:11], -1
.LBB38_1740:
	s_andn2_b64 vcc, exec, s[2:3]
	s_mov_b64 s[2:3], 0
	s_cbranch_vccnz .LBB38_1747
; %bb.1741:
	v_mov_b32_e32 v8, 14
	v_cmp_gt_i16_sdwa s[2:3], s15, v8 src0_sel:BYTE_0 src1_sel:DWORD
	s_mov_b64 s[12:13], -1
	s_and_b64 vcc, exec, s[2:3]
	s_cbranch_vccz .LBB38_1745
; %bb.1742:
	v_mov_b32_e32 v8, 15
	v_cmp_eq_u16_sdwa s[2:3], s15, v8 src0_sel:BYTE_0 src1_sel:DWORD
	s_mov_b64 s[0:1], -1
	s_and_b64 vcc, exec, s[2:3]
	s_cbranch_vccz .LBB38_1744
; %bb.1743:
	global_store_short v[0:1], v4, off
	s_mov_b64 s[0:1], 0
	s_mov_b64 s[10:11], -1
.LBB38_1744:
	s_mov_b64 s[12:13], 0
.LBB38_1745:
	s_mov_b64 s[2:3], 0
	s_and_b64 vcc, exec, s[12:13]
	s_cbranch_vccz .LBB38_1747
; %bb.1746:
	v_mov_b32_e32 v8, 11
	v_cmp_ne_u16_sdwa s[0:1], s15, v8 src0_sel:BYTE_0 src1_sel:DWORD
	s_mov_b64 s[2:3], -1
.LBB38_1747:
	s_and_b64 vcc, exec, s[0:1]
	s_cbranch_vccnz .LBB38_1803
; %bb.1748:
	s_andn2_b64 vcc, exec, s[2:3]
	s_cbranch_vccnz .LBB38_1750
.LBB38_1749:
	v_cmp_ne_u16_e32 vcc, 0, v5
	v_cndmask_b32_e64 v5, 0, 1, vcc
	s_mov_b64 s[10:11], -1
	global_store_byte v[0:1], v5, off
.LBB38_1750:
	s_mov_b64 s[0:1], 0
.LBB38_1751:
	s_and_b64 vcc, exec, s[0:1]
	s_cbranch_vccz .LBB38_1790
; %bb.1752:
	v_mov_b32_e32 v5, 5
	v_cmp_lt_i16_sdwa s[2:3], s15, v5 src0_sel:BYTE_0 src1_sel:DWORD
	s_mov_b64 s[0:1], -1
	s_and_b64 vcc, exec, s[2:3]
	s_cbranch_vccnz .LBB38_1773
; %bb.1753:
	v_mov_b32_e32 v5, 8
	v_cmp_lt_i16_sdwa s[2:3], s15, v5 src0_sel:BYTE_0 src1_sel:DWORD
	s_and_b64 vcc, exec, s[2:3]
	s_cbranch_vccnz .LBB38_1763
; %bb.1754:
	v_mov_b32_e32 v5, 9
	v_cmp_lt_i16_sdwa s[2:3], s15, v5 src0_sel:BYTE_0 src1_sel:DWORD
	s_and_b64 vcc, exec, s[2:3]
	s_cbranch_vccnz .LBB38_1760
; %bb.1755:
	v_cmp_gt_i16_sdwa s[2:3], s15, v5 src0_sel:BYTE_0 src1_sel:DWORD
	s_and_b64 vcc, exec, s[2:3]
	s_cbranch_vccz .LBB38_1757
; %bb.1756:
	v_lshlrev_b32_e32 v5, 16, v4
	v_mov_b32_e32 v10, 0
	v_cvt_f64_f32_e32 v[8:9], v5
	v_mov_b32_e32 v11, v10
	global_store_dwordx4 v[0:1], v[8:11], off
	s_mov_b64 s[0:1], 0
.LBB38_1757:
	s_andn2_b64 vcc, exec, s[0:1]
	s_cbranch_vccnz .LBB38_1759
; %bb.1758:
	v_lshlrev_b32_e32 v8, 16, v4
	v_mov_b32_e32 v9, 0
	global_store_dwordx2 v[0:1], v[8:9], off
.LBB38_1759:
	s_mov_b64 s[0:1], 0
.LBB38_1760:
	s_andn2_b64 vcc, exec, s[0:1]
	s_cbranch_vccnz .LBB38_1762
; %bb.1761:
	v_lshlrev_b32_e32 v5, 16, v4
	v_cvt_f16_f32_e32 v5, v5
	global_store_dword v[0:1], v5, off
.LBB38_1762:
	s_mov_b64 s[0:1], 0
.LBB38_1763:
	s_andn2_b64 vcc, exec, s[0:1]
	s_cbranch_vccnz .LBB38_1772
; %bb.1764:
	v_mov_b32_e32 v5, 6
	v_cmp_lt_i16_sdwa s[2:3], s15, v5 src0_sel:BYTE_0 src1_sel:DWORD
	s_mov_b64 s[0:1], -1
	s_and_b64 vcc, exec, s[2:3]
	s_cbranch_vccnz .LBB38_1770
; %bb.1765:
	v_cmp_gt_i16_sdwa s[2:3], s15, v5 src0_sel:BYTE_0 src1_sel:DWORD
	s_and_b64 vcc, exec, s[2:3]
	s_cbranch_vccz .LBB38_1767
; %bb.1766:
	v_lshlrev_b32_e32 v5, 16, v4
	v_cvt_f64_f32_e32 v[8:9], v5
	global_store_dwordx2 v[0:1], v[8:9], off
	s_mov_b64 s[0:1], 0
.LBB38_1767:
	s_andn2_b64 vcc, exec, s[0:1]
	s_cbranch_vccnz .LBB38_1769
; %bb.1768:
	v_lshlrev_b32_e32 v5, 16, v4
	global_store_dword v[0:1], v5, off
.LBB38_1769:
	s_mov_b64 s[0:1], 0
.LBB38_1770:
	s_andn2_b64 vcc, exec, s[0:1]
	s_cbranch_vccnz .LBB38_1772
; %bb.1771:
	v_lshlrev_b32_e32 v5, 16, v4
	v_cvt_f16_f32_e32 v5, v5
	global_store_short v[0:1], v5, off
.LBB38_1772:
	s_mov_b64 s[0:1], 0
.LBB38_1773:
	s_andn2_b64 vcc, exec, s[0:1]
	s_cbranch_vccnz .LBB38_1789
; %bb.1774:
	v_mov_b32_e32 v5, 2
	v_cmp_lt_i16_sdwa s[2:3], s15, v5 src0_sel:BYTE_0 src1_sel:DWORD
	s_mov_b64 s[0:1], -1
	s_and_b64 vcc, exec, s[2:3]
	s_cbranch_vccnz .LBB38_1784
; %bb.1775:
	v_mov_b32_e32 v5, 3
	v_cmp_lt_i16_sdwa s[2:3], s15, v5 src0_sel:BYTE_0 src1_sel:DWORD
	s_and_b64 vcc, exec, s[2:3]
	s_cbranch_vccnz .LBB38_1781
; %bb.1776:
	v_cmp_gt_i16_sdwa s[2:3], s15, v5 src0_sel:BYTE_0 src1_sel:DWORD
	s_and_b64 vcc, exec, s[2:3]
	s_cbranch_vccz .LBB38_1778
; %bb.1777:
	v_lshlrev_b32_e32 v5, 16, v4
	v_trunc_f32_e32 v5, v5
	s_mov_b32 s0, 0x2f800000
	v_mul_f32_e64 v8, |v5|, s0
	v_floor_f32_e32 v8, v8
	s_mov_b32 s0, 0xcf800000
	v_cvt_u32_f32_e32 v9, v8
	v_fma_f32 v8, v8, s0, |v5|
	v_cvt_u32_f32_e32 v8, v8
	v_ashrrev_i32_e32 v5, 31, v5
	v_xor_b32_e32 v9, v9, v5
	s_mov_b64 s[0:1], 0
	v_xor_b32_e32 v8, v8, v5
	v_sub_co_u32_e32 v8, vcc, v8, v5
	v_subb_co_u32_e32 v9, vcc, v9, v5, vcc
	global_store_dwordx2 v[0:1], v[8:9], off
.LBB38_1778:
	s_andn2_b64 vcc, exec, s[0:1]
	s_cbranch_vccnz .LBB38_1780
; %bb.1779:
	v_lshlrev_b32_e32 v5, 16, v4
	v_cvt_i32_f32_e32 v5, v5
	global_store_dword v[0:1], v5, off
.LBB38_1780:
	s_mov_b64 s[0:1], 0
.LBB38_1781:
	s_andn2_b64 vcc, exec, s[0:1]
	s_cbranch_vccnz .LBB38_1783
; %bb.1782:
	v_lshlrev_b32_e32 v5, 16, v4
	v_cvt_i32_f32_e32 v5, v5
	global_store_short v[0:1], v5, off
.LBB38_1783:
	s_mov_b64 s[0:1], 0
.LBB38_1784:
	s_andn2_b64 vcc, exec, s[0:1]
	s_cbranch_vccnz .LBB38_1789
; %bb.1785:
	v_mov_b32_e32 v5, 0
	v_cmp_gt_i16_sdwa s[2:3], s15, v5 src0_sel:BYTE_0 src1_sel:DWORD
	s_mov_b64 s[0:1], -1
	s_and_b64 vcc, exec, s[2:3]
	v_lshlrev_b32_e32 v4, 16, v4
	s_cbranch_vccz .LBB38_1787
; %bb.1786:
	v_cvt_i32_f32_e32 v5, v4
	s_mov_b64 s[0:1], 0
	global_store_byte v[0:1], v5, off
.LBB38_1787:
	s_andn2_b64 vcc, exec, s[0:1]
	s_cbranch_vccnz .LBB38_1789
; %bb.1788:
	v_trunc_f32_e32 v4, v4
	s_mov_b32 s0, 0x2f800000
	v_mul_f32_e64 v5, |v4|, s0
	v_floor_f32_e32 v5, v5
	s_mov_b32 s0, 0xcf800000
	v_fma_f32 v5, v5, s0, |v4|
	v_cvt_u32_f32_e32 v5, v5
	v_ashrrev_i32_e32 v4, 31, v4
	v_xor_b32_e32 v5, v5, v4
	v_sub_u32_e32 v4, v5, v4
	global_store_byte v[0:1], v4, off
.LBB38_1789:
	s_mov_b64 s[10:11], -1
.LBB38_1790:
	s_andn2_b64 vcc, exec, s[10:11]
	s_cbranch_vccnz .LBB38_1994
; %bb.1791:
	v_add_u32_e32 v2, s14, v2
	v_and_b32_e32 v5, 0x7fff, v6
	v_ashrrev_i32_e32 v1, 31, v2
	v_mov_b32_e32 v6, s9
	v_add_co_u32_e32 v0, vcc, s8, v2
	v_addc_co_u32_e32 v1, vcc, v6, v1, vcc
	v_mov_b32_e32 v6, 11
	v_cmp_lt_i16_sdwa s[0:1], s15, v6 src0_sel:BYTE_0 src1_sel:DWORD
	v_or_b32_e32 v4, v5, v3
	s_and_b64 vcc, exec, s[0:1]
	s_cbranch_vccnz .LBB38_1798
; %bb.1792:
	v_mov_b32_e32 v6, 25
	v_cmp_gt_i16_sdwa s[0:1], s15, v6 src0_sel:BYTE_0 src1_sel:DWORD
	s_mov_b64 s[12:13], -1
	s_mov_b64 s[2:3], 0
	s_and_b64 vcc, exec, s[0:1]
	s_mov_b64 s[10:11], 0
	s_mov_b64 s[0:1], 0
	s_cbranch_vccz .LBB38_1834
; %bb.1793:
	v_mov_b32_e32 v6, 28
	v_cmp_gt_i16_sdwa s[0:1], s15, v6 src0_sel:BYTE_0 src1_sel:DWORD
	s_and_b64 vcc, exec, s[0:1]
	s_cbranch_vccz .LBB38_1799
; %bb.1794:
	v_mov_b32_e32 v6, 43
	v_cmp_gt_i16_sdwa s[0:1], s15, v6 src0_sel:BYTE_0 src1_sel:DWORD
	s_and_b64 vcc, exec, s[0:1]
	;; [unrolled: 5-line block ×3, first 2 shown]
	s_cbranch_vccz .LBB38_1806
; %bb.1796:
	v_mov_b32_e32 v6, 46
	v_cmp_eq_u16_sdwa s[10:11], s15, v6 src0_sel:BYTE_0 src1_sel:DWORD
	s_mov_b64 s[0:1], -1
	s_mov_b64 s[12:13], 0
	s_and_b64 vcc, exec, s[10:11]
	s_mov_b64 s[10:11], 0
	s_cbranch_vccz .LBB38_1807
; %bb.1797:
	v_and_b32_e32 v6, 0xffff, v4
	global_store_dword v[0:1], v6, off
	s_mov_b64 s[0:1], 0
	s_mov_b64 s[10:11], -1
	s_branch .LBB38_1807
.LBB38_1798:
	s_mov_b64 s[0:1], -1
	s_mov_b64 s[10:11], 0
	s_branch .LBB38_1878
.LBB38_1799:
	s_mov_b64 s[0:1], 0
	s_branch .LBB38_1817
.LBB38_1800:
	s_or_saveexec_b64 s[18:19], s[18:19]
                                        ; implicit-def: $sgpr20
	s_xor_b64 exec, exec, s[18:19]
	s_cbranch_execz .LBB38_1701
.LBB38_1801:
	s_mov_b32 s20, 0x46000000
	v_add_f32_e64 v9, |v10|, s20
	v_and_b32_e32 v9, 0xff, v9
	v_cmp_ne_u32_e32 vcc, 0, v9
	s_andn2_b64 s[12:13], s[12:13], exec
	s_and_b64 s[22:23], vcc, exec
	s_mov_b32 s20, 0
	s_or_b64 s[12:13], s[12:13], s[22:23]
	s_or_b64 exec, exec, s[18:19]
	v_mov_b32_e32 v11, s20
	s_and_saveexec_b64 s[18:19], s[12:13]
	s_cbranch_execnz .LBB38_1702
	s_branch .LBB38_1703
.LBB38_1802:
	s_mov_b64 s[0:1], 0
	s_branch .LBB38_1813
.LBB38_1803:
	s_trap 2
	s_or_b64 s[16:17], s[16:17], exec
	s_cbranch_execz .LBB38_1749
	s_branch .LBB38_1750
.LBB38_1804:
	s_or_saveexec_b64 s[12:13], s[12:13]
                                        ; implicit-def: $sgpr18
	s_xor_b64 exec, exec, s[12:13]
	s_cbranch_execz .LBB38_1714
.LBB38_1805:
	s_mov_b32 s18, 0x42800000
	v_add_f32_e64 v9, |v10|, s18
	v_and_b32_e32 v9, 0xff, v9
	v_cmp_ne_u32_e32 vcc, 0, v9
	s_andn2_b64 s[10:11], s[10:11], exec
	s_and_b64 s[20:21], vcc, exec
	s_mov_b32 s18, 0
	s_or_b64 s[10:11], s[10:11], s[20:21]
	s_or_b64 exec, exec, s[12:13]
	v_mov_b32_e32 v11, s18
	s_and_saveexec_b64 s[12:13], s[10:11]
	s_cbranch_execnz .LBB38_1715
	s_branch .LBB38_1716
.LBB38_1806:
	s_mov_b64 s[0:1], 0
.LBB38_1807:
	s_and_b64 vcc, exec, s[12:13]
	s_cbranch_vccz .LBB38_1812
; %bb.1808:
	v_mov_b32_e32 v6, 44
	v_cmp_eq_u16_sdwa s[12:13], s15, v6 src0_sel:BYTE_0 src1_sel:DWORD
	s_mov_b64 s[0:1], -1
	s_and_b64 vcc, exec, s[12:13]
	s_cbranch_vccz .LBB38_1812
; %bb.1809:
	v_and_b32_e32 v8, 0xffff, v4
	v_bfe_u32 v6, v8, 7, 8
	s_movk_i32 s0, 0xff
	v_cmp_ne_u32_e32 vcc, s0, v6
	v_mov_b32_e32 v9, 0xff
	s_and_saveexec_b64 s[10:11], vcc
; %bb.1810:
	v_lshlrev_b32_e32 v10, 16, v8
	s_mov_b32 s0, 0x3f0000
	v_lshrrev_b32_e32 v9, 7, v8
	v_and_b32_e32 v8, 64, v8
	v_and_or_b32 v6, v10, s0, v6
	v_cmp_ne_u32_e32 vcc, 0, v8
	v_cmp_ne_u32_e64 s[0:1], 0, v6
	s_and_b64 s[0:1], vcc, s[0:1]
	v_cndmask_b32_e64 v6, 0, 1, s[0:1]
	v_add_u32_e32 v9, v9, v6
; %bb.1811:
	s_or_b64 exec, exec, s[10:11]
	s_mov_b64 s[0:1], 0
	s_mov_b64 s[10:11], -1
	global_store_byte v[0:1], v9, off
.LBB38_1812:
	s_mov_b64 s[12:13], 0
.LBB38_1813:
	s_and_b64 vcc, exec, s[12:13]
	s_cbranch_vccz .LBB38_1816
; %bb.1814:
	v_mov_b32_e32 v6, 29
	v_cmp_eq_u16_sdwa s[12:13], s15, v6 src0_sel:BYTE_0 src1_sel:DWORD
	s_mov_b64 s[0:1], -1
	s_and_b64 vcc, exec, s[12:13]
	s_cbranch_vccz .LBB38_1816
; %bb.1815:
	v_lshlrev_b32_e32 v6, 16, v4
	v_trunc_f32_e32 v6, v6
	v_mul_f32_e32 v8, 0x2f800000, v6
	v_floor_f32_e32 v8, v8
	v_fmac_f32_e32 v6, 0xcf800000, v8
	v_cvt_u32_f32_e32 v9, v8
	v_cvt_u32_f32_e32 v8, v6
	s_mov_b64 s[0:1], 0
	s_mov_b64 s[10:11], -1
	s_mov_b64 s[12:13], 0
	global_store_dwordx2 v[0:1], v[8:9], off
	s_branch .LBB38_1817
.LBB38_1816:
	s_mov_b64 s[12:13], 0
.LBB38_1817:
	s_and_b64 vcc, exec, s[12:13]
	s_cbranch_vccz .LBB38_1833
; %bb.1818:
	v_mov_b32_e32 v6, 27
	v_cmp_lt_i16_sdwa s[12:13], s15, v6 src0_sel:BYTE_0 src1_sel:DWORD
	s_mov_b64 s[10:11], -1
	s_and_b64 vcc, exec, s[12:13]
	s_cbranch_vccnz .LBB38_1824
; %bb.1819:
	v_cmp_gt_i16_sdwa s[12:13], s15, v6 src0_sel:BYTE_0 src1_sel:DWORD
	s_and_b64 vcc, exec, s[12:13]
	s_cbranch_vccz .LBB38_1821
; %bb.1820:
	v_lshlrev_b32_e32 v6, 16, v4
	v_cvt_u32_f32_e32 v6, v6
	s_mov_b64 s[10:11], 0
	global_store_dword v[0:1], v6, off
.LBB38_1821:
	s_andn2_b64 vcc, exec, s[10:11]
	s_cbranch_vccnz .LBB38_1823
; %bb.1822:
	v_lshlrev_b32_e32 v6, 16, v4
	v_cvt_u32_f32_e32 v6, v6
	global_store_short v[0:1], v6, off
.LBB38_1823:
	s_mov_b64 s[10:11], 0
.LBB38_1824:
	s_andn2_b64 vcc, exec, s[10:11]
	s_cbranch_vccnz .LBB38_1832
; %bb.1825:
	v_lshlrev_b32_e32 v9, 16, v4
	v_and_b32_e32 v8, 0x7fffffff, v9
	s_mov_b32 s10, 0x43800000
	v_cmp_gt_u32_e32 vcc, s10, v8
	v_mov_b32_e32 v10, 0x80
	s_and_saveexec_b64 s[10:11], vcc
	s_cbranch_execz .LBB38_1831
; %bb.1826:
	s_mov_b32 s12, 0x3bffffff
	v_and_b32_e32 v6, 0xffff, v4
	v_cmp_lt_u32_e32 vcc, s12, v8
	s_mov_b64 s[12:13], 0
                                        ; implicit-def: $vgpr8
	s_and_saveexec_b64 s[18:19], vcc
	s_xor_b64 s[18:19], exec, s[18:19]
	s_cbranch_execz .LBB38_2040
; %bb.1827:
	v_bfe_u32 v8, v6, 4, 1
	s_mov_b32 s20, 0x487ffff
	v_add3_u32 v8, v9, v8, s20
	s_mov_b64 s[12:13], exec
	v_lshrrev_b32_e32 v8, 20, v8
                                        ; implicit-def: $vgpr9
	s_or_saveexec_b64 s[18:19], s[18:19]
                                        ; implicit-def: $sgpr20
	s_xor_b64 exec, exec, s[18:19]
	s_cbranch_execnz .LBB38_2041
.LBB38_1828:
	s_or_b64 exec, exec, s[18:19]
	v_mov_b32_e32 v10, s20
	s_and_saveexec_b64 s[18:19], s[12:13]
.LBB38_1829:
	v_lshrrev_b32_e32 v6, 8, v6
	s_movk_i32 s12, 0x80
	v_and_or_b32 v10, v6, s12, v8
.LBB38_1830:
	s_or_b64 exec, exec, s[18:19]
.LBB38_1831:
	s_or_b64 exec, exec, s[10:11]
	global_store_byte v[0:1], v10, off
.LBB38_1832:
	s_mov_b64 s[10:11], -1
.LBB38_1833:
	s_mov_b64 s[12:13], 0
.LBB38_1834:
	s_and_b64 vcc, exec, s[12:13]
	s_cbranch_vccz .LBB38_1874
; %bb.1835:
	v_mov_b32_e32 v6, 22
	v_cmp_gt_i16_sdwa s[12:13], s15, v6 src0_sel:BYTE_0 src1_sel:DWORD
	s_mov_b64 s[2:3], -1
	s_and_b64 vcc, exec, s[12:13]
	s_cbranch_vccz .LBB38_1867
; %bb.1836:
	v_mov_b32_e32 v6, 24
	v_cmp_lt_i16_sdwa s[10:11], s15, v6 src0_sel:BYTE_0 src1_sel:DWORD
	s_and_b64 vcc, exec, s[10:11]
	s_cbranch_vccnz .LBB38_1856
; %bb.1837:
	v_cmp_gt_i16_sdwa s[10:11], s15, v6 src0_sel:BYTE_0 src1_sel:DWORD
	s_and_b64 vcc, exec, s[10:11]
	s_cbranch_vccz .LBB38_1845
; %bb.1838:
	v_lshlrev_b32_e32 v9, 16, v4
	v_and_b32_e32 v8, 0x7fffffff, v9
	s_mov_b32 s2, 0x47800000
	v_cmp_gt_u32_e32 vcc, s2, v8
	v_mov_b32_e32 v10, 0x80
	s_and_saveexec_b64 s[2:3], vcc
	s_cbranch_execz .LBB38_1844
; %bb.1839:
	s_mov_b32 s10, 0x37ffffff
	v_and_b32_e32 v6, 0xffff, v4
	v_cmp_lt_u32_e32 vcc, s10, v8
	s_mov_b64 s[10:11], 0
                                        ; implicit-def: $vgpr8
	s_and_saveexec_b64 s[12:13], vcc
	s_xor_b64 s[12:13], exec, s[12:13]
	s_cbranch_execz .LBB38_2043
; %bb.1840:
	v_bfe_u32 v8, v6, 5, 1
	s_mov_b32 s18, 0x88fffff
	v_add3_u32 v8, v9, v8, s18
	s_mov_b64 s[10:11], exec
	v_lshrrev_b32_e32 v8, 21, v8
                                        ; implicit-def: $vgpr9
	s_or_saveexec_b64 s[12:13], s[12:13]
                                        ; implicit-def: $sgpr18
	s_xor_b64 exec, exec, s[12:13]
	s_cbranch_execnz .LBB38_2044
.LBB38_1841:
	s_or_b64 exec, exec, s[12:13]
	v_mov_b32_e32 v10, s18
	s_and_saveexec_b64 s[12:13], s[10:11]
.LBB38_1842:
	v_lshrrev_b32_e32 v6, 8, v6
	s_movk_i32 s10, 0x80
	v_and_or_b32 v10, v6, s10, v8
.LBB38_1843:
	s_or_b64 exec, exec, s[12:13]
.LBB38_1844:
	s_or_b64 exec, exec, s[2:3]
	s_mov_b64 s[2:3], 0
	global_store_byte v[0:1], v10, off
.LBB38_1845:
	s_and_b64 vcc, exec, s[2:3]
	s_cbranch_vccz .LBB38_1855
; %bb.1846:
	v_lshlrev_b32_e32 v9, 16, v4
	v_and_b32_e32 v10, 0x7fffffff, v9
	s_mov_b32 s2, 0x43f00000
	v_and_b32_e32 v6, 0xffff, v4
	v_cmp_gt_u32_e32 vcc, s2, v10
                                        ; implicit-def: $vgpr8
	s_and_saveexec_b64 s[2:3], vcc
	s_xor_b64 s[2:3], exec, s[2:3]
	s_cbranch_execz .LBB38_1852
; %bb.1847:
	s_mov_b32 s10, 0x3c7fffff
	v_cmp_lt_u32_e32 vcc, s10, v10
                                        ; implicit-def: $vgpr8
	s_and_saveexec_b64 s[10:11], vcc
	s_xor_b64 s[10:11], exec, s[10:11]
; %bb.1848:
	v_bfe_u32 v8, v6, 4, 1
	s_mov_b32 s12, 0x407ffff
	v_add3_u32 v8, v9, v8, s12
	v_lshrrev_b32_e32 v9, 20, v8
	v_and_b32_e32 v8, 0xff00000, v8
	s_mov_b32 s12, 0x7f00000
	v_mov_b32_e32 v10, 0x7e
	v_cmp_ne_u32_e32 vcc, s12, v8
	v_cndmask_b32_e32 v8, v10, v9, vcc
                                        ; implicit-def: $vgpr9
; %bb.1849:
	s_andn2_saveexec_b64 s[10:11], s[10:11]
; %bb.1850:
	s_mov_b32 s12, 0x46800000
	v_add_f32_e64 v8, |v9|, s12
; %bb.1851:
	s_or_b64 exec, exec, s[10:11]
                                        ; implicit-def: $vgpr10
.LBB38_1852:
	s_andn2_saveexec_b64 s[2:3], s[2:3]
; %bb.1853:
	s_mov_b32 s10, 0x7f800000
	v_mov_b32_e32 v8, 0x7e
	v_mov_b32_e32 v9, 0x7f
	v_cmp_lt_u32_e32 vcc, s10, v10
	v_cndmask_b32_e32 v8, v8, v9, vcc
; %bb.1854:
	s_or_b64 exec, exec, s[2:3]
	v_lshrrev_b32_e32 v6, 8, v6
	s_movk_i32 s2, 0x80
	v_and_or_b32 v6, v6, s2, v8
	global_store_byte v[0:1], v6, off
.LBB38_1855:
	s_mov_b64 s[2:3], 0
.LBB38_1856:
	s_andn2_b64 vcc, exec, s[2:3]
	s_cbranch_vccnz .LBB38_1866
; %bb.1857:
	v_lshlrev_b32_e32 v9, 16, v4
	v_and_b32_e32 v10, 0x7fffffff, v9
	s_mov_b32 s2, 0x47800000
	v_and_b32_e32 v6, 0xffff, v4
	v_cmp_gt_u32_e32 vcc, s2, v10
                                        ; implicit-def: $vgpr8
	s_and_saveexec_b64 s[2:3], vcc
	s_xor_b64 s[2:3], exec, s[2:3]
	s_cbranch_execz .LBB38_1863
; %bb.1858:
	s_mov_b32 s10, 0x387fffff
	v_cmp_lt_u32_e32 vcc, s10, v10
                                        ; implicit-def: $vgpr8
	s_and_saveexec_b64 s[10:11], vcc
	s_xor_b64 s[10:11], exec, s[10:11]
; %bb.1859:
	v_bfe_u32 v8, v6, 5, 1
	s_mov_b32 s12, 0x80fffff
	v_add3_u32 v8, v9, v8, s12
	v_lshrrev_b32_e32 v8, 21, v8
                                        ; implicit-def: $vgpr9
; %bb.1860:
	s_andn2_saveexec_b64 s[10:11], s[10:11]
; %bb.1861:
	s_mov_b32 s12, 0x43000000
	v_add_f32_e64 v8, |v9|, s12
; %bb.1862:
	s_or_b64 exec, exec, s[10:11]
                                        ; implicit-def: $vgpr10
.LBB38_1863:
	s_andn2_saveexec_b64 s[2:3], s[2:3]
; %bb.1864:
	s_mov_b32 s10, 0x7f800000
	v_mov_b32_e32 v8, 0x7c
	v_mov_b32_e32 v9, 0x7f
	v_cmp_lt_u32_e32 vcc, s10, v10
	v_cndmask_b32_e32 v8, v8, v9, vcc
; %bb.1865:
	s_or_b64 exec, exec, s[2:3]
	v_lshrrev_b32_e32 v6, 8, v6
	s_movk_i32 s2, 0x80
	v_and_or_b32 v6, v6, s2, v8
	global_store_byte v[0:1], v6, off
.LBB38_1866:
	s_mov_b64 s[2:3], 0
	s_mov_b64 s[10:11], -1
.LBB38_1867:
	s_andn2_b64 vcc, exec, s[2:3]
	s_mov_b64 s[2:3], 0
	s_cbranch_vccnz .LBB38_1874
; %bb.1868:
	v_mov_b32_e32 v6, 14
	v_cmp_gt_i16_sdwa s[2:3], s15, v6 src0_sel:BYTE_0 src1_sel:DWORD
	s_mov_b64 s[12:13], -1
	s_and_b64 vcc, exec, s[2:3]
	s_cbranch_vccz .LBB38_1872
; %bb.1869:
	v_mov_b32_e32 v6, 15
	v_cmp_eq_u16_sdwa s[2:3], s15, v6 src0_sel:BYTE_0 src1_sel:DWORD
	s_mov_b64 s[0:1], -1
	s_and_b64 vcc, exec, s[2:3]
	s_cbranch_vccz .LBB38_1871
; %bb.1870:
	global_store_short v[0:1], v4, off
	s_mov_b64 s[0:1], 0
	s_mov_b64 s[10:11], -1
.LBB38_1871:
	s_mov_b64 s[12:13], 0
.LBB38_1872:
	s_mov_b64 s[2:3], 0
	s_and_b64 vcc, exec, s[12:13]
	s_cbranch_vccz .LBB38_1874
; %bb.1873:
	v_mov_b32_e32 v6, 11
	v_cmp_ne_u16_sdwa s[0:1], s15, v6 src0_sel:BYTE_0 src1_sel:DWORD
	s_mov_b64 s[2:3], -1
.LBB38_1874:
	s_and_b64 vcc, exec, s[0:1]
	s_cbranch_vccnz .LBB38_2042
; %bb.1875:
	s_andn2_b64 vcc, exec, s[2:3]
	s_cbranch_vccnz .LBB38_1877
.LBB38_1876:
	v_cmp_ne_u16_e32 vcc, 0, v5
	v_cndmask_b32_e64 v5, 0, 1, vcc
	s_mov_b64 s[10:11], -1
	global_store_byte v[0:1], v5, off
.LBB38_1877:
	s_mov_b64 s[0:1], 0
.LBB38_1878:
	s_and_b64 vcc, exec, s[0:1]
	s_cbranch_vccz .LBB38_1917
; %bb.1879:
	v_mov_b32_e32 v5, 5
	v_cmp_lt_i16_sdwa s[2:3], s15, v5 src0_sel:BYTE_0 src1_sel:DWORD
	s_mov_b64 s[0:1], -1
	s_and_b64 vcc, exec, s[2:3]
	s_cbranch_vccnz .LBB38_1900
; %bb.1880:
	v_mov_b32_e32 v5, 8
	v_cmp_lt_i16_sdwa s[2:3], s15, v5 src0_sel:BYTE_0 src1_sel:DWORD
	s_and_b64 vcc, exec, s[2:3]
	s_cbranch_vccnz .LBB38_1890
; %bb.1881:
	v_mov_b32_e32 v5, 9
	v_cmp_lt_i16_sdwa s[2:3], s15, v5 src0_sel:BYTE_0 src1_sel:DWORD
	s_and_b64 vcc, exec, s[2:3]
	s_cbranch_vccnz .LBB38_1887
; %bb.1882:
	v_cmp_gt_i16_sdwa s[2:3], s15, v5 src0_sel:BYTE_0 src1_sel:DWORD
	s_and_b64 vcc, exec, s[2:3]
	s_cbranch_vccz .LBB38_1884
; %bb.1883:
	v_lshlrev_b32_e32 v5, 16, v4
	v_mov_b32_e32 v10, 0
	v_cvt_f64_f32_e32 v[8:9], v5
	v_mov_b32_e32 v11, v10
	global_store_dwordx4 v[0:1], v[8:11], off
	s_mov_b64 s[0:1], 0
.LBB38_1884:
	s_andn2_b64 vcc, exec, s[0:1]
	s_cbranch_vccnz .LBB38_1886
; %bb.1885:
	v_lshlrev_b32_e32 v8, 16, v4
	v_mov_b32_e32 v9, 0
	global_store_dwordx2 v[0:1], v[8:9], off
.LBB38_1886:
	s_mov_b64 s[0:1], 0
.LBB38_1887:
	s_andn2_b64 vcc, exec, s[0:1]
	s_cbranch_vccnz .LBB38_1889
; %bb.1888:
	v_lshlrev_b32_e32 v5, 16, v4
	v_cvt_f16_f32_e32 v5, v5
	global_store_dword v[0:1], v5, off
.LBB38_1889:
	s_mov_b64 s[0:1], 0
.LBB38_1890:
	s_andn2_b64 vcc, exec, s[0:1]
	s_cbranch_vccnz .LBB38_1899
; %bb.1891:
	v_mov_b32_e32 v5, 6
	v_cmp_lt_i16_sdwa s[2:3], s15, v5 src0_sel:BYTE_0 src1_sel:DWORD
	s_mov_b64 s[0:1], -1
	s_and_b64 vcc, exec, s[2:3]
	s_cbranch_vccnz .LBB38_1897
; %bb.1892:
	v_cmp_gt_i16_sdwa s[2:3], s15, v5 src0_sel:BYTE_0 src1_sel:DWORD
	s_and_b64 vcc, exec, s[2:3]
	s_cbranch_vccz .LBB38_1894
; %bb.1893:
	v_lshlrev_b32_e32 v5, 16, v4
	v_cvt_f64_f32_e32 v[8:9], v5
	global_store_dwordx2 v[0:1], v[8:9], off
	s_mov_b64 s[0:1], 0
.LBB38_1894:
	s_andn2_b64 vcc, exec, s[0:1]
	s_cbranch_vccnz .LBB38_1896
; %bb.1895:
	v_lshlrev_b32_e32 v5, 16, v4
	global_store_dword v[0:1], v5, off
.LBB38_1896:
	s_mov_b64 s[0:1], 0
.LBB38_1897:
	s_andn2_b64 vcc, exec, s[0:1]
	s_cbranch_vccnz .LBB38_1899
; %bb.1898:
	v_lshlrev_b32_e32 v5, 16, v4
	v_cvt_f16_f32_e32 v5, v5
	global_store_short v[0:1], v5, off
.LBB38_1899:
	s_mov_b64 s[0:1], 0
.LBB38_1900:
	s_andn2_b64 vcc, exec, s[0:1]
	s_cbranch_vccnz .LBB38_1916
; %bb.1901:
	v_mov_b32_e32 v5, 2
	v_cmp_lt_i16_sdwa s[2:3], s15, v5 src0_sel:BYTE_0 src1_sel:DWORD
	s_mov_b64 s[0:1], -1
	s_and_b64 vcc, exec, s[2:3]
	s_cbranch_vccnz .LBB38_1911
; %bb.1902:
	v_mov_b32_e32 v5, 3
	v_cmp_lt_i16_sdwa s[2:3], s15, v5 src0_sel:BYTE_0 src1_sel:DWORD
	s_and_b64 vcc, exec, s[2:3]
	s_cbranch_vccnz .LBB38_1908
; %bb.1903:
	v_cmp_gt_i16_sdwa s[2:3], s15, v5 src0_sel:BYTE_0 src1_sel:DWORD
	s_and_b64 vcc, exec, s[2:3]
	s_cbranch_vccz .LBB38_1905
; %bb.1904:
	v_lshlrev_b32_e32 v5, 16, v4
	v_trunc_f32_e32 v5, v5
	s_mov_b32 s0, 0x2f800000
	v_mul_f32_e64 v6, |v5|, s0
	v_floor_f32_e32 v6, v6
	s_mov_b32 s0, 0xcf800000
	v_cvt_u32_f32_e32 v8, v6
	v_fma_f32 v6, v6, s0, |v5|
	v_cvt_u32_f32_e32 v6, v6
	v_ashrrev_i32_e32 v5, 31, v5
	v_xor_b32_e32 v9, v8, v5
	s_mov_b64 s[0:1], 0
	v_xor_b32_e32 v6, v6, v5
	v_sub_co_u32_e32 v8, vcc, v6, v5
	v_subb_co_u32_e32 v9, vcc, v9, v5, vcc
	global_store_dwordx2 v[0:1], v[8:9], off
.LBB38_1905:
	s_andn2_b64 vcc, exec, s[0:1]
	s_cbranch_vccnz .LBB38_1907
; %bb.1906:
	v_lshlrev_b32_e32 v5, 16, v4
	v_cvt_i32_f32_e32 v5, v5
	global_store_dword v[0:1], v5, off
.LBB38_1907:
	s_mov_b64 s[0:1], 0
.LBB38_1908:
	s_andn2_b64 vcc, exec, s[0:1]
	s_cbranch_vccnz .LBB38_1910
; %bb.1909:
	v_lshlrev_b32_e32 v5, 16, v4
	v_cvt_i32_f32_e32 v5, v5
	global_store_short v[0:1], v5, off
.LBB38_1910:
	s_mov_b64 s[0:1], 0
.LBB38_1911:
	s_andn2_b64 vcc, exec, s[0:1]
	s_cbranch_vccnz .LBB38_1916
; %bb.1912:
	v_mov_b32_e32 v5, 0
	v_cmp_gt_i16_sdwa s[2:3], s15, v5 src0_sel:BYTE_0 src1_sel:DWORD
	s_mov_b64 s[0:1], -1
	s_and_b64 vcc, exec, s[2:3]
	v_lshlrev_b32_e32 v4, 16, v4
	s_cbranch_vccz .LBB38_1914
; %bb.1913:
	v_cvt_i32_f32_e32 v5, v4
	s_mov_b64 s[0:1], 0
	global_store_byte v[0:1], v5, off
.LBB38_1914:
	s_andn2_b64 vcc, exec, s[0:1]
	s_cbranch_vccnz .LBB38_1916
; %bb.1915:
	v_trunc_f32_e32 v4, v4
	s_mov_b32 s0, 0x2f800000
	v_mul_f32_e64 v5, |v4|, s0
	v_floor_f32_e32 v5, v5
	s_mov_b32 s0, 0xcf800000
	v_fma_f32 v5, v5, s0, |v4|
	v_cvt_u32_f32_e32 v5, v5
	v_ashrrev_i32_e32 v4, 31, v4
	v_xor_b32_e32 v5, v5, v4
	v_sub_u32_e32 v4, v5, v4
	global_store_byte v[0:1], v4, off
.LBB38_1916:
	s_mov_b64 s[10:11], -1
.LBB38_1917:
	s_andn2_b64 vcc, exec, s[10:11]
	s_cbranch_vccnz .LBB38_1994
; %bb.1918:
	v_add_u32_e32 v0, s14, v2
	v_ashrrev_i32_e32 v1, 31, v0
	v_mov_b32_e32 v2, s9
	v_add_co_u32_e32 v0, vcc, s8, v0
	v_addc_co_u32_e32 v1, vcc, v2, v1, vcc
	v_mov_b32_e32 v2, 0xff
	v_and_b32_e32 v4, s15, v2
	v_and_b32_e32 v6, 0x7fff, v7
	v_cmp_gt_i16_e32 vcc, 11, v4
	v_or_b32_e32 v5, v6, v3
	s_cbranch_vccnz .LBB38_2039
; %bb.1919:
	v_cmp_lt_i16_e32 vcc, 25, v4
	s_mov_b64 s[8:9], -1
	s_mov_b64 s[2:3], 0
	s_mov_b64 s[0:1], 0
	s_cbranch_vccz .LBB38_1952
; %bb.1920:
	v_cmp_lt_i16_e32 vcc, 28, v4
	s_cbranch_vccz .LBB38_1936
; %bb.1921:
	v_cmp_lt_i16_e32 vcc, 43, v4
	;; [unrolled: 3-line block ×3, first 2 shown]
	s_cbranch_vccz .LBB38_1926
; %bb.1923:
	v_cmp_eq_u16_e32 vcc, 46, v4
	s_mov_b64 s[0:1], -1
	s_cbranch_vccz .LBB38_1925
; %bb.1924:
	v_and_b32_e32 v2, 0xffff, v5
	global_store_dword v[0:1], v2, off
	s_mov_b64 s[0:1], 0
.LBB38_1925:
	s_mov_b64 s[8:9], 0
.LBB38_1926:
	s_and_b64 vcc, exec, s[8:9]
	s_cbranch_vccz .LBB38_1931
; %bb.1927:
	v_cmp_eq_u16_e32 vcc, 44, v4
	s_mov_b64 s[0:1], -1
	s_cbranch_vccz .LBB38_1931
; %bb.1928:
	v_and_b32_e32 v3, 0xffff, v5
	v_bfe_u32 v2, v3, 7, 8
	s_movk_i32 s0, 0xff
	v_cmp_ne_u32_e32 vcc, s0, v2
	v_mov_b32_e32 v7, 0xff
	s_and_saveexec_b64 s[8:9], vcc
; %bb.1929:
	v_lshlrev_b32_e32 v8, 16, v3
	s_mov_b32 s0, 0x3f0000
	v_lshrrev_b32_e32 v7, 7, v3
	v_and_b32_e32 v3, 64, v3
	v_and_or_b32 v2, v8, s0, v2
	v_cmp_ne_u32_e32 vcc, 0, v3
	v_cmp_ne_u32_e64 s[0:1], 0, v2
	s_and_b64 s[0:1], vcc, s[0:1]
	v_cndmask_b32_e64 v2, 0, 1, s[0:1]
	v_add_u32_e32 v7, v7, v2
; %bb.1930:
	s_or_b64 exec, exec, s[8:9]
	s_mov_b64 s[0:1], 0
	global_store_byte v[0:1], v7, off
.LBB38_1931:
	s_mov_b64 s[8:9], 0
.LBB38_1932:
	s_and_b64 vcc, exec, s[8:9]
	s_cbranch_vccz .LBB38_1935
; %bb.1933:
	v_cmp_eq_u16_e32 vcc, 29, v4
	s_mov_b64 s[0:1], -1
	s_cbranch_vccz .LBB38_1935
; %bb.1934:
	v_lshlrev_b32_e32 v2, 16, v5
	v_trunc_f32_e32 v2, v2
	v_mul_f32_e32 v3, 0x2f800000, v2
	v_floor_f32_e32 v7, v3
	v_fmac_f32_e32 v2, 0xcf800000, v7
	v_cvt_u32_f32_e32 v3, v7
	v_cvt_u32_f32_e32 v2, v2
	s_mov_b64 s[0:1], 0
	global_store_dwordx2 v[0:1], v[2:3], off
.LBB38_1935:
	s_mov_b64 s[8:9], 0
.LBB38_1936:
	s_and_b64 vcc, exec, s[8:9]
	s_cbranch_vccz .LBB38_1951
; %bb.1937:
	v_cmp_gt_i16_e32 vcc, 27, v4
	s_mov_b64 s[8:9], -1
	s_cbranch_vccnz .LBB38_1943
; %bb.1938:
	v_cmp_lt_i16_e32 vcc, 27, v4
	s_cbranch_vccz .LBB38_1940
; %bb.1939:
	v_lshlrev_b32_e32 v2, 16, v5
	v_cvt_u32_f32_e32 v2, v2
	s_mov_b64 s[8:9], 0
	global_store_dword v[0:1], v2, off
.LBB38_1940:
	s_andn2_b64 vcc, exec, s[8:9]
	s_cbranch_vccnz .LBB38_1942
; %bb.1941:
	v_lshlrev_b32_e32 v2, 16, v5
	v_cvt_u32_f32_e32 v2, v2
	global_store_short v[0:1], v2, off
.LBB38_1942:
	s_mov_b64 s[8:9], 0
.LBB38_1943:
	s_andn2_b64 vcc, exec, s[8:9]
	s_cbranch_vccnz .LBB38_1951
; %bb.1944:
	v_lshlrev_b32_e32 v7, 16, v5
	v_and_b32_e32 v3, 0x7fffffff, v7
	s_mov_b32 s8, 0x43800000
	v_cmp_gt_u32_e32 vcc, s8, v3
	v_mov_b32_e32 v8, 0x80
	s_and_saveexec_b64 s[8:9], vcc
	s_cbranch_execz .LBB38_1950
; %bb.1945:
	s_mov_b32 s10, 0x3bffffff
	v_and_b32_e32 v2, 0xffff, v5
	v_cmp_lt_u32_e32 vcc, s10, v3
	s_mov_b64 s[10:11], 0
                                        ; implicit-def: $vgpr3
	s_and_saveexec_b64 s[12:13], vcc
	s_xor_b64 s[12:13], exec, s[12:13]
	s_cbranch_execz .LBB38_2045
; %bb.1946:
	v_bfe_u32 v3, v2, 4, 1
	s_mov_b32 s14, 0x487ffff
	v_add3_u32 v3, v7, v3, s14
	s_mov_b64 s[10:11], exec
	v_lshrrev_b32_e32 v3, 20, v3
                                        ; implicit-def: $vgpr7
	s_or_saveexec_b64 s[12:13], s[12:13]
                                        ; implicit-def: $sgpr14
	s_xor_b64 exec, exec, s[12:13]
	s_cbranch_execnz .LBB38_2046
.LBB38_1947:
	s_or_b64 exec, exec, s[12:13]
	v_mov_b32_e32 v8, s14
	s_and_saveexec_b64 s[12:13], s[10:11]
.LBB38_1948:
	v_lshrrev_b32_e32 v2, 8, v2
	s_movk_i32 s10, 0x80
	v_and_or_b32 v8, v2, s10, v3
.LBB38_1949:
	s_or_b64 exec, exec, s[12:13]
.LBB38_1950:
	s_or_b64 exec, exec, s[8:9]
	global_store_byte v[0:1], v8, off
.LBB38_1951:
	s_mov_b64 s[8:9], 0
.LBB38_1952:
	s_and_b64 vcc, exec, s[8:9]
	s_cbranch_vccz .LBB38_1992
; %bb.1953:
	v_cmp_lt_i16_e32 vcc, 22, v4
	s_mov_b64 s[2:3], -1
	s_cbranch_vccz .LBB38_1985
; %bb.1954:
	v_cmp_gt_i16_e32 vcc, 24, v4
	s_cbranch_vccnz .LBB38_1974
; %bb.1955:
	v_cmp_lt_i16_e32 vcc, 24, v4
	s_cbranch_vccz .LBB38_1963
; %bb.1956:
	v_lshlrev_b32_e32 v7, 16, v5
	v_and_b32_e32 v3, 0x7fffffff, v7
	s_mov_b32 s2, 0x47800000
	v_cmp_gt_u32_e32 vcc, s2, v3
	v_mov_b32_e32 v8, 0x80
	s_and_saveexec_b64 s[2:3], vcc
	s_cbranch_execz .LBB38_1962
; %bb.1957:
	s_mov_b32 s8, 0x37ffffff
	v_and_b32_e32 v2, 0xffff, v5
	v_cmp_lt_u32_e32 vcc, s8, v3
	s_mov_b64 s[8:9], 0
                                        ; implicit-def: $vgpr3
	s_and_saveexec_b64 s[10:11], vcc
	s_xor_b64 s[10:11], exec, s[10:11]
	s_cbranch_execz .LBB38_2048
; %bb.1958:
	v_bfe_u32 v3, v2, 5, 1
	s_mov_b32 s12, 0x88fffff
	v_add3_u32 v3, v7, v3, s12
	s_mov_b64 s[8:9], exec
	v_lshrrev_b32_e32 v3, 21, v3
                                        ; implicit-def: $vgpr7
	s_or_saveexec_b64 s[10:11], s[10:11]
                                        ; implicit-def: $sgpr12
	s_xor_b64 exec, exec, s[10:11]
	s_cbranch_execnz .LBB38_2049
.LBB38_1959:
	s_or_b64 exec, exec, s[10:11]
	v_mov_b32_e32 v8, s12
	s_and_saveexec_b64 s[10:11], s[8:9]
.LBB38_1960:
	v_lshrrev_b32_e32 v2, 8, v2
	s_movk_i32 s8, 0x80
	v_and_or_b32 v8, v2, s8, v3
.LBB38_1961:
	s_or_b64 exec, exec, s[10:11]
.LBB38_1962:
	s_or_b64 exec, exec, s[2:3]
	s_mov_b64 s[2:3], 0
	global_store_byte v[0:1], v8, off
.LBB38_1963:
	s_and_b64 vcc, exec, s[2:3]
	s_cbranch_vccz .LBB38_1973
; %bb.1964:
	v_lshlrev_b32_e32 v7, 16, v5
	v_and_b32_e32 v8, 0x7fffffff, v7
	s_mov_b32 s2, 0x43f00000
	v_and_b32_e32 v2, 0xffff, v5
	v_cmp_gt_u32_e32 vcc, s2, v8
                                        ; implicit-def: $vgpr3
	s_and_saveexec_b64 s[2:3], vcc
	s_xor_b64 s[2:3], exec, s[2:3]
	s_cbranch_execz .LBB38_1970
; %bb.1965:
	s_mov_b32 s8, 0x3c7fffff
	v_cmp_lt_u32_e32 vcc, s8, v8
                                        ; implicit-def: $vgpr3
	s_and_saveexec_b64 s[8:9], vcc
	s_xor_b64 s[8:9], exec, s[8:9]
; %bb.1966:
	v_bfe_u32 v3, v2, 4, 1
	s_mov_b32 s10, 0x407ffff
	v_add3_u32 v3, v7, v3, s10
	v_lshrrev_b32_e32 v7, 20, v3
	v_and_b32_e32 v3, 0xff00000, v3
	s_mov_b32 s10, 0x7f00000
	v_mov_b32_e32 v8, 0x7e
	v_cmp_ne_u32_e32 vcc, s10, v3
	v_cndmask_b32_e32 v3, v8, v7, vcc
                                        ; implicit-def: $vgpr7
; %bb.1967:
	s_andn2_saveexec_b64 s[8:9], s[8:9]
; %bb.1968:
	s_mov_b32 s10, 0x46800000
	v_add_f32_e64 v3, |v7|, s10
; %bb.1969:
	s_or_b64 exec, exec, s[8:9]
                                        ; implicit-def: $vgpr8
.LBB38_1970:
	s_andn2_saveexec_b64 s[2:3], s[2:3]
; %bb.1971:
	s_mov_b32 s8, 0x7f800000
	v_mov_b32_e32 v3, 0x7e
	v_mov_b32_e32 v7, 0x7f
	v_cmp_lt_u32_e32 vcc, s8, v8
	v_cndmask_b32_e32 v3, v3, v7, vcc
; %bb.1972:
	s_or_b64 exec, exec, s[2:3]
	v_lshrrev_b32_e32 v2, 8, v2
	s_movk_i32 s2, 0x80
	v_and_or_b32 v2, v2, s2, v3
	global_store_byte v[0:1], v2, off
.LBB38_1973:
	s_mov_b64 s[2:3], 0
.LBB38_1974:
	s_andn2_b64 vcc, exec, s[2:3]
	s_cbranch_vccnz .LBB38_1984
; %bb.1975:
	v_lshlrev_b32_e32 v7, 16, v5
	v_and_b32_e32 v8, 0x7fffffff, v7
	s_mov_b32 s2, 0x47800000
	v_and_b32_e32 v2, 0xffff, v5
	v_cmp_gt_u32_e32 vcc, s2, v8
                                        ; implicit-def: $vgpr3
	s_and_saveexec_b64 s[2:3], vcc
	s_xor_b64 s[2:3], exec, s[2:3]
	s_cbranch_execz .LBB38_1981
; %bb.1976:
	s_mov_b32 s8, 0x387fffff
	v_cmp_lt_u32_e32 vcc, s8, v8
                                        ; implicit-def: $vgpr3
	s_and_saveexec_b64 s[8:9], vcc
	s_xor_b64 s[8:9], exec, s[8:9]
; %bb.1977:
	v_bfe_u32 v3, v2, 5, 1
	s_mov_b32 s10, 0x80fffff
	v_add3_u32 v3, v7, v3, s10
	v_lshrrev_b32_e32 v3, 21, v3
                                        ; implicit-def: $vgpr7
; %bb.1978:
	s_andn2_saveexec_b64 s[8:9], s[8:9]
; %bb.1979:
	s_mov_b32 s10, 0x43000000
	v_add_f32_e64 v3, |v7|, s10
; %bb.1980:
	s_or_b64 exec, exec, s[8:9]
                                        ; implicit-def: $vgpr8
.LBB38_1981:
	s_andn2_saveexec_b64 s[2:3], s[2:3]
; %bb.1982:
	s_mov_b32 s8, 0x7f800000
	v_mov_b32_e32 v3, 0x7c
	v_mov_b32_e32 v7, 0x7f
	v_cmp_lt_u32_e32 vcc, s8, v8
	v_cndmask_b32_e32 v3, v3, v7, vcc
; %bb.1983:
	s_or_b64 exec, exec, s[2:3]
	v_lshrrev_b32_e32 v2, 8, v2
	s_movk_i32 s2, 0x80
	v_and_or_b32 v2, v2, s2, v3
	global_store_byte v[0:1], v2, off
.LBB38_1984:
	s_mov_b64 s[2:3], 0
.LBB38_1985:
	s_andn2_b64 vcc, exec, s[2:3]
	s_mov_b64 s[2:3], 0
	s_cbranch_vccnz .LBB38_1992
; %bb.1986:
	v_cmp_lt_i16_e32 vcc, 14, v4
	s_mov_b64 s[8:9], -1
	s_cbranch_vccz .LBB38_1990
; %bb.1987:
	v_cmp_eq_u16_e32 vcc, 15, v4
	s_mov_b64 s[0:1], -1
	s_cbranch_vccz .LBB38_1989
; %bb.1988:
	global_store_short v[0:1], v5, off
	s_mov_b64 s[0:1], 0
.LBB38_1989:
	s_mov_b64 s[8:9], 0
.LBB38_1990:
	s_and_b64 vcc, exec, s[8:9]
	s_cbranch_vccz .LBB38_1992
; %bb.1991:
	v_cmp_ne_u16_e64 s[0:1], 11, v4
	s_mov_b64 s[2:3], -1
.LBB38_1992:
	s_and_b64 vcc, exec, s[0:1]
	s_cbranch_vccnz .LBB38_2047
.LBB38_1993:
	s_mov_b64 s[0:1], 0
	s_branch .LBB38_1995
.LBB38_1994:
	s_mov_b64 s[0:1], 0
	s_mov_b64 s[2:3], 0
                                        ; implicit-def: $vgpr4
                                        ; implicit-def: $vgpr0_vgpr1
                                        ; implicit-def: $vgpr5
                                        ; implicit-def: $vgpr6
.LBB38_1995:
	s_andn2_b64 s[6:7], s[6:7], exec
	s_and_b64 s[8:9], s[16:17], exec
	s_and_b64 s[0:1], s[0:1], exec
	;; [unrolled: 1-line block ×3, first 2 shown]
	s_or_b64 s[6:7], s[6:7], s[8:9]
.LBB38_1996:
	s_or_b64 exec, exec, s[4:5]
	s_and_saveexec_b64 s[4:5], s[6:7]
	s_cbranch_execz .LBB38_1999
; %bb.1997:
	; divergent unreachable
	s_or_b64 exec, exec, s[4:5]
	s_and_saveexec_b64 s[4:5], s[2:3]
	s_xor_b64 s[2:3], exec, s[4:5]
	s_cbranch_execnz .LBB38_2000
.LBB38_1998:
	s_or_b64 exec, exec, s[2:3]
	s_and_saveexec_b64 s[2:3], s[0:1]
	s_cbranch_execnz .LBB38_2001
	s_branch .LBB38_2038
.LBB38_1999:
	s_or_b64 exec, exec, s[4:5]
	s_and_saveexec_b64 s[4:5], s[2:3]
	s_xor_b64 s[2:3], exec, s[4:5]
	s_cbranch_execz .LBB38_1998
.LBB38_2000:
	s_waitcnt vmcnt(0)
	v_cmp_ne_u16_e32 vcc, 0, v6
	v_cndmask_b32_e64 v2, 0, 1, vcc
	global_store_byte v[0:1], v2, off
	s_or_b64 exec, exec, s[2:3]
	s_and_saveexec_b64 s[2:3], s[0:1]
	s_cbranch_execz .LBB38_2038
.LBB38_2001:
	s_waitcnt vmcnt(0)
	v_cmp_gt_i16_e32 vcc, 5, v4
	s_mov_b64 s[0:1], -1
	s_cbranch_vccnz .LBB38_2022
; %bb.2002:
	v_cmp_gt_i16_e32 vcc, 8, v4
	s_cbranch_vccnz .LBB38_2012
; %bb.2003:
	v_cmp_gt_i16_e32 vcc, 9, v4
	s_cbranch_vccnz .LBB38_2009
; %bb.2004:
	v_cmp_lt_i16_e32 vcc, 9, v4
	s_cbranch_vccz .LBB38_2006
; %bb.2005:
	v_lshlrev_b32_e32 v2, 16, v5
	v_mov_b32_e32 v8, 0
	v_cvt_f64_f32_e32 v[6:7], v2
	v_mov_b32_e32 v9, v8
	global_store_dwordx4 v[0:1], v[6:9], off
	s_mov_b64 s[0:1], 0
.LBB38_2006:
	s_andn2_b64 vcc, exec, s[0:1]
	s_cbranch_vccnz .LBB38_2008
; %bb.2007:
	v_lshlrev_b32_e32 v2, 16, v5
	v_mov_b32_e32 v3, 0
	global_store_dwordx2 v[0:1], v[2:3], off
.LBB38_2008:
	s_mov_b64 s[0:1], 0
.LBB38_2009:
	s_andn2_b64 vcc, exec, s[0:1]
	s_cbranch_vccnz .LBB38_2011
; %bb.2010:
	v_lshlrev_b32_e32 v2, 16, v5
	v_cvt_f16_f32_e32 v2, v2
	global_store_dword v[0:1], v2, off
.LBB38_2011:
	s_mov_b64 s[0:1], 0
.LBB38_2012:
	s_andn2_b64 vcc, exec, s[0:1]
	s_cbranch_vccnz .LBB38_2021
; %bb.2013:
	v_cmp_gt_i16_e32 vcc, 6, v4
	s_mov_b64 s[0:1], -1
	s_cbranch_vccnz .LBB38_2019
; %bb.2014:
	v_cmp_lt_i16_e32 vcc, 6, v4
	s_cbranch_vccz .LBB38_2016
; %bb.2015:
	v_lshlrev_b32_e32 v2, 16, v5
	v_cvt_f64_f32_e32 v[2:3], v2
	global_store_dwordx2 v[0:1], v[2:3], off
	s_mov_b64 s[0:1], 0
.LBB38_2016:
	s_andn2_b64 vcc, exec, s[0:1]
	s_cbranch_vccnz .LBB38_2018
; %bb.2017:
	v_lshlrev_b32_e32 v2, 16, v5
	global_store_dword v[0:1], v2, off
.LBB38_2018:
	s_mov_b64 s[0:1], 0
.LBB38_2019:
	s_andn2_b64 vcc, exec, s[0:1]
	s_cbranch_vccnz .LBB38_2021
; %bb.2020:
	v_lshlrev_b32_e32 v2, 16, v5
	v_cvt_f16_f32_e32 v2, v2
	global_store_short v[0:1], v2, off
.LBB38_2021:
	s_mov_b64 s[0:1], 0
.LBB38_2022:
	s_andn2_b64 vcc, exec, s[0:1]
	s_cbranch_vccnz .LBB38_2038
; %bb.2023:
	v_cmp_gt_i16_e32 vcc, 2, v4
	s_mov_b64 s[0:1], -1
	s_cbranch_vccnz .LBB38_2033
; %bb.2024:
	v_cmp_gt_i16_e32 vcc, 3, v4
	s_cbranch_vccnz .LBB38_2030
; %bb.2025:
	v_cmp_lt_i16_e32 vcc, 3, v4
	s_cbranch_vccz .LBB38_2027
; %bb.2026:
	v_lshlrev_b32_e32 v2, 16, v5
	v_trunc_f32_e32 v2, v2
	s_mov_b32 s0, 0x2f800000
	v_mul_f32_e64 v3, |v2|, s0
	v_floor_f32_e32 v3, v3
	s_mov_b32 s0, 0xcf800000
	v_cvt_u32_f32_e32 v6, v3
	v_fma_f32 v3, v3, s0, |v2|
	v_cvt_u32_f32_e32 v3, v3
	v_ashrrev_i32_e32 v7, 31, v2
	v_xor_b32_e32 v6, v6, v7
	s_mov_b64 s[0:1], 0
	v_xor_b32_e32 v2, v3, v7
	v_sub_co_u32_e32 v2, vcc, v2, v7
	v_subb_co_u32_e32 v3, vcc, v6, v7, vcc
	global_store_dwordx2 v[0:1], v[2:3], off
.LBB38_2027:
	s_andn2_b64 vcc, exec, s[0:1]
	s_cbranch_vccnz .LBB38_2029
; %bb.2028:
	v_lshlrev_b32_e32 v2, 16, v5
	v_cvt_i32_f32_e32 v2, v2
	global_store_dword v[0:1], v2, off
.LBB38_2029:
	s_mov_b64 s[0:1], 0
.LBB38_2030:
	s_andn2_b64 vcc, exec, s[0:1]
	s_cbranch_vccnz .LBB38_2032
; %bb.2031:
	v_lshlrev_b32_e32 v2, 16, v5
	v_cvt_i32_f32_e32 v2, v2
	global_store_short v[0:1], v2, off
.LBB38_2032:
	s_mov_b64 s[0:1], 0
.LBB38_2033:
	s_andn2_b64 vcc, exec, s[0:1]
	s_cbranch_vccnz .LBB38_2038
; %bb.2034:
	v_cmp_lt_i16_e32 vcc, 0, v4
	s_mov_b64 s[0:1], -1
	v_lshlrev_b32_e32 v2, 16, v5
	s_cbranch_vccz .LBB38_2036
; %bb.2035:
	v_cvt_i32_f32_e32 v3, v2
	s_mov_b64 s[0:1], 0
	global_store_byte v[0:1], v3, off
.LBB38_2036:
	s_andn2_b64 vcc, exec, s[0:1]
	s_cbranch_vccnz .LBB38_2038
; %bb.2037:
	v_trunc_f32_e32 v2, v2
	s_mov_b32 s0, 0x2f800000
	v_mul_f32_e64 v3, |v2|, s0
	v_floor_f32_e32 v3, v3
	s_mov_b32 s0, 0xcf800000
	v_fma_f32 v3, v3, s0, |v2|
	v_cvt_u32_f32_e32 v3, v3
	v_ashrrev_i32_e32 v2, 31, v2
	v_xor_b32_e32 v3, v3, v2
	v_sub_u32_e32 v2, v3, v2
	global_store_byte v[0:1], v2, off
	s_endpgm
.LBB38_2038:
	s_endpgm
.LBB38_2039:
	s_mov_b64 s[2:3], 0
	s_mov_b64 s[0:1], -1
	s_branch .LBB38_1995
.LBB38_2040:
	s_or_saveexec_b64 s[18:19], s[18:19]
                                        ; implicit-def: $sgpr20
	s_xor_b64 exec, exec, s[18:19]
	s_cbranch_execz .LBB38_1828
.LBB38_2041:
	s_mov_b32 s20, 0x46000000
	v_add_f32_e64 v8, |v9|, s20
	v_and_b32_e32 v8, 0xff, v8
	v_cmp_ne_u32_e32 vcc, 0, v8
	s_andn2_b64 s[12:13], s[12:13], exec
	s_and_b64 s[22:23], vcc, exec
	s_mov_b32 s20, 0
	s_or_b64 s[12:13], s[12:13], s[22:23]
	s_or_b64 exec, exec, s[18:19]
	v_mov_b32_e32 v10, s20
	s_and_saveexec_b64 s[18:19], s[12:13]
	s_cbranch_execnz .LBB38_1829
	s_branch .LBB38_1830
.LBB38_2042:
	s_trap 2
	s_or_b64 s[16:17], s[16:17], exec
	s_cbranch_execz .LBB38_1876
	s_branch .LBB38_1877
.LBB38_2043:
	s_or_saveexec_b64 s[12:13], s[12:13]
                                        ; implicit-def: $sgpr18
	s_xor_b64 exec, exec, s[12:13]
	s_cbranch_execz .LBB38_1841
.LBB38_2044:
	s_mov_b32 s18, 0x42800000
	v_add_f32_e64 v8, |v9|, s18
	v_and_b32_e32 v8, 0xff, v8
	v_cmp_ne_u32_e32 vcc, 0, v8
	s_andn2_b64 s[10:11], s[10:11], exec
	s_and_b64 s[20:21], vcc, exec
	s_mov_b32 s18, 0
	s_or_b64 s[10:11], s[10:11], s[20:21]
	s_or_b64 exec, exec, s[12:13]
	v_mov_b32_e32 v10, s18
	s_and_saveexec_b64 s[12:13], s[10:11]
	s_cbranch_execnz .LBB38_1842
	s_branch .LBB38_1843
.LBB38_2045:
	s_or_saveexec_b64 s[12:13], s[12:13]
                                        ; implicit-def: $sgpr14
	s_xor_b64 exec, exec, s[12:13]
	s_cbranch_execz .LBB38_1947
.LBB38_2046:
	s_mov_b32 s14, 0x46000000
	v_add_f32_e64 v3, |v7|, s14
	v_and_b32_e32 v3, 0xff, v3
	v_cmp_ne_u32_e32 vcc, 0, v3
	s_andn2_b64 s[10:11], s[10:11], exec
	s_and_b64 s[18:19], vcc, exec
	s_mov_b32 s14, 0
	s_or_b64 s[10:11], s[10:11], s[18:19]
	s_or_b64 exec, exec, s[12:13]
	v_mov_b32_e32 v8, s14
	s_and_saveexec_b64 s[12:13], s[10:11]
	s_cbranch_execnz .LBB38_1948
	s_branch .LBB38_1949
.LBB38_2047:
	s_mov_b64 s[2:3], 0
	s_or_b64 s[16:17], s[16:17], exec
	s_trap 2
	s_branch .LBB38_1993
.LBB38_2048:
	s_or_saveexec_b64 s[10:11], s[10:11]
                                        ; implicit-def: $sgpr12
	s_xor_b64 exec, exec, s[10:11]
	s_cbranch_execz .LBB38_1959
.LBB38_2049:
	s_mov_b32 s12, 0x42800000
	v_add_f32_e64 v3, |v7|, s12
	v_and_b32_e32 v3, 0xff, v3
	v_cmp_ne_u32_e32 vcc, 0, v3
	s_andn2_b64 s[8:9], s[8:9], exec
	s_and_b64 s[14:15], vcc, exec
	s_mov_b32 s12, 0
	s_or_b64 s[8:9], s[8:9], s[14:15]
	s_or_b64 exec, exec, s[10:11]
	v_mov_b32_e32 v8, s12
	s_and_saveexec_b64 s[10:11], s[8:9]
	s_cbranch_execnz .LBB38_1960
	s_branch .LBB38_1961
	.section	.rodata,"a",@progbits
	.p2align	6, 0x0
	.amdhsa_kernel _ZN2at6native32elementwise_kernel_manual_unrollILi128ELi4EZNS0_15gpu_kernel_implINS0_13BUnaryFunctorIN3c108BFloat16ES5_S5_ZNS0_20copysign_kernel_cudaERNS_18TensorIteratorBaseEEUlS5_S5_E_EEEEvS7_RKT_EUlibE_EEviT1_
		.amdhsa_group_segment_fixed_size 0
		.amdhsa_private_segment_fixed_size 0
		.amdhsa_kernarg_size 40
		.amdhsa_user_sgpr_count 6
		.amdhsa_user_sgpr_private_segment_buffer 1
		.amdhsa_user_sgpr_dispatch_ptr 0
		.amdhsa_user_sgpr_queue_ptr 0
		.amdhsa_user_sgpr_kernarg_segment_ptr 1
		.amdhsa_user_sgpr_dispatch_id 0
		.amdhsa_user_sgpr_flat_scratch_init 0
		.amdhsa_user_sgpr_kernarg_preload_length 0
		.amdhsa_user_sgpr_kernarg_preload_offset 0
		.amdhsa_user_sgpr_private_segment_size 0
		.amdhsa_uses_dynamic_stack 0
		.amdhsa_system_sgpr_private_segment_wavefront_offset 0
		.amdhsa_system_sgpr_workgroup_id_x 1
		.amdhsa_system_sgpr_workgroup_id_y 0
		.amdhsa_system_sgpr_workgroup_id_z 0
		.amdhsa_system_sgpr_workgroup_info 0
		.amdhsa_system_vgpr_workitem_id 0
		.amdhsa_next_free_vgpr 13
		.amdhsa_next_free_sgpr 44
		.amdhsa_accum_offset 16
		.amdhsa_reserve_vcc 1
		.amdhsa_reserve_flat_scratch 0
		.amdhsa_float_round_mode_32 0
		.amdhsa_float_round_mode_16_64 0
		.amdhsa_float_denorm_mode_32 3
		.amdhsa_float_denorm_mode_16_64 3
		.amdhsa_dx10_clamp 1
		.amdhsa_ieee_mode 1
		.amdhsa_fp16_overflow 0
		.amdhsa_tg_split 0
		.amdhsa_exception_fp_ieee_invalid_op 0
		.amdhsa_exception_fp_denorm_src 0
		.amdhsa_exception_fp_ieee_div_zero 0
		.amdhsa_exception_fp_ieee_overflow 0
		.amdhsa_exception_fp_ieee_underflow 0
		.amdhsa_exception_fp_ieee_inexact 0
		.amdhsa_exception_int_div_zero 0
	.end_amdhsa_kernel
	.section	.text._ZN2at6native32elementwise_kernel_manual_unrollILi128ELi4EZNS0_15gpu_kernel_implINS0_13BUnaryFunctorIN3c108BFloat16ES5_S5_ZNS0_20copysign_kernel_cudaERNS_18TensorIteratorBaseEEUlS5_S5_E_EEEEvS7_RKT_EUlibE_EEviT1_,"axG",@progbits,_ZN2at6native32elementwise_kernel_manual_unrollILi128ELi4EZNS0_15gpu_kernel_implINS0_13BUnaryFunctorIN3c108BFloat16ES5_S5_ZNS0_20copysign_kernel_cudaERNS_18TensorIteratorBaseEEUlS5_S5_E_EEEEvS7_RKT_EUlibE_EEviT1_,comdat
.Lfunc_end38:
	.size	_ZN2at6native32elementwise_kernel_manual_unrollILi128ELi4EZNS0_15gpu_kernel_implINS0_13BUnaryFunctorIN3c108BFloat16ES5_S5_ZNS0_20copysign_kernel_cudaERNS_18TensorIteratorBaseEEUlS5_S5_E_EEEEvS7_RKT_EUlibE_EEviT1_, .Lfunc_end38-_ZN2at6native32elementwise_kernel_manual_unrollILi128ELi4EZNS0_15gpu_kernel_implINS0_13BUnaryFunctorIN3c108BFloat16ES5_S5_ZNS0_20copysign_kernel_cudaERNS_18TensorIteratorBaseEEUlS5_S5_E_EEEEvS7_RKT_EUlibE_EEviT1_
                                        ; -- End function
	.section	.AMDGPU.csdata,"",@progbits
; Kernel info:
; codeLenInByte = 39336
; NumSgprs: 48
; NumVgprs: 13
; NumAgprs: 0
; TotalNumVgprs: 13
; ScratchSize: 0
; MemoryBound: 0
; FloatMode: 240
; IeeeMode: 1
; LDSByteSize: 0 bytes/workgroup (compile time only)
; SGPRBlocks: 5
; VGPRBlocks: 1
; NumSGPRsForWavesPerEU: 48
; NumVGPRsForWavesPerEU: 13
; AccumOffset: 16
; Occupancy: 8
; WaveLimiterHint : 0
; COMPUTE_PGM_RSRC2:SCRATCH_EN: 0
; COMPUTE_PGM_RSRC2:USER_SGPR: 6
; COMPUTE_PGM_RSRC2:TRAP_HANDLER: 0
; COMPUTE_PGM_RSRC2:TGID_X_EN: 1
; COMPUTE_PGM_RSRC2:TGID_Y_EN: 0
; COMPUTE_PGM_RSRC2:TGID_Z_EN: 0
; COMPUTE_PGM_RSRC2:TIDIG_COMP_CNT: 0
; COMPUTE_PGM_RSRC3_GFX90A:ACCUM_OFFSET: 3
; COMPUTE_PGM_RSRC3_GFX90A:TG_SPLIT: 0
	.section	.text._ZN2at6native32elementwise_kernel_manual_unrollILi128ELi4EZNS0_15gpu_kernel_implINS0_13BUnaryFunctorIN3c108BFloat16ES5_S5_ZNS0_20copysign_kernel_cudaERNS_18TensorIteratorBaseEEUlS5_S5_E_EEEEvS7_RKT_EUlibE0_EEviT1_,"axG",@progbits,_ZN2at6native32elementwise_kernel_manual_unrollILi128ELi4EZNS0_15gpu_kernel_implINS0_13BUnaryFunctorIN3c108BFloat16ES5_S5_ZNS0_20copysign_kernel_cudaERNS_18TensorIteratorBaseEEUlS5_S5_E_EEEEvS7_RKT_EUlibE0_EEviT1_,comdat
	.globl	_ZN2at6native32elementwise_kernel_manual_unrollILi128ELi4EZNS0_15gpu_kernel_implINS0_13BUnaryFunctorIN3c108BFloat16ES5_S5_ZNS0_20copysign_kernel_cudaERNS_18TensorIteratorBaseEEUlS5_S5_E_EEEEvS7_RKT_EUlibE0_EEviT1_ ; -- Begin function _ZN2at6native32elementwise_kernel_manual_unrollILi128ELi4EZNS0_15gpu_kernel_implINS0_13BUnaryFunctorIN3c108BFloat16ES5_S5_ZNS0_20copysign_kernel_cudaERNS_18TensorIteratorBaseEEUlS5_S5_E_EEEEvS7_RKT_EUlibE0_EEviT1_
	.p2align	8
	.type	_ZN2at6native32elementwise_kernel_manual_unrollILi128ELi4EZNS0_15gpu_kernel_implINS0_13BUnaryFunctorIN3c108BFloat16ES5_S5_ZNS0_20copysign_kernel_cudaERNS_18TensorIteratorBaseEEUlS5_S5_E_EEEEvS7_RKT_EUlibE0_EEviT1_,@function
_ZN2at6native32elementwise_kernel_manual_unrollILi128ELi4EZNS0_15gpu_kernel_implINS0_13BUnaryFunctorIN3c108BFloat16ES5_S5_ZNS0_20copysign_kernel_cudaERNS_18TensorIteratorBaseEEUlS5_S5_E_EEEEvS7_RKT_EUlibE0_EEviT1_: ; @_ZN2at6native32elementwise_kernel_manual_unrollILi128ELi4EZNS0_15gpu_kernel_implINS0_13BUnaryFunctorIN3c108BFloat16ES5_S5_ZNS0_20copysign_kernel_cudaERNS_18TensorIteratorBaseEEUlS5_S5_E_EEEEvS7_RKT_EUlibE0_EEviT1_
; %bb.0:
	s_load_dword s72, s[4:5], 0x0
	s_load_dword s33, s[4:5], 0x8
	s_or_b32 s34, s4, 8
	v_lshl_or_b32 v8, s6, 9, v0
	v_or_b32_e32 v9, 0x180, v8
	s_mov_b32 s35, s5
	s_waitcnt lgkmcnt(0)
	s_add_i32 s74, s33, -1
	s_cmp_gt_u32 s74, 1
	v_cmp_le_i32_e32 vcc, s72, v9
	s_cselect_b64 s[40:41], -1, 0
	s_mov_b64 s[6:7], 0
	s_mov_b64 s[28:29], 0
	s_and_saveexec_b64 s[0:1], vcc
	s_xor_b64 s[42:43], exec, s[0:1]
	s_cbranch_execz .LBB39_1090
; %bb.1:
	s_cmp_lg_u32 s33, 0
	s_load_dwordx4 s[28:31], s[34:35], 0x4
	s_load_dword s0, s[4:5], 0x160
	s_load_dwordx4 s[24:27], s[34:35], 0x148
	s_load_dword s75, s[34:35], 0x15c
	s_cselect_b64 s[50:51], -1, 0
	s_add_u32 s48, s34, 0xc4
	s_load_dwordx2 s[44:45], s[34:35], 0x14
	s_load_dwordx4 s[36:39], s[34:35], 0xc4
	s_addc_u32 s49, s35, 0
	s_min_u32 s73, s74, 15
	s_cmp_gt_u32 s33, 1
	s_cselect_b64 s[46:47], -1, 0
	s_waitcnt lgkmcnt(0)
	s_lshr_b32 s0, s0, 16
	v_mov_b32_e32 v0, 0xffff8000
	v_lshrrev_b16_e64 v5, 8, s75
	v_and_b32_e32 v4, s0, v0
	v_cmp_gt_i32_e32 vcc, s72, v8
	s_mov_b64 s[2:3], -1
	s_mov_b64 s[60:61], 0
	s_mov_b64 s[54:55], 0
	s_mov_b64 s[52:53], 0
	s_and_saveexec_b64 s[56:57], vcc
	s_cbranch_execz .LBB39_267
; %bb.2:
	s_andn2_b64 vcc, exec, s[40:41]
	s_cbranch_vccnz .LBB39_8
; %bb.3:
	s_mov_b32 s52, 0
	s_andn2_b64 vcc, exec, s[50:51]
	v_mov_b32_e32 v2, 0
	v_mov_b32_e32 v0, 0
	s_cbranch_vccnz .LBB39_14
; %bb.4:
	s_add_i32 s62, s73, 1
	s_cmp_eq_u32 s74, 2
	s_cbranch_scc1 .LBB39_9
; %bb.5:
	s_and_b32 s52, s62, 28
	s_mov_b32 s53, 0
	v_mov_b32_e32 v0, 0
	s_mov_b64 s[54:55], s[34:35]
	s_mov_b64 s[58:59], s[48:49]
	v_mov_b32_e32 v3, v8
	v_mov_b32_e32 v2, 0
.LBB39_6:                               ; =>This Inner Loop Header: Depth=1
	s_load_dwordx8 s[16:23], s[54:55], 0x4
	s_load_dwordx4 s[0:3], s[54:55], 0x24
	s_load_dwordx8 s[8:15], s[58:59], 0x0
	s_add_u32 s54, s54, 48
	s_addc_u32 s55, s55, 0
	s_waitcnt lgkmcnt(0)
	v_mul_hi_u32 v1, s17, v3
	v_add_u32_e32 v1, v3, v1
	v_lshrrev_b32_e32 v1, s18, v1
	v_mul_lo_u32 v6, v1, s16
	v_mul_hi_u32 v7, s20, v1
	v_sub_u32_e32 v3, v3, v6
	v_add_u32_e32 v6, v1, v7
	v_lshrrev_b32_e32 v6, s21, v6
	v_mul_lo_u32 v9, v6, s19
	v_mul_hi_u32 v10, s23, v6
	v_sub_u32_e32 v1, v1, v9
	v_add_u32_e32 v9, v6, v10
	v_mul_lo_u32 v7, v3, s9
	v_mul_lo_u32 v3, v3, s8
	;; [unrolled: 1-line block ×4, first 2 shown]
	v_lshrrev_b32_e32 v9, s0, v9
	v_add3_u32 v0, v3, v0, v1
	v_mul_hi_u32 v3, s2, v9
	v_add_u32_e32 v3, v9, v3
	v_lshrrev_b32_e32 v3, s3, v3
	s_add_i32 s53, s53, 4
	v_add3_u32 v1, v7, v2, v10
	v_mul_lo_u32 v2, v9, s22
	v_mul_lo_u32 v7, v3, s1
	s_add_u32 s58, s58, 32
	v_sub_u32_e32 v2, v6, v2
	v_sub_u32_e32 v7, v9, v7
	s_addc_u32 s59, s59, 0
	v_mul_lo_u32 v6, v2, s12
	v_mul_lo_u32 v2, v2, s13
	;; [unrolled: 1-line block ×4, first 2 shown]
	s_cmp_lg_u32 s52, s53
	v_add3_u32 v2, v2, v1, v7
	v_add3_u32 v0, v6, v0, v9
	s_cbranch_scc1 .LBB39_6
; %bb.7:
	v_mov_b32_e32 v1, v2
	s_branch .LBB39_10
.LBB39_8:
                                        ; implicit-def: $vgpr2
                                        ; implicit-def: $vgpr0
	s_branch .LBB39_15
.LBB39_9:
	s_mov_b32 s53, s52
	v_pk_mov_b32 v[0:1], s[52:53], s[52:53] op_sel:[0,1]
                                        ; implicit-def: $vgpr2
	v_mov_b32_e32 v3, v8
.LBB39_10:
	s_and_b32 s8, s62, 3
	s_cmp_eq_u32 s8, 0
	s_cbranch_scc1 .LBB39_14
; %bb.11:
	s_lshl_b32 s0, s52, 3
	s_add_u32 s0, s0, s34
	s_addc_u32 s1, s35, 0
	s_add_u32 s0, s0, 0xc4
	s_addc_u32 s1, s1, 0
	s_mul_i32 s2, s52, 12
	s_add_u32 s2, s34, s2
	s_addc_u32 s3, s35, 0
.LBB39_12:                              ; =>This Inner Loop Header: Depth=1
	s_load_dwordx2 s[10:11], s[2:3], 0x4
	s_load_dword s9, s[2:3], 0xc
	s_load_dwordx2 s[12:13], s[0:1], 0x0
	v_mov_b32_e32 v2, v1
	s_add_u32 s2, s2, 12
	s_waitcnt lgkmcnt(0)
	v_mul_hi_u32 v1, s11, v3
	v_add_u32_e32 v1, v3, v1
	v_lshrrev_b32_e32 v1, s9, v1
	s_addc_u32 s3, s3, 0
	v_mul_lo_u32 v6, v1, s10
	s_add_u32 s0, s0, 8
	v_sub_u32_e32 v9, v3, v6
	v_mov_b32_e32 v3, v1
	s_addc_u32 s1, s1, 0
	s_add_i32 s8, s8, -1
	v_mad_u64_u32 v[6:7], s[10:11], v9, s13, v[2:3]
	v_mad_u64_u32 v[0:1], s[10:11], v9, s12, v[0:1]
	s_cmp_lg_u32 s8, 0
	v_mov_b32_e32 v1, v6
	s_cbranch_scc1 .LBB39_12
; %bb.13:
	v_mov_b32_e32 v2, v1
.LBB39_14:
	s_cbranch_execnz .LBB39_17
.LBB39_15:
	v_mul_hi_u32 v0, s29, v8
	v_add_u32_e32 v0, v8, v0
	v_lshrrev_b32_e32 v1, s30, v0
	v_mul_lo_u32 v0, v1, s28
	v_sub_u32_e32 v0, v8, v0
	v_mul_lo_u32 v2, v0, s37
	s_andn2_b64 vcc, exec, s[46:47]
	v_mul_lo_u32 v0, v0, s36
	s_cbranch_vccnz .LBB39_17
; %bb.16:
	v_mul_hi_u32 v3, s44, v1
	v_add_u32_e32 v3, v1, v3
	v_lshrrev_b32_e32 v3, s45, v3
	v_mul_lo_u32 v3, v3, s31
	v_sub_u32_e32 v3, v1, v3
	v_mad_u64_u32 v[0:1], s[0:1], v3, s38, v[0:1]
	v_mad_u64_u32 v[2:3], s[0:1], v3, s39, v[2:3]
.LBB39_17:
	v_mov_b32_e32 v1, s27
	v_add_co_u32_e32 v2, vcc, s26, v2
	v_addc_co_u32_e32 v3, vcc, 0, v1, vcc
	v_cmp_gt_i16_e32 vcc, 11, v5
	s_cbranch_vccnz .LBB39_24
; %bb.18:
	v_cmp_lt_i16_e32 vcc, 25, v5
	s_cbranch_vccz .LBB39_33
; %bb.19:
	v_cmp_lt_i16_e32 vcc, 28, v5
	s_cbranch_vccz .LBB39_36
	;; [unrolled: 3-line block ×4, first 2 shown]
; %bb.22:
	v_cmp_eq_u16_e32 vcc, 46, v5
	s_mov_b64 s[8:9], 0
	s_cbranch_vccz .LBB39_42
; %bb.23:
	global_load_dword v1, v[2:3], off
	s_mov_b64 s[0:1], -1
	s_mov_b64 s[2:3], 0
	s_branch .LBB39_44
.LBB39_24:
	s_mov_b64 s[2:3], 0
                                        ; implicit-def: $vgpr1
	s_mov_b64 s[0:1], 0
	s_cbranch_execnz .LBB39_217
.LBB39_25:
	s_andn2_b64 vcc, exec, s[0:1]
	s_cbranch_vccnz .LBB39_264
.LBB39_26:
	s_waitcnt vmcnt(0)
	v_and_b32_e32 v3, 0x7fff, v1
	v_mov_b32_e32 v1, s25
	v_add_co_u32_e32 v0, vcc, s24, v0
	v_mov_b32_e32 v6, 11
	v_addc_co_u32_e32 v1, vcc, 0, v1, vcc
	v_cmp_lt_i16_sdwa s[0:1], s75, v6 src0_sel:BYTE_0 src1_sel:DWORD
	v_or_b32_e32 v2, v3, v4
	s_and_b64 vcc, exec, s[0:1]
	s_cbranch_vccnz .LBB39_34
; %bb.27:
	v_mov_b32_e32 v6, 25
	v_cmp_gt_i16_sdwa s[0:1], s75, v6 src0_sel:BYTE_0 src1_sel:DWORD
	s_and_b64 vcc, exec, s[0:1]
	s_cbranch_vccz .LBB39_37
; %bb.28:
	v_mov_b32_e32 v6, 28
	v_cmp_gt_i16_sdwa s[0:1], s75, v6 src0_sel:BYTE_0 src1_sel:DWORD
	s_and_b64 vcc, exec, s[0:1]
	s_cbranch_vccz .LBB39_39
	;; [unrolled: 5-line block ×4, first 2 shown]
; %bb.31:
	v_mov_b32_e32 v6, 46
	v_cmp_eq_u16_sdwa s[8:9], s75, v6 src0_sel:BYTE_0 src1_sel:DWORD
	s_mov_b64 s[10:11], 0
	s_mov_b64 s[0:1], -1
	s_and_b64 vcc, exec, s[8:9]
	s_mov_b64 s[8:9], 0
	s_cbranch_vccz .LBB39_48
; %bb.32:
	v_and_b32_e32 v6, 0xffff, v2
	global_store_dword v[0:1], v6, off
	s_mov_b64 s[8:9], -1
	s_mov_b64 s[0:1], 0
	s_branch .LBB39_48
.LBB39_33:
	s_mov_b64 s[2:3], 0
	s_mov_b64 s[0:1], 0
                                        ; implicit-def: $vgpr1
	s_cbranch_execnz .LBB39_182
	s_branch .LBB39_216
.LBB39_34:
	s_mov_b64 s[0:1], 0
	s_mov_b64 s[8:9], 0
	s_cbranch_execnz .LBB39_117
.LBB39_35:
	s_andn2_b64 vcc, exec, s[8:9]
	s_cbranch_vccnz .LBB39_265
	s_branch .LBB39_155
.LBB39_36:
	s_mov_b64 s[8:9], -1
	s_mov_b64 s[2:3], 0
	s_mov_b64 s[0:1], 0
                                        ; implicit-def: $vgpr1
	s_branch .LBB39_163
.LBB39_37:
	s_mov_b64 s[10:11], -1
	s_mov_b64 s[0:1], 0
	s_mov_b64 s[8:9], 0
	s_branch .LBB39_75
.LBB39_38:
	s_mov_b64 s[8:9], -1
	s_mov_b64 s[2:3], 0
	s_mov_b64 s[0:1], 0
                                        ; implicit-def: $vgpr1
	s_branch .LBB39_158
.LBB39_39:
	s_mov_b64 s[10:11], -1
	s_mov_b64 s[0:1], 0
	s_mov_b64 s[8:9], 0
	s_branch .LBB39_58
.LBB39_40:
	s_mov_b64 s[8:9], -1
	s_mov_b64 s[2:3], 0
	s_branch .LBB39_43
.LBB39_41:
	s_mov_b64 s[10:11], -1
	s_mov_b64 s[0:1], 0
	s_mov_b64 s[8:9], 0
	s_branch .LBB39_54
.LBB39_42:
	s_mov_b64 s[2:3], -1
.LBB39_43:
	s_mov_b64 s[0:1], 0
                                        ; implicit-def: $vgpr1
.LBB39_44:
	s_and_b64 vcc, exec, s[8:9]
	s_cbranch_vccz .LBB39_157
; %bb.45:
	v_cmp_eq_u16_e32 vcc, 44, v5
	s_cbranch_vccz .LBB39_156
; %bb.46:
	global_load_ubyte v1, v[2:3], off
	s_movk_i32 s2, 0xff
	v_mov_b32_e32 v6, 0x7f800001
	v_mov_b32_e32 v7, 0x400000
	;; [unrolled: 1-line block ×3, first 2 shown]
	s_mov_b64 s[0:1], -1
	s_waitcnt vmcnt(0)
	v_lshlrev_b32_e32 v10, 23, v1
	v_cmp_ne_u32_e32 vcc, s2, v1
	v_cndmask_b32_e32 v6, v6, v10, vcc
	v_cmp_ne_u32_e32 vcc, 0, v1
	v_cndmask_b32_e32 v1, v7, v6, vcc
	v_add_u32_e32 v6, 0x7fff, v1
	v_lshrrev_b32_e32 v6, 16, v6
	v_cmp_o_f32_e32 vcc, v1, v1
	v_cndmask_b32_e32 v1, v9, v6, vcc
	s_mov_b64 s[2:3], 0
	s_branch .LBB39_157
.LBB39_47:
	s_mov_b64 s[10:11], -1
	s_mov_b64 s[0:1], 0
	s_mov_b64 s[8:9], 0
.LBB39_48:
	s_and_b64 vcc, exec, s[10:11]
	s_cbranch_vccz .LBB39_53
; %bb.49:
	v_mov_b32_e32 v6, 44
	v_cmp_eq_u16_sdwa s[10:11], s75, v6 src0_sel:BYTE_0 src1_sel:DWORD
	s_mov_b64 s[0:1], -1
	s_and_b64 vcc, exec, s[10:11]
	s_cbranch_vccz .LBB39_53
; %bb.50:
	v_and_b32_e32 v7, 0xffff, v2
	v_bfe_u32 v6, v7, 7, 8
	s_movk_i32 s0, 0xff
	v_cmp_ne_u32_e32 vcc, s0, v6
	v_mov_b32_e32 v9, 0xff
	s_and_saveexec_b64 s[8:9], vcc
; %bb.51:
	v_lshlrev_b32_e32 v10, 16, v7
	s_mov_b32 s0, 0x3f0000
	v_lshrrev_b32_e32 v9, 7, v7
	v_and_b32_e32 v7, 64, v7
	v_and_or_b32 v6, v10, s0, v6
	v_cmp_ne_u32_e32 vcc, 0, v7
	v_cmp_ne_u32_e64 s[0:1], 0, v6
	s_and_b64 s[0:1], vcc, s[0:1]
	v_cndmask_b32_e64 v6, 0, 1, s[0:1]
	v_add_u32_e32 v9, v9, v6
; %bb.52:
	s_or_b64 exec, exec, s[8:9]
	s_mov_b64 s[8:9], -1
	s_mov_b64 s[0:1], 0
	global_store_byte v[0:1], v9, off
.LBB39_53:
	s_mov_b64 s[10:11], 0
.LBB39_54:
	s_and_b64 vcc, exec, s[10:11]
	s_cbranch_vccz .LBB39_57
; %bb.55:
	v_mov_b32_e32 v6, 29
	v_cmp_eq_u16_sdwa s[10:11], s75, v6 src0_sel:BYTE_0 src1_sel:DWORD
	s_mov_b64 s[0:1], -1
	s_and_b64 vcc, exec, s[10:11]
	s_cbranch_vccz .LBB39_57
; %bb.56:
	v_lshlrev_b32_e32 v6, 16, v2
	v_trunc_f32_e32 v6, v6
	v_mul_f32_e32 v7, 0x2f800000, v6
	v_floor_f32_e32 v9, v7
	v_fmac_f32_e32 v6, 0xcf800000, v9
	v_cvt_u32_f32_e32 v7, v9
	v_cvt_u32_f32_e32 v6, v6
	s_mov_b64 s[8:9], -1
	s_mov_b64 s[0:1], 0
	s_mov_b64 s[10:11], 0
	global_store_dwordx2 v[0:1], v[6:7], off
	s_branch .LBB39_58
.LBB39_57:
	s_mov_b64 s[10:11], 0
.LBB39_58:
	s_and_b64 vcc, exec, s[10:11]
	s_cbranch_vccz .LBB39_74
; %bb.59:
	v_mov_b32_e32 v6, 27
	v_cmp_lt_i16_sdwa s[10:11], s75, v6 src0_sel:BYTE_0 src1_sel:DWORD
	s_mov_b64 s[8:9], -1
	s_and_b64 vcc, exec, s[10:11]
	s_cbranch_vccnz .LBB39_65
; %bb.60:
	v_cmp_gt_i16_sdwa s[10:11], s75, v6 src0_sel:BYTE_0 src1_sel:DWORD
	s_and_b64 vcc, exec, s[10:11]
	s_cbranch_vccz .LBB39_62
; %bb.61:
	v_lshlrev_b32_e32 v6, 16, v2
	v_cvt_u32_f32_e32 v6, v6
	s_mov_b64 s[8:9], 0
	global_store_dword v[0:1], v6, off
.LBB39_62:
	s_andn2_b64 vcc, exec, s[8:9]
	s_cbranch_vccnz .LBB39_64
; %bb.63:
	v_lshlrev_b32_e32 v6, 16, v2
	v_cvt_u32_f32_e32 v6, v6
	global_store_short v[0:1], v6, off
.LBB39_64:
	s_mov_b64 s[8:9], 0
.LBB39_65:
	s_andn2_b64 vcc, exec, s[8:9]
	s_cbranch_vccnz .LBB39_73
; %bb.66:
	v_lshlrev_b32_e32 v9, 16, v2
	v_and_b32_e32 v7, 0x7fffffff, v9
	s_mov_b32 s8, 0x43800000
	v_cmp_gt_u32_e32 vcc, s8, v7
	v_mov_b32_e32 v10, 0x80
	s_and_saveexec_b64 s[8:9], vcc
	s_cbranch_execz .LBB39_72
; %bb.67:
	s_mov_b32 s10, 0x3bffffff
	v_and_b32_e32 v6, 0xffff, v2
	v_cmp_lt_u32_e32 vcc, s10, v7
	s_mov_b64 s[10:11], 0
                                        ; implicit-def: $vgpr7
	s_and_saveexec_b64 s[12:13], vcc
	s_xor_b64 s[12:13], exec, s[12:13]
	s_cbranch_execz .LBB39_309
; %bb.68:
	v_bfe_u32 v7, v6, 4, 1
	s_mov_b32 s14, 0x487ffff
	v_add3_u32 v7, v9, v7, s14
	s_mov_b64 s[10:11], exec
	v_lshrrev_b32_e32 v7, 20, v7
                                        ; implicit-def: $vgpr9
	s_or_saveexec_b64 s[12:13], s[12:13]
                                        ; implicit-def: $sgpr14
	s_xor_b64 exec, exec, s[12:13]
	s_cbranch_execnz .LBB39_310
.LBB39_69:
	s_or_b64 exec, exec, s[12:13]
	v_mov_b32_e32 v10, s14
	s_and_saveexec_b64 s[12:13], s[10:11]
.LBB39_70:
	v_lshrrev_b32_e32 v6, 8, v6
	s_movk_i32 s10, 0x80
	v_and_or_b32 v10, v6, s10, v7
.LBB39_71:
	s_or_b64 exec, exec, s[12:13]
.LBB39_72:
	s_or_b64 exec, exec, s[8:9]
	global_store_byte v[0:1], v10, off
.LBB39_73:
	s_mov_b64 s[8:9], -1
.LBB39_74:
	s_mov_b64 s[10:11], 0
.LBB39_75:
	s_and_b64 vcc, exec, s[10:11]
	s_cbranch_vccz .LBB39_116
; %bb.76:
	v_mov_b32_e32 v6, 22
	v_cmp_gt_i16_sdwa s[12:13], s75, v6 src0_sel:BYTE_0 src1_sel:DWORD
	s_mov_b64 s[10:11], -1
	s_and_b64 vcc, exec, s[12:13]
	s_cbranch_vccz .LBB39_108
; %bb.77:
	v_mov_b32_e32 v6, 24
	v_cmp_lt_i16_sdwa s[10:11], s75, v6 src0_sel:BYTE_0 src1_sel:DWORD
	s_mov_b64 s[8:9], -1
	s_and_b64 vcc, exec, s[10:11]
	s_cbranch_vccnz .LBB39_97
; %bb.78:
	v_cmp_gt_i16_sdwa s[10:11], s75, v6 src0_sel:BYTE_0 src1_sel:DWORD
	s_and_b64 vcc, exec, s[10:11]
	s_cbranch_vccz .LBB39_86
; %bb.79:
	v_lshlrev_b32_e32 v9, 16, v2
	v_and_b32_e32 v7, 0x7fffffff, v9
	s_mov_b32 s8, 0x47800000
	v_cmp_gt_u32_e32 vcc, s8, v7
	v_mov_b32_e32 v10, 0x80
	s_and_saveexec_b64 s[8:9], vcc
	s_cbranch_execz .LBB39_85
; %bb.80:
	s_mov_b32 s10, 0x37ffffff
	v_and_b32_e32 v6, 0xffff, v2
	v_cmp_lt_u32_e32 vcc, s10, v7
	s_mov_b64 s[10:11], 0
                                        ; implicit-def: $vgpr7
	s_and_saveexec_b64 s[12:13], vcc
	s_xor_b64 s[12:13], exec, s[12:13]
	s_cbranch_execz .LBB39_313
; %bb.81:
	v_bfe_u32 v7, v6, 5, 1
	s_mov_b32 s14, 0x88fffff
	v_add3_u32 v7, v9, v7, s14
	s_mov_b64 s[10:11], exec
	v_lshrrev_b32_e32 v7, 21, v7
                                        ; implicit-def: $vgpr9
	s_or_saveexec_b64 s[12:13], s[12:13]
                                        ; implicit-def: $sgpr14
	s_xor_b64 exec, exec, s[12:13]
	s_cbranch_execnz .LBB39_314
.LBB39_82:
	s_or_b64 exec, exec, s[12:13]
	v_mov_b32_e32 v10, s14
	s_and_saveexec_b64 s[12:13], s[10:11]
.LBB39_83:
	v_lshrrev_b32_e32 v6, 8, v6
	s_movk_i32 s10, 0x80
	v_and_or_b32 v10, v6, s10, v7
.LBB39_84:
	s_or_b64 exec, exec, s[12:13]
.LBB39_85:
	s_or_b64 exec, exec, s[8:9]
	s_mov_b64 s[8:9], 0
	global_store_byte v[0:1], v10, off
.LBB39_86:
	s_and_b64 vcc, exec, s[8:9]
	s_cbranch_vccz .LBB39_96
; %bb.87:
	v_lshlrev_b32_e32 v9, 16, v2
	v_and_b32_e32 v10, 0x7fffffff, v9
	s_mov_b32 s8, 0x43f00000
	v_and_b32_e32 v6, 0xffff, v2
	v_cmp_gt_u32_e32 vcc, s8, v10
                                        ; implicit-def: $vgpr7
	s_and_saveexec_b64 s[8:9], vcc
	s_xor_b64 s[8:9], exec, s[8:9]
	s_cbranch_execz .LBB39_93
; %bb.88:
	s_mov_b32 s10, 0x3c7fffff
	v_cmp_lt_u32_e32 vcc, s10, v10
                                        ; implicit-def: $vgpr7
	s_and_saveexec_b64 s[10:11], vcc
	s_xor_b64 s[10:11], exec, s[10:11]
; %bb.89:
	v_bfe_u32 v7, v6, 4, 1
	s_mov_b32 s12, 0x407ffff
	v_add3_u32 v7, v9, v7, s12
	v_lshrrev_b32_e32 v9, 20, v7
	v_and_b32_e32 v7, 0xff00000, v7
	s_mov_b32 s12, 0x7f00000
	v_mov_b32_e32 v10, 0x7e
	v_cmp_ne_u32_e32 vcc, s12, v7
	v_cndmask_b32_e32 v7, v10, v9, vcc
                                        ; implicit-def: $vgpr9
; %bb.90:
	s_andn2_saveexec_b64 s[10:11], s[10:11]
; %bb.91:
	s_mov_b32 s12, 0x46800000
	v_add_f32_e64 v7, |v9|, s12
; %bb.92:
	s_or_b64 exec, exec, s[10:11]
                                        ; implicit-def: $vgpr10
.LBB39_93:
	s_andn2_saveexec_b64 s[8:9], s[8:9]
; %bb.94:
	s_mov_b32 s10, 0x7f800000
	v_mov_b32_e32 v7, 0x7e
	v_mov_b32_e32 v9, 0x7f
	v_cmp_lt_u32_e32 vcc, s10, v10
	v_cndmask_b32_e32 v7, v7, v9, vcc
; %bb.95:
	s_or_b64 exec, exec, s[8:9]
	v_lshrrev_b32_e32 v6, 8, v6
	s_movk_i32 s8, 0x80
	v_and_or_b32 v6, v6, s8, v7
	global_store_byte v[0:1], v6, off
.LBB39_96:
	s_mov_b64 s[8:9], 0
.LBB39_97:
	s_andn2_b64 vcc, exec, s[8:9]
	s_cbranch_vccnz .LBB39_107
; %bb.98:
	v_lshlrev_b32_e32 v9, 16, v2
	v_and_b32_e32 v10, 0x7fffffff, v9
	s_mov_b32 s8, 0x47800000
	v_and_b32_e32 v6, 0xffff, v2
	v_cmp_gt_u32_e32 vcc, s8, v10
                                        ; implicit-def: $vgpr7
	s_and_saveexec_b64 s[8:9], vcc
	s_xor_b64 s[8:9], exec, s[8:9]
	s_cbranch_execz .LBB39_104
; %bb.99:
	s_mov_b32 s10, 0x387fffff
	v_cmp_lt_u32_e32 vcc, s10, v10
                                        ; implicit-def: $vgpr7
	s_and_saveexec_b64 s[10:11], vcc
	s_xor_b64 s[10:11], exec, s[10:11]
; %bb.100:
	v_bfe_u32 v7, v6, 5, 1
	s_mov_b32 s12, 0x80fffff
	v_add3_u32 v7, v9, v7, s12
	v_lshrrev_b32_e32 v7, 21, v7
                                        ; implicit-def: $vgpr9
; %bb.101:
	s_andn2_saveexec_b64 s[10:11], s[10:11]
; %bb.102:
	s_mov_b32 s12, 0x43000000
	v_add_f32_e64 v7, |v9|, s12
; %bb.103:
	s_or_b64 exec, exec, s[10:11]
                                        ; implicit-def: $vgpr10
.LBB39_104:
	s_andn2_saveexec_b64 s[8:9], s[8:9]
; %bb.105:
	s_mov_b32 s10, 0x7f800000
	v_mov_b32_e32 v7, 0x7c
	v_mov_b32_e32 v9, 0x7f
	v_cmp_lt_u32_e32 vcc, s10, v10
	v_cndmask_b32_e32 v7, v7, v9, vcc
; %bb.106:
	s_or_b64 exec, exec, s[8:9]
	v_lshrrev_b32_e32 v6, 8, v6
	s_movk_i32 s8, 0x80
	v_and_or_b32 v6, v6, s8, v7
	global_store_byte v[0:1], v6, off
.LBB39_107:
	s_mov_b64 s[10:11], 0
	s_mov_b64 s[8:9], -1
.LBB39_108:
	s_andn2_b64 vcc, exec, s[10:11]
	s_cbranch_vccnz .LBB39_116
; %bb.109:
	v_mov_b32_e32 v6, 14
	v_cmp_gt_i16_sdwa s[12:13], s75, v6 src0_sel:BYTE_0 src1_sel:DWORD
	s_mov_b64 s[10:11], -1
	s_and_b64 vcc, exec, s[12:13]
	s_cbranch_vccz .LBB39_113
; %bb.110:
	v_mov_b32_e32 v6, 15
	v_cmp_eq_u16_sdwa s[10:11], s75, v6 src0_sel:BYTE_0 src1_sel:DWORD
	s_mov_b64 s[0:1], -1
	s_and_b64 vcc, exec, s[10:11]
	s_cbranch_vccz .LBB39_112
; %bb.111:
	global_store_short v[0:1], v2, off
	s_mov_b64 s[8:9], -1
	s_mov_b64 s[0:1], 0
.LBB39_112:
	s_mov_b64 s[10:11], 0
.LBB39_113:
	s_and_b64 vcc, exec, s[10:11]
	s_cbranch_vccz .LBB39_116
; %bb.114:
	v_mov_b32_e32 v6, 11
	v_cmp_eq_u16_sdwa s[10:11], s75, v6 src0_sel:BYTE_0 src1_sel:DWORD
	s_mov_b64 s[0:1], -1
	s_and_b64 vcc, exec, s[10:11]
	s_cbranch_vccz .LBB39_116
; %bb.115:
	v_cmp_ne_u16_e32 vcc, 0, v3
	v_cndmask_b32_e64 v3, 0, 1, vcc
	s_mov_b64 s[8:9], -1
	s_mov_b64 s[0:1], 0
	global_store_byte v[0:1], v3, off
.LBB39_116:
	s_branch .LBB39_35
.LBB39_117:
	v_mov_b32_e32 v3, 5
	v_cmp_lt_i16_sdwa s[10:11], s75, v3 src0_sel:BYTE_0 src1_sel:DWORD
	s_mov_b64 s[8:9], -1
	s_and_b64 vcc, exec, s[10:11]
	s_cbranch_vccnz .LBB39_138
; %bb.118:
	v_mov_b32_e32 v3, 8
	v_cmp_lt_i16_sdwa s[10:11], s75, v3 src0_sel:BYTE_0 src1_sel:DWORD
	s_and_b64 vcc, exec, s[10:11]
	s_cbranch_vccnz .LBB39_128
; %bb.119:
	v_mov_b32_e32 v3, 9
	v_cmp_lt_i16_sdwa s[10:11], s75, v3 src0_sel:BYTE_0 src1_sel:DWORD
	s_and_b64 vcc, exec, s[10:11]
	s_cbranch_vccnz .LBB39_125
; %bb.120:
	v_cmp_gt_i16_sdwa s[10:11], s75, v3 src0_sel:BYTE_0 src1_sel:DWORD
	s_and_b64 vcc, exec, s[10:11]
	s_cbranch_vccz .LBB39_122
; %bb.121:
	v_lshlrev_b32_e32 v3, 16, v2
	v_mov_b32_e32 v12, 0
	v_cvt_f64_f32_e32 v[10:11], v3
	v_mov_b32_e32 v13, v12
	global_store_dwordx4 v[0:1], v[10:13], off
	s_mov_b64 s[8:9], 0
.LBB39_122:
	s_andn2_b64 vcc, exec, s[8:9]
	s_cbranch_vccnz .LBB39_124
; %bb.123:
	v_lshlrev_b32_e32 v6, 16, v2
	v_mov_b32_e32 v7, 0
	global_store_dwordx2 v[0:1], v[6:7], off
.LBB39_124:
	s_mov_b64 s[8:9], 0
.LBB39_125:
	s_andn2_b64 vcc, exec, s[8:9]
	s_cbranch_vccnz .LBB39_127
; %bb.126:
	v_lshlrev_b32_e32 v3, 16, v2
	v_cvt_f16_f32_e32 v3, v3
	global_store_dword v[0:1], v3, off
.LBB39_127:
	s_mov_b64 s[8:9], 0
.LBB39_128:
	s_andn2_b64 vcc, exec, s[8:9]
	s_cbranch_vccnz .LBB39_137
; %bb.129:
	v_mov_b32_e32 v3, 6
	v_cmp_lt_i16_sdwa s[10:11], s75, v3 src0_sel:BYTE_0 src1_sel:DWORD
	s_mov_b64 s[8:9], -1
	s_and_b64 vcc, exec, s[10:11]
	s_cbranch_vccnz .LBB39_135
; %bb.130:
	v_cmp_gt_i16_sdwa s[10:11], s75, v3 src0_sel:BYTE_0 src1_sel:DWORD
	s_and_b64 vcc, exec, s[10:11]
	s_cbranch_vccz .LBB39_132
; %bb.131:
	v_lshlrev_b32_e32 v3, 16, v2
	v_cvt_f64_f32_e32 v[6:7], v3
	global_store_dwordx2 v[0:1], v[6:7], off
	s_mov_b64 s[8:9], 0
.LBB39_132:
	s_andn2_b64 vcc, exec, s[8:9]
	s_cbranch_vccnz .LBB39_134
; %bb.133:
	v_lshlrev_b32_e32 v3, 16, v2
	global_store_dword v[0:1], v3, off
.LBB39_134:
	s_mov_b64 s[8:9], 0
.LBB39_135:
	s_andn2_b64 vcc, exec, s[8:9]
	s_cbranch_vccnz .LBB39_137
; %bb.136:
	v_lshlrev_b32_e32 v3, 16, v2
	v_cvt_f16_f32_e32 v3, v3
	global_store_short v[0:1], v3, off
.LBB39_137:
	s_mov_b64 s[8:9], 0
.LBB39_138:
	s_andn2_b64 vcc, exec, s[8:9]
	s_cbranch_vccnz .LBB39_154
; %bb.139:
	v_mov_b32_e32 v3, 2
	v_cmp_lt_i16_sdwa s[10:11], s75, v3 src0_sel:BYTE_0 src1_sel:DWORD
	s_mov_b64 s[8:9], -1
	s_and_b64 vcc, exec, s[10:11]
	s_cbranch_vccnz .LBB39_149
; %bb.140:
	v_mov_b32_e32 v3, 3
	v_cmp_lt_i16_sdwa s[10:11], s75, v3 src0_sel:BYTE_0 src1_sel:DWORD
	s_and_b64 vcc, exec, s[10:11]
	s_cbranch_vccnz .LBB39_146
; %bb.141:
	v_cmp_gt_i16_sdwa s[10:11], s75, v3 src0_sel:BYTE_0 src1_sel:DWORD
	s_and_b64 vcc, exec, s[10:11]
	s_cbranch_vccz .LBB39_143
; %bb.142:
	v_lshlrev_b32_e32 v3, 16, v2
	v_trunc_f32_e32 v3, v3
	s_mov_b32 s8, 0x2f800000
	v_mul_f32_e64 v6, |v3|, s8
	v_floor_f32_e32 v6, v6
	s_mov_b32 s8, 0xcf800000
	v_cvt_u32_f32_e32 v7, v6
	v_fma_f32 v6, v6, s8, |v3|
	v_cvt_u32_f32_e32 v6, v6
	v_ashrrev_i32_e32 v3, 31, v3
	v_xor_b32_e32 v7, v7, v3
	s_mov_b64 s[8:9], 0
	v_xor_b32_e32 v6, v6, v3
	v_sub_co_u32_e32 v6, vcc, v6, v3
	v_subb_co_u32_e32 v7, vcc, v7, v3, vcc
	global_store_dwordx2 v[0:1], v[6:7], off
.LBB39_143:
	s_andn2_b64 vcc, exec, s[8:9]
	s_cbranch_vccnz .LBB39_145
; %bb.144:
	v_lshlrev_b32_e32 v3, 16, v2
	v_cvt_i32_f32_e32 v3, v3
	global_store_dword v[0:1], v3, off
.LBB39_145:
	s_mov_b64 s[8:9], 0
.LBB39_146:
	s_andn2_b64 vcc, exec, s[8:9]
	s_cbranch_vccnz .LBB39_148
; %bb.147:
	v_lshlrev_b32_e32 v3, 16, v2
	v_cvt_i32_f32_e32 v3, v3
	global_store_short v[0:1], v3, off
.LBB39_148:
	s_mov_b64 s[8:9], 0
.LBB39_149:
	s_andn2_b64 vcc, exec, s[8:9]
	s_cbranch_vccnz .LBB39_154
; %bb.150:
	v_mov_b32_e32 v3, 0
	v_cmp_gt_i16_sdwa s[10:11], s75, v3 src0_sel:BYTE_0 src1_sel:DWORD
	s_mov_b64 s[8:9], -1
	s_and_b64 vcc, exec, s[10:11]
	s_cbranch_vccz .LBB39_152
; %bb.151:
	v_lshlrev_b32_e32 v3, 16, v2
	v_cvt_i32_f32_e32 v3, v3
	s_mov_b64 s[8:9], 0
	global_store_byte v[0:1], v3, off
.LBB39_152:
	s_andn2_b64 vcc, exec, s[8:9]
	s_cbranch_vccnz .LBB39_154
; %bb.153:
	v_lshlrev_b32_e32 v2, 16, v2
	v_trunc_f32_e32 v2, v2
	s_mov_b32 s8, 0x2f800000
	v_mul_f32_e64 v3, |v2|, s8
	v_floor_f32_e32 v3, v3
	s_mov_b32 s8, 0xcf800000
	v_fma_f32 v3, v3, s8, |v2|
	v_cvt_u32_f32_e32 v3, v3
	v_ashrrev_i32_e32 v2, 31, v2
	v_xor_b32_e32 v3, v3, v2
	v_sub_u32_e32 v2, v3, v2
	global_store_byte v[0:1], v2, off
.LBB39_154:
.LBB39_155:
	v_add_u32_e32 v8, 0x80, v8
	s_mov_b64 s[8:9], -1
	s_branch .LBB39_266
.LBB39_156:
	s_mov_b64 s[2:3], -1
                                        ; implicit-def: $vgpr1
.LBB39_157:
	s_mov_b64 s[8:9], 0
.LBB39_158:
	s_and_b64 vcc, exec, s[8:9]
	s_cbranch_vccz .LBB39_162
; %bb.159:
	v_cmp_eq_u16_e32 vcc, 29, v5
	s_cbranch_vccz .LBB39_161
; %bb.160:
	global_load_dwordx2 v[6:7], v[2:3], off
	s_movk_i32 s2, 0x7fff
	s_mov_b64 s[0:1], -1
	s_mov_b64 s[8:9], 0
	s_waitcnt vmcnt(0)
	v_ffbh_u32_e32 v1, v7
	v_min_u32_e32 v1, 32, v1
	v_lshlrev_b64 v[6:7], v1, v[6:7]
	v_min_u32_e32 v6, 1, v6
	v_or_b32_e32 v6, v7, v6
	v_cvt_f32_u32_e32 v6, v6
	v_sub_u32_e32 v1, 32, v1
	v_ldexp_f32 v1, v6, v1
	v_bfe_u32 v6, v1, 16, 1
	v_add3_u32 v1, v1, v6, s2
	v_lshrrev_b32_e32 v1, 16, v1
	s_mov_b64 s[2:3], 0
	s_branch .LBB39_163
.LBB39_161:
	s_mov_b64 s[2:3], -1
                                        ; implicit-def: $vgpr1
.LBB39_162:
	s_mov_b64 s[8:9], 0
.LBB39_163:
	s_and_b64 vcc, exec, s[8:9]
	s_cbranch_vccz .LBB39_181
; %bb.164:
	v_cmp_gt_i16_e32 vcc, 27, v5
	s_cbranch_vccnz .LBB39_167
; %bb.165:
	v_cmp_lt_i16_e32 vcc, 27, v5
	s_cbranch_vccz .LBB39_168
; %bb.166:
	global_load_dword v1, v[2:3], off
	s_movk_i32 s0, 0x7fff
	s_waitcnt vmcnt(0)
	v_cvt_f32_u32_e32 v1, v1
	v_bfe_u32 v6, v1, 16, 1
	v_add3_u32 v1, v1, v6, s0
	v_lshrrev_b32_e32 v1, 16, v1
	s_mov_b64 s[0:1], 0
	s_branch .LBB39_169
.LBB39_167:
	s_mov_b64 s[0:1], -1
                                        ; implicit-def: $vgpr1
	s_branch .LBB39_172
.LBB39_168:
	s_mov_b64 s[0:1], -1
                                        ; implicit-def: $vgpr1
.LBB39_169:
	s_andn2_b64 vcc, exec, s[0:1]
	s_cbranch_vccnz .LBB39_171
; %bb.170:
	global_load_ushort v1, v[2:3], off
	s_movk_i32 s0, 0x7fff
	s_waitcnt vmcnt(0)
	v_cvt_f32_u32_e32 v1, v1
	v_bfe_u32 v6, v1, 16, 1
	v_add3_u32 v1, v1, v6, s0
	v_lshrrev_b32_e32 v1, 16, v1
.LBB39_171:
	s_mov_b64 s[0:1], 0
.LBB39_172:
	s_andn2_b64 vcc, exec, s[0:1]
	s_cbranch_vccnz .LBB39_180
; %bb.173:
	global_load_ubyte v1, v[2:3], off
	s_movk_i32 s0, 0x7f
                                        ; implicit-def: $sgpr12
	s_waitcnt vmcnt(0)
	v_cmp_lt_i16_e32 vcc, s0, v1
	s_mov_b64 s[0:1], 0
	s_and_saveexec_b64 s[8:9], vcc
	s_xor_b64 s[8:9], exec, s[8:9]
	s_cbranch_execz .LBB39_193
; %bb.174:
	s_movk_i32 s0, 0x80
	v_cmp_eq_u16_e32 vcc, s0, v1
	s_mov_b64 s[0:1], -1
                                        ; implicit-def: $sgpr12
	s_and_saveexec_b64 s[10:11], vcc
; %bb.175:
	s_mov_b32 s12, 0x7f800001
	s_xor_b64 s[0:1], exec, -1
; %bb.176:
	s_or_b64 exec, exec, s[10:11]
	s_and_b64 s[0:1], s[0:1], exec
	s_or_saveexec_b64 s[8:9], s[8:9]
	v_mov_b32_e32 v6, s12
	s_xor_b64 exec, exec, s[8:9]
	s_cbranch_execnz .LBB39_194
.LBB39_177:
	s_or_b64 exec, exec, s[8:9]
	s_and_saveexec_b64 s[8:9], s[0:1]
	s_cbranch_execz .LBB39_179
.LBB39_178:
	v_lshlrev_b32_e32 v6, 24, v1
	v_and_b32_e32 v1, 0xffff, v1
	v_and_b32_e32 v7, 7, v1
	v_ffbh_u32_e32 v10, v7
	v_min_u32_e32 v10, 32, v10
	v_subrev_u32_e32 v11, 28, v10
	v_bfe_u32 v9, v1, 3, 4
	v_lshlrev_b32_e32 v1, v11, v1
	v_sub_u32_e32 v10, 29, v10
	v_and_b32_e32 v1, 7, v1
	v_cmp_eq_u32_e32 vcc, 0, v9
	v_cndmask_b32_e32 v9, v9, v10, vcc
	v_cndmask_b32_e32 v1, v7, v1, vcc
	v_mov_b32_e32 v7, 0x3b800000
	v_lshlrev_b32_e32 v1, 20, v1
	v_and_b32_e32 v6, 0x80000000, v6
	v_lshl_add_u32 v7, v9, 23, v7
	v_or3_b32 v6, v6, v7, v1
.LBB39_179:
	s_or_b64 exec, exec, s[8:9]
	v_bfe_u32 v1, v6, 16, 1
	s_movk_i32 s0, 0x7fff
	v_add3_u32 v1, v6, v1, s0
	v_lshrrev_b32_e32 v1, 16, v1
	v_mov_b32_e32 v7, 0x7fc0
	v_cmp_o_f32_e32 vcc, v6, v6
	v_cndmask_b32_e32 v1, v7, v1, vcc
.LBB39_180:
	s_mov_b64 s[0:1], -1
.LBB39_181:
	s_branch .LBB39_216
.LBB39_182:
	v_cmp_lt_i16_e32 vcc, 22, v5
	s_cbranch_vccz .LBB39_192
; %bb.183:
	v_cmp_gt_i16_e32 vcc, 24, v5
	s_cbranch_vccnz .LBB39_195
; %bb.184:
	v_cmp_lt_i16_e32 vcc, 24, v5
	s_cbranch_vccz .LBB39_196
; %bb.185:
	global_load_ubyte v1, v[2:3], off
	s_movk_i32 s0, 0x7f
                                        ; implicit-def: $sgpr12
	s_waitcnt vmcnt(0)
	v_cmp_lt_i16_e32 vcc, s0, v1
	s_mov_b64 s[0:1], 0
	s_and_saveexec_b64 s[8:9], vcc
	s_xor_b64 s[8:9], exec, s[8:9]
	s_cbranch_execz .LBB39_208
; %bb.186:
	s_movk_i32 s0, 0x80
	v_cmp_eq_u16_e32 vcc, s0, v1
	s_mov_b64 s[0:1], -1
                                        ; implicit-def: $sgpr12
	s_and_saveexec_b64 s[10:11], vcc
; %bb.187:
	s_mov_b32 s12, 0x7f800001
	s_xor_b64 s[0:1], exec, -1
; %bb.188:
	s_or_b64 exec, exec, s[10:11]
	s_and_b64 s[0:1], s[0:1], exec
	s_or_saveexec_b64 s[8:9], s[8:9]
	v_mov_b32_e32 v6, s12
	s_xor_b64 exec, exec, s[8:9]
	s_cbranch_execnz .LBB39_209
.LBB39_189:
	s_or_b64 exec, exec, s[8:9]
	s_and_saveexec_b64 s[8:9], s[0:1]
	s_cbranch_execz .LBB39_191
.LBB39_190:
	v_lshlrev_b32_e32 v6, 24, v1
	v_and_b32_e32 v1, 0xffff, v1
	v_and_b32_e32 v7, 3, v1
	v_ffbh_u32_e32 v10, v7
	v_min_u32_e32 v10, 32, v10
	v_subrev_u32_e32 v11, 29, v10
	v_bfe_u32 v9, v1, 2, 5
	v_lshlrev_b32_e32 v1, v11, v1
	v_sub_u32_e32 v10, 30, v10
	v_and_b32_e32 v1, 3, v1
	v_cmp_eq_u32_e32 vcc, 0, v9
	v_cndmask_b32_e32 v9, v9, v10, vcc
	v_cndmask_b32_e32 v1, v7, v1, vcc
	v_mov_b32_e32 v7, 0x37800000
	v_lshlrev_b32_e32 v1, 21, v1
	v_and_b32_e32 v6, 0x80000000, v6
	v_lshl_add_u32 v7, v9, 23, v7
	v_or3_b32 v6, v6, v7, v1
.LBB39_191:
	s_or_b64 exec, exec, s[8:9]
	v_bfe_u32 v1, v6, 16, 1
	s_movk_i32 s0, 0x7fff
	v_add3_u32 v1, v6, v1, s0
	v_lshrrev_b32_e32 v1, 16, v1
	v_mov_b32_e32 v7, 0x7fc0
	v_cmp_o_f32_e32 vcc, v6, v6
	v_cndmask_b32_e32 v1, v7, v1, vcc
	s_mov_b64 s[0:1], 0
	s_branch .LBB39_197
.LBB39_192:
	s_mov_b64 s[8:9], -1
                                        ; implicit-def: $vgpr1
	s_branch .LBB39_203
.LBB39_193:
	s_or_saveexec_b64 s[8:9], s[8:9]
	v_mov_b32_e32 v6, s12
	s_xor_b64 exec, exec, s[8:9]
	s_cbranch_execz .LBB39_177
.LBB39_194:
	v_cmp_ne_u16_e32 vcc, 0, v1
	s_andn2_b64 s[0:1], s[0:1], exec
	s_and_b64 s[10:11], vcc, exec
	v_mov_b32_e32 v6, 0
	s_or_b64 s[0:1], s[0:1], s[10:11]
	s_or_b64 exec, exec, s[8:9]
	s_and_saveexec_b64 s[8:9], s[0:1]
	s_cbranch_execnz .LBB39_178
	s_branch .LBB39_179
.LBB39_195:
	s_mov_b64 s[0:1], -1
                                        ; implicit-def: $vgpr1
	s_branch .LBB39_200
.LBB39_196:
	s_mov_b64 s[0:1], -1
                                        ; implicit-def: $vgpr1
.LBB39_197:
	s_and_b64 vcc, exec, s[0:1]
	s_cbranch_vccz .LBB39_199
; %bb.198:
	global_load_ubyte v1, v[2:3], off
	s_mov_b32 s0, 0x7f800000
	s_brev_b32 s1, 1
	s_movk_i32 s8, 0x7fff
	v_mov_b32_e32 v6, 0x7fc0
	s_waitcnt vmcnt(0)
	v_lshlrev_b32_e32 v1, 24, v1
	v_and_b32_e32 v7, 0x7f000000, v1
	v_ffbh_u32_e32 v9, v7
	v_min_u32_e32 v9, 32, v9
	v_sub_u32_e64 v9, v9, 4 clamp
	v_lshlrev_b32_e32 v11, v9, v7
	v_lshlrev_b32_e32 v9, 23, v9
	v_lshrrev_b32_e32 v11, 4, v11
	v_add_u32_e32 v10, 0x1000000, v7
	v_sub_u32_e32 v9, v11, v9
	v_ashrrev_i32_e32 v10, 8, v10
	v_add_u32_e32 v9, 0x3c000000, v9
	v_and_or_b32 v9, v10, s0, v9
	v_cmp_ne_u32_e32 vcc, 0, v7
	v_cndmask_b32_e32 v7, 0, v9, vcc
	v_and_or_b32 v1, v1, s1, v7
	v_bfe_u32 v7, v7, 16, 1
	v_add3_u32 v7, v1, v7, s8
	v_lshrrev_b32_e32 v7, 16, v7
	v_cmp_o_f32_e32 vcc, v1, v1
	v_cndmask_b32_e32 v1, v6, v7, vcc
.LBB39_199:
	s_mov_b64 s[0:1], 0
.LBB39_200:
	s_andn2_b64 vcc, exec, s[0:1]
	s_cbranch_vccnz .LBB39_202
; %bb.201:
	global_load_ubyte v1, v[2:3], off
	s_movk_i32 s0, 0x7f00
	s_brev_b32 s1, 16
	s_brev_b32 s8, 1
	s_movk_i32 s9, 0x7fff
	v_mov_b32_e32 v6, 0x7fc0
	s_waitcnt vmcnt(0)
	v_lshlrev_b16_e32 v7, 8, v1
	v_lshlrev_b32_e32 v1, 25, v1
	v_lshrrev_b32_e32 v9, 4, v1
	v_and_or_b32 v10, v7, s0, 0.5
	v_or_b32_e32 v9, 0x70000000, v9
	v_add_f32_e32 v10, -0.5, v10
	v_mul_f32_e32 v9, 0x7800000, v9
	v_cmp_gt_u32_e32 vcc, s1, v1
	v_bfe_i32 v7, v7, 0, 16
	v_cndmask_b32_e32 v1, v9, v10, vcc
	v_and_or_b32 v7, v7, s8, v1
	v_bfe_u32 v1, v1, 16, 1
	v_add3_u32 v1, v7, v1, s9
	v_lshrrev_b32_e32 v1, 16, v1
	v_cmp_o_f32_e32 vcc, v7, v7
	v_cndmask_b32_e32 v1, v6, v1, vcc
.LBB39_202:
	s_mov_b64 s[8:9], 0
	s_mov_b64 s[0:1], -1
.LBB39_203:
	s_andn2_b64 vcc, exec, s[8:9]
	s_cbranch_vccnz .LBB39_216
; %bb.204:
	v_cmp_lt_i16_e32 vcc, 14, v5
	s_cbranch_vccz .LBB39_207
; %bb.205:
	v_cmp_eq_u16_e32 vcc, 15, v5
	s_cbranch_vccz .LBB39_210
; %bb.206:
	global_load_ushort v1, v[2:3], off
	s_mov_b64 s[0:1], -1
	s_mov_b64 s[2:3], 0
	s_branch .LBB39_211
.LBB39_207:
	s_mov_b64 s[8:9], -1
                                        ; implicit-def: $vgpr1
	s_branch .LBB39_212
.LBB39_208:
	s_or_saveexec_b64 s[8:9], s[8:9]
	v_mov_b32_e32 v6, s12
	s_xor_b64 exec, exec, s[8:9]
	s_cbranch_execz .LBB39_189
.LBB39_209:
	v_cmp_ne_u16_e32 vcc, 0, v1
	s_andn2_b64 s[0:1], s[0:1], exec
	s_and_b64 s[10:11], vcc, exec
	v_mov_b32_e32 v6, 0
	s_or_b64 s[0:1], s[0:1], s[10:11]
	s_or_b64 exec, exec, s[8:9]
	s_and_saveexec_b64 s[8:9], s[0:1]
	s_cbranch_execnz .LBB39_190
	s_branch .LBB39_191
.LBB39_210:
	s_mov_b64 s[2:3], -1
                                        ; implicit-def: $vgpr1
.LBB39_211:
	s_mov_b64 s[8:9], 0
.LBB39_212:
	s_and_b64 vcc, exec, s[8:9]
	s_cbranch_vccz .LBB39_216
; %bb.213:
	v_cmp_eq_u16_e32 vcc, 11, v5
	s_cbranch_vccz .LBB39_215
; %bb.214:
	global_load_ubyte v1, v[2:3], off
	s_mov_b64 s[0:1], -1
	s_mov_b64 s[2:3], 0
	s_waitcnt vmcnt(0)
	v_cmp_ne_u16_e32 vcc, 0, v1
	v_cndmask_b32_e64 v1, 0, 1.0, vcc
	v_lshrrev_b32_e32 v1, 16, v1
	s_branch .LBB39_216
.LBB39_215:
	s_mov_b64 s[2:3], -1
                                        ; implicit-def: $vgpr1
.LBB39_216:
	s_branch .LBB39_25
.LBB39_217:
	v_cmp_gt_i16_e32 vcc, 5, v5
	s_cbranch_vccnz .LBB39_222
; %bb.218:
	v_cmp_gt_i16_e32 vcc, 8, v5
	s_cbranch_vccnz .LBB39_223
; %bb.219:
	;; [unrolled: 3-line block ×3, first 2 shown]
	v_cmp_lt_i16_e32 vcc, 9, v5
	s_cbranch_vccz .LBB39_225
; %bb.221:
	global_load_dwordx2 v[6:7], v[2:3], off
	s_movk_i32 s0, 0x7fff
	s_waitcnt vmcnt(1)
	v_mov_b32_e32 v1, 0x7fc0
	s_waitcnt vmcnt(0)
	v_cvt_f32_f64_e32 v6, v[6:7]
	v_bfe_u32 v7, v6, 16, 1
	v_add3_u32 v7, v6, v7, s0
	v_lshrrev_b32_e32 v7, 16, v7
	v_cmp_o_f32_e32 vcc, v6, v6
	v_cndmask_b32_e32 v1, v1, v7, vcc
	s_mov_b64 s[0:1], 0
	s_branch .LBB39_226
.LBB39_222:
                                        ; implicit-def: $vgpr1
	s_branch .LBB39_244
.LBB39_223:
	s_mov_b64 s[0:1], -1
                                        ; implicit-def: $vgpr1
	s_branch .LBB39_232
.LBB39_224:
	s_mov_b64 s[0:1], -1
                                        ; implicit-def: $vgpr1
	s_branch .LBB39_229
.LBB39_225:
	s_mov_b64 s[0:1], -1
                                        ; implicit-def: $vgpr1
.LBB39_226:
	s_andn2_b64 vcc, exec, s[0:1]
	s_cbranch_vccnz .LBB39_228
; %bb.227:
	global_load_dword v1, v[2:3], off
	s_movk_i32 s0, 0x7fff
	v_mov_b32_e32 v6, 0x7fc0
	s_waitcnt vmcnt(0)
	v_bfe_u32 v7, v1, 16, 1
	v_add3_u32 v7, v1, v7, s0
	v_lshrrev_b32_e32 v7, 16, v7
	v_cmp_o_f32_e32 vcc, v1, v1
	v_cndmask_b32_e32 v1, v6, v7, vcc
.LBB39_228:
	s_mov_b64 s[0:1], 0
.LBB39_229:
	s_andn2_b64 vcc, exec, s[0:1]
	s_cbranch_vccnz .LBB39_231
; %bb.230:
	global_load_dword v1, v[2:3], off
	s_movk_i32 s0, 0x7fff
	v_mov_b32_e32 v7, 0x7fc0
	s_waitcnt vmcnt(0)
	v_cvt_f32_f16_e32 v6, v1
	v_cmp_o_f16_e32 vcc, v1, v1
	v_bfe_u32 v9, v6, 16, 1
	v_add3_u32 v6, v6, v9, s0
	v_lshrrev_b32_e32 v6, 16, v6
	v_cndmask_b32_e32 v1, v7, v6, vcc
.LBB39_231:
	s_mov_b64 s[0:1], 0
.LBB39_232:
	s_andn2_b64 vcc, exec, s[0:1]
	s_cbranch_vccnz .LBB39_243
; %bb.233:
	v_cmp_gt_i16_e32 vcc, 6, v5
	s_cbranch_vccnz .LBB39_236
; %bb.234:
	v_cmp_lt_i16_e32 vcc, 6, v5
	s_cbranch_vccz .LBB39_237
; %bb.235:
	global_load_dwordx2 v[6:7], v[2:3], off
	s_movk_i32 s0, 0x7fff
	s_waitcnt vmcnt(1)
	v_mov_b32_e32 v1, 0x7fc0
	s_waitcnt vmcnt(0)
	v_cvt_f32_f64_e32 v6, v[6:7]
	v_bfe_u32 v7, v6, 16, 1
	v_add3_u32 v7, v6, v7, s0
	v_lshrrev_b32_e32 v7, 16, v7
	v_cmp_o_f32_e32 vcc, v6, v6
	v_cndmask_b32_e32 v1, v1, v7, vcc
	s_mov_b64 s[0:1], 0
	s_branch .LBB39_238
.LBB39_236:
	s_mov_b64 s[0:1], -1
                                        ; implicit-def: $vgpr1
	s_branch .LBB39_241
.LBB39_237:
	s_mov_b64 s[0:1], -1
                                        ; implicit-def: $vgpr1
.LBB39_238:
	s_andn2_b64 vcc, exec, s[0:1]
	s_cbranch_vccnz .LBB39_240
; %bb.239:
	global_load_dword v1, v[2:3], off
	s_movk_i32 s0, 0x7fff
	v_mov_b32_e32 v6, 0x7fc0
	s_waitcnt vmcnt(0)
	v_bfe_u32 v7, v1, 16, 1
	v_add3_u32 v7, v1, v7, s0
	v_lshrrev_b32_e32 v7, 16, v7
	v_cmp_o_f32_e32 vcc, v1, v1
	v_cndmask_b32_e32 v1, v6, v7, vcc
.LBB39_240:
	s_mov_b64 s[0:1], 0
.LBB39_241:
	s_andn2_b64 vcc, exec, s[0:1]
	s_cbranch_vccnz .LBB39_243
; %bb.242:
	global_load_ushort v1, v[2:3], off
	s_movk_i32 s0, 0x7fff
	v_mov_b32_e32 v7, 0x7fc0
	s_waitcnt vmcnt(0)
	v_cvt_f32_f16_e32 v6, v1
	v_cmp_o_f16_e32 vcc, v1, v1
	v_bfe_u32 v9, v6, 16, 1
	v_add3_u32 v6, v6, v9, s0
	v_lshrrev_b32_e32 v6, 16, v6
	v_cndmask_b32_e32 v1, v7, v6, vcc
.LBB39_243:
	s_cbranch_execnz .LBB39_263
.LBB39_244:
	v_cmp_gt_i16_e32 vcc, 2, v5
	s_cbranch_vccnz .LBB39_248
; %bb.245:
	v_cmp_gt_i16_e32 vcc, 3, v5
	s_cbranch_vccnz .LBB39_249
; %bb.246:
	v_cmp_lt_i16_e32 vcc, 3, v5
	s_cbranch_vccz .LBB39_250
; %bb.247:
	global_load_dwordx2 v[6:7], v[2:3], off
	s_movk_i32 s0, 0x7fff
	s_waitcnt vmcnt(0)
	v_xor_b32_e32 v9, v6, v7
	v_ffbh_i32_e32 v1, v7
	v_ashrrev_i32_e32 v9, 31, v9
	v_add_u32_e32 v1, -1, v1
	v_add_u32_e32 v9, 32, v9
	v_min_u32_e32 v1, v1, v9
	v_lshlrev_b64 v[6:7], v1, v[6:7]
	v_min_u32_e32 v6, 1, v6
	v_or_b32_e32 v6, v7, v6
	v_cvt_f32_i32_e32 v6, v6
	v_sub_u32_e32 v1, 32, v1
	v_ldexp_f32 v1, v6, v1
	v_bfe_u32 v6, v1, 16, 1
	v_add3_u32 v1, v1, v6, s0
	v_lshrrev_b32_e32 v1, 16, v1
	s_mov_b64 s[0:1], 0
	s_branch .LBB39_251
.LBB39_248:
	s_mov_b64 s[0:1], -1
                                        ; implicit-def: $vgpr1
	s_branch .LBB39_257
.LBB39_249:
	s_mov_b64 s[0:1], -1
                                        ; implicit-def: $vgpr1
	s_branch .LBB39_254
.LBB39_250:
	s_mov_b64 s[0:1], -1
                                        ; implicit-def: $vgpr1
.LBB39_251:
	s_andn2_b64 vcc, exec, s[0:1]
	s_cbranch_vccnz .LBB39_253
; %bb.252:
	global_load_dword v1, v[2:3], off
	s_movk_i32 s0, 0x7fff
	s_waitcnt vmcnt(0)
	v_cvt_f32_i32_e32 v1, v1
	v_bfe_u32 v6, v1, 16, 1
	v_add3_u32 v1, v1, v6, s0
	v_lshrrev_b32_e32 v1, 16, v1
.LBB39_253:
	s_mov_b64 s[0:1], 0
.LBB39_254:
	s_andn2_b64 vcc, exec, s[0:1]
	s_cbranch_vccnz .LBB39_256
; %bb.255:
	global_load_sshort v1, v[2:3], off
	s_movk_i32 s0, 0x7fff
	s_waitcnt vmcnt(0)
	v_cvt_f32_i32_e32 v1, v1
	v_bfe_u32 v6, v1, 16, 1
	v_add3_u32 v1, v1, v6, s0
	v_lshrrev_b32_e32 v1, 16, v1
.LBB39_256:
	s_mov_b64 s[0:1], 0
.LBB39_257:
	s_andn2_b64 vcc, exec, s[0:1]
	s_cbranch_vccnz .LBB39_263
; %bb.258:
	v_cmp_lt_i16_e32 vcc, 0, v5
	s_cbranch_vccz .LBB39_260
; %bb.259:
	global_load_sbyte v1, v[2:3], off
	s_movk_i32 s0, 0x7fff
	s_waitcnt vmcnt(0)
	v_cvt_f32_i32_e32 v1, v1
	v_bfe_u32 v6, v1, 16, 1
	v_add3_u32 v1, v1, v6, s0
	v_lshrrev_b32_e32 v1, 16, v1
	s_mov_b64 s[0:1], 0
	s_branch .LBB39_261
.LBB39_260:
	s_mov_b64 s[0:1], -1
                                        ; implicit-def: $vgpr1
.LBB39_261:
	s_andn2_b64 vcc, exec, s[0:1]
	s_cbranch_vccnz .LBB39_263
; %bb.262:
	global_load_ubyte v1, v[2:3], off
	s_movk_i32 s0, 0x7fff
	s_waitcnt vmcnt(0)
	v_cvt_f32_ubyte0_e32 v1, v1
	v_bfe_u32 v2, v1, 16, 1
	v_add3_u32 v1, v1, v2, s0
	v_lshrrev_b32_e32 v1, 16, v1
.LBB39_263:
	s_branch .LBB39_26
.LBB39_264:
	s_mov_b64 s[0:1], 0
.LBB39_265:
	s_mov_b64 s[8:9], 0
                                        ; implicit-def: $vgpr8
.LBB39_266:
	s_and_b64 s[52:53], s[0:1], exec
	s_and_b64 s[54:55], s[2:3], exec
	s_orn2_b64 s[2:3], s[8:9], exec
.LBB39_267:
	s_or_b64 exec, exec, s[56:57]
	s_mov_b64 s[10:11], 0
	s_mov_b64 s[0:1], 0
                                        ; implicit-def: $vgpr2_vgpr3
                                        ; implicit-def: $vgpr0
                                        ; implicit-def: $vgpr6
	s_and_saveexec_b64 s[56:57], s[2:3]
	s_cbranch_execz .LBB39_275
; %bb.268:
	v_cmp_gt_i32_e32 vcc, s72, v8
	s_mov_b64 s[0:1], -1
	s_mov_b64 s[58:59], s[54:55]
	s_mov_b64 s[60:61], s[52:53]
	s_and_saveexec_b64 s[62:63], vcc
	s_cbranch_execz .LBB39_544
; %bb.269:
	s_andn2_b64 vcc, exec, s[40:41]
	s_cbranch_vccnz .LBB39_278
; %bb.270:
	s_mov_b32 s58, 0
	s_andn2_b64 vcc, exec, s[50:51]
	v_mov_b32_e32 v2, 0
	v_mov_b32_e32 v0, 0
	s_cbranch_vccnz .LBB39_284
; %bb.271:
	s_add_i32 s66, s73, 1
	s_cmp_eq_u32 s74, 2
	s_cbranch_scc1 .LBB39_279
; %bb.272:
	s_and_b32 s58, s66, 28
	s_mov_b32 s59, 0
	v_mov_b32_e32 v0, 0
	s_mov_b64 s[60:61], s[34:35]
	s_mov_b64 s[64:65], s[48:49]
	v_mov_b32_e32 v3, v8
	v_mov_b32_e32 v2, 0
.LBB39_273:                             ; =>This Inner Loop Header: Depth=1
	s_load_dwordx8 s[16:23], s[60:61], 0x4
	s_load_dwordx4 s[0:3], s[60:61], 0x24
	s_load_dwordx8 s[8:15], s[64:65], 0x0
	s_add_u32 s60, s60, 48
	s_addc_u32 s61, s61, 0
	s_waitcnt vmcnt(0) lgkmcnt(0)
	v_mul_hi_u32 v1, s17, v3
	v_add_u32_e32 v1, v3, v1
	v_lshrrev_b32_e32 v1, s18, v1
	v_mul_lo_u32 v6, v1, s16
	v_mul_hi_u32 v7, s20, v1
	v_sub_u32_e32 v3, v3, v6
	v_add_u32_e32 v6, v1, v7
	v_lshrrev_b32_e32 v6, s21, v6
	v_mul_lo_u32 v9, v6, s19
	v_mul_hi_u32 v10, s23, v6
	v_sub_u32_e32 v1, v1, v9
	v_add_u32_e32 v9, v6, v10
	v_mul_lo_u32 v7, v3, s9
	v_mul_lo_u32 v3, v3, s8
	;; [unrolled: 1-line block ×4, first 2 shown]
	v_lshrrev_b32_e32 v9, s0, v9
	v_add3_u32 v0, v3, v0, v1
	v_mul_hi_u32 v3, s2, v9
	v_add_u32_e32 v3, v9, v3
	v_lshrrev_b32_e32 v3, s3, v3
	s_add_i32 s59, s59, 4
	v_add3_u32 v1, v7, v2, v10
	v_mul_lo_u32 v2, v9, s22
	v_mul_lo_u32 v7, v3, s1
	s_add_u32 s64, s64, 32
	v_sub_u32_e32 v2, v6, v2
	v_sub_u32_e32 v7, v9, v7
	s_addc_u32 s65, s65, 0
	v_mul_lo_u32 v6, v2, s12
	v_mul_lo_u32 v2, v2, s13
	;; [unrolled: 1-line block ×4, first 2 shown]
	s_cmp_eq_u32 s58, s59
	v_add3_u32 v2, v2, v1, v7
	v_add3_u32 v0, v6, v0, v9
	s_cbranch_scc0 .LBB39_273
; %bb.274:
	v_mov_b32_e32 v1, v2
	s_branch .LBB39_280
.LBB39_275:
	s_or_b64 exec, exec, s[56:57]
	s_mov_b64 s[2:3], 0
	s_and_saveexec_b64 s[8:9], s[54:55]
	s_cbranch_execnz .LBB39_922
.LBB39_276:
	s_or_b64 exec, exec, s[8:9]
	s_and_saveexec_b64 s[8:9], s[60:61]
	s_xor_b64 s[8:9], exec, s[8:9]
	s_cbranch_execz .LBB39_923
.LBB39_277:
	global_load_ubyte v1, v[2:3], off
	s_or_b64 s[0:1], s[0:1], exec
	s_waitcnt vmcnt(0)
	v_cmp_ne_u16_e32 vcc, 0, v1
	v_cndmask_b32_e64 v1, 0, 1.0, vcc
	v_lshrrev_b32_e32 v6, 16, v1
	s_or_b64 exec, exec, s[8:9]
	s_and_saveexec_b64 s[8:9], s[10:11]
	s_cbranch_execz .LBB39_969
	s_branch .LBB39_924
.LBB39_278:
                                        ; implicit-def: $vgpr2
                                        ; implicit-def: $vgpr0
	s_andn2_b64 vcc, exec, s[0:1]
	s_cbranch_vccz .LBB39_285
	s_branch .LBB39_287
.LBB39_279:
	s_mov_b32 s59, s58
	s_waitcnt vmcnt(0)
	v_pk_mov_b32 v[0:1], s[58:59], s[58:59] op_sel:[0,1]
                                        ; implicit-def: $vgpr2
	v_mov_b32_e32 v3, v8
.LBB39_280:
	s_and_b32 s8, s66, 3
	s_cmp_eq_u32 s8, 0
	s_cbranch_scc1 .LBB39_284
; %bb.281:
	s_lshl_b32 s0, s58, 3
	s_add_u32 s0, s0, s34
	s_addc_u32 s1, s35, 0
	s_add_u32 s0, s0, 0xc4
	s_addc_u32 s1, s1, 0
	s_mul_i32 s2, s58, 12
	s_add_u32 s2, s34, s2
	s_addc_u32 s3, s35, 0
.LBB39_282:                             ; =>This Inner Loop Header: Depth=1
	s_load_dwordx2 s[10:11], s[2:3], 0x4
	s_load_dword s9, s[2:3], 0xc
	s_load_dwordx2 s[12:13], s[0:1], 0x0
	v_mov_b32_e32 v2, v1
	s_add_u32 s2, s2, 12
	s_waitcnt lgkmcnt(0)
	v_mul_hi_u32 v1, s11, v3
	v_add_u32_e32 v1, v3, v1
	v_lshrrev_b32_e32 v1, s9, v1
	s_addc_u32 s3, s3, 0
	v_mul_lo_u32 v6, v1, s10
	s_add_u32 s0, s0, 8
	v_sub_u32_e32 v9, v3, v6
	v_mov_b32_e32 v3, v1
	s_addc_u32 s1, s1, 0
	s_add_i32 s8, s8, -1
	v_mad_u64_u32 v[6:7], s[10:11], v9, s13, v[2:3]
	v_mad_u64_u32 v[0:1], s[10:11], v9, s12, v[0:1]
	s_cmp_lg_u32 s8, 0
	v_mov_b32_e32 v1, v6
	s_cbranch_scc1 .LBB39_282
; %bb.283:
	v_mov_b32_e32 v2, v1
.LBB39_284:
	s_cbranch_execnz .LBB39_287
.LBB39_285:
	v_mul_hi_u32 v0, s29, v8
	v_add_u32_e32 v0, v8, v0
	s_waitcnt vmcnt(0)
	v_lshrrev_b32_e32 v1, s30, v0
	v_mul_lo_u32 v0, v1, s28
	v_sub_u32_e32 v0, v8, v0
	v_mul_lo_u32 v2, v0, s37
	s_andn2_b64 vcc, exec, s[46:47]
	v_mul_lo_u32 v0, v0, s36
	s_cbranch_vccnz .LBB39_287
; %bb.286:
	v_mul_hi_u32 v3, s44, v1
	v_add_u32_e32 v3, v1, v3
	v_lshrrev_b32_e32 v3, s45, v3
	v_mul_lo_u32 v3, v3, s31
	v_sub_u32_e32 v3, v1, v3
	v_mad_u64_u32 v[0:1], s[0:1], v3, s38, v[0:1]
	v_mad_u64_u32 v[2:3], s[0:1], v3, s39, v[2:3]
.LBB39_287:
	s_waitcnt vmcnt(0)
	v_mov_b32_e32 v1, s27
	v_add_co_u32_e32 v2, vcc, s26, v2
	v_addc_co_u32_e32 v3, vcc, 0, v1, vcc
	v_cmp_gt_i16_e32 vcc, 11, v5
	s_cbranch_vccnz .LBB39_294
; %bb.288:
	v_cmp_lt_i16_e32 vcc, 25, v5
	s_cbranch_vccz .LBB39_303
; %bb.289:
	v_cmp_lt_i16_e32 vcc, 28, v5
	s_cbranch_vccz .LBB39_305
	;; [unrolled: 3-line block ×4, first 2 shown]
; %bb.292:
	v_cmp_eq_u16_e32 vcc, 46, v5
	s_mov_b64 s[8:9], 0
	s_cbranch_vccz .LBB39_315
; %bb.293:
	global_load_dword v1, v[2:3], off
	s_mov_b64 s[0:1], -1
	s_mov_b64 s[2:3], 0
	s_branch .LBB39_316
.LBB39_294:
	s_mov_b64 s[0:1], 0
                                        ; implicit-def: $vgpr1
	s_mov_b64 s[2:3], s[54:55]
	s_cbranch_execnz .LBB39_493
.LBB39_295:
	s_andn2_b64 vcc, exec, s[0:1]
	s_cbranch_vccnz .LBB39_541
.LBB39_296:
	s_waitcnt vmcnt(0)
	v_and_b32_e32 v3, 0x7fff, v1
	v_mov_b32_e32 v1, s25
	v_add_co_u32_e32 v0, vcc, s24, v0
	v_mov_b32_e32 v6, 11
	v_addc_co_u32_e32 v1, vcc, 0, v1, vcc
	v_cmp_lt_i16_sdwa s[0:1], s75, v6 src0_sel:BYTE_0 src1_sel:DWORD
	v_or_b32_e32 v2, v3, v4
	s_and_b64 vcc, exec, s[0:1]
	s_cbranch_vccnz .LBB39_304
; %bb.297:
	v_mov_b32_e32 v6, 25
	v_cmp_gt_i16_sdwa s[0:1], s75, v6 src0_sel:BYTE_0 src1_sel:DWORD
	s_and_b64 vcc, exec, s[0:1]
	s_cbranch_vccz .LBB39_306
; %bb.298:
	v_mov_b32_e32 v6, 28
	v_cmp_gt_i16_sdwa s[0:1], s75, v6 src0_sel:BYTE_0 src1_sel:DWORD
	s_and_b64 vcc, exec, s[0:1]
	s_cbranch_vccz .LBB39_308
	;; [unrolled: 5-line block ×4, first 2 shown]
; %bb.301:
	v_mov_b32_e32 v6, 46
	v_cmp_eq_u16_sdwa s[8:9], s75, v6 src0_sel:BYTE_0 src1_sel:DWORD
	s_mov_b64 s[10:11], 0
	s_mov_b64 s[0:1], -1
	s_and_b64 vcc, exec, s[8:9]
	s_mov_b64 s[8:9], 0
	s_cbranch_vccz .LBB39_320
; %bb.302:
	v_and_b32_e32 v6, 0xffff, v2
	global_store_dword v[0:1], v6, off
	s_mov_b64 s[8:9], -1
	s_mov_b64 s[0:1], 0
	s_branch .LBB39_320
.LBB39_303:
	s_mov_b64 s[8:9], -1
	s_mov_b64 s[0:1], 0
	s_mov_b64 s[2:3], s[54:55]
                                        ; implicit-def: $vgpr1
	s_branch .LBB39_457
.LBB39_304:
	s_mov_b64 s[10:11], -1
	s_mov_b64 s[8:9], 0
	s_mov_b64 s[0:1], s[52:53]
	s_branch .LBB39_389
.LBB39_305:
	s_mov_b64 s[8:9], -1
	s_mov_b64 s[0:1], 0
	s_mov_b64 s[2:3], s[54:55]
                                        ; implicit-def: $vgpr1
	s_branch .LBB39_438
.LBB39_306:
	s_mov_b64 s[10:11], -1
	s_mov_b64 s[8:9], 0
	s_mov_b64 s[0:1], s[52:53]
	s_branch .LBB39_347
.LBB39_307:
	s_mov_b64 s[8:9], -1
	s_mov_b64 s[0:1], 0
	s_mov_b64 s[2:3], s[54:55]
                                        ; implicit-def: $vgpr1
	s_branch .LBB39_433
.LBB39_308:
	s_mov_b64 s[10:11], -1
	s_mov_b64 s[8:9], 0
	s_mov_b64 s[0:1], s[52:53]
	s_branch .LBB39_330
.LBB39_309:
	s_or_saveexec_b64 s[12:13], s[12:13]
                                        ; implicit-def: $sgpr14
	s_xor_b64 exec, exec, s[12:13]
	s_cbranch_execz .LBB39_69
.LBB39_310:
	s_mov_b32 s14, 0x46000000
	v_add_f32_e64 v7, |v9|, s14
	v_and_b32_e32 v7, 0xff, v7
	v_cmp_ne_u32_e32 vcc, 0, v7
	s_andn2_b64 s[10:11], s[10:11], exec
	s_and_b64 s[16:17], vcc, exec
	s_mov_b32 s14, 0
	s_or_b64 s[10:11], s[10:11], s[16:17]
	s_or_b64 exec, exec, s[12:13]
	v_mov_b32_e32 v10, s14
	s_and_saveexec_b64 s[12:13], s[10:11]
	s_cbranch_execnz .LBB39_70
	s_branch .LBB39_71
.LBB39_311:
	s_mov_b64 s[8:9], -1
	s_mov_b64 s[0:1], 0
	s_mov_b64 s[2:3], s[54:55]
                                        ; implicit-def: $vgpr1
	s_branch .LBB39_316
.LBB39_312:
	s_mov_b64 s[10:11], -1
	s_mov_b64 s[8:9], 0
	s_mov_b64 s[0:1], s[52:53]
	s_branch .LBB39_326
.LBB39_313:
	s_or_saveexec_b64 s[12:13], s[12:13]
                                        ; implicit-def: $sgpr14
	s_xor_b64 exec, exec, s[12:13]
	s_cbranch_execz .LBB39_82
.LBB39_314:
	s_mov_b32 s14, 0x42800000
	v_add_f32_e64 v7, |v9|, s14
	v_and_b32_e32 v7, 0xff, v7
	v_cmp_ne_u32_e32 vcc, 0, v7
	s_andn2_b64 s[10:11], s[10:11], exec
	s_and_b64 s[16:17], vcc, exec
	s_mov_b32 s14, 0
	s_or_b64 s[10:11], s[10:11], s[16:17]
	s_or_b64 exec, exec, s[12:13]
	v_mov_b32_e32 v10, s14
	s_and_saveexec_b64 s[12:13], s[10:11]
	s_cbranch_execnz .LBB39_83
	s_branch .LBB39_84
.LBB39_315:
	s_mov_b64 s[2:3], -1
                                        ; implicit-def: $vgpr1
	s_mov_b64 s[0:1], 0
.LBB39_316:
	s_and_b64 vcc, exec, s[8:9]
	s_cbranch_vccz .LBB39_432
; %bb.317:
	v_cmp_eq_u16_e32 vcc, 44, v5
	s_cbranch_vccz .LBB39_431
; %bb.318:
	global_load_ubyte v1, v[2:3], off
	s_movk_i32 s2, 0xff
	v_mov_b32_e32 v6, 0x7f800001
	v_mov_b32_e32 v7, 0x400000
	;; [unrolled: 1-line block ×3, first 2 shown]
	s_mov_b64 s[0:1], -1
	s_waitcnt vmcnt(0)
	v_lshlrev_b32_e32 v10, 23, v1
	v_cmp_ne_u32_e32 vcc, s2, v1
	v_cndmask_b32_e32 v6, v6, v10, vcc
	v_cmp_ne_u32_e32 vcc, 0, v1
	v_cndmask_b32_e32 v1, v7, v6, vcc
	v_add_u32_e32 v6, 0x7fff, v1
	v_lshrrev_b32_e32 v6, 16, v6
	v_cmp_o_f32_e32 vcc, v1, v1
	v_cndmask_b32_e32 v1, v9, v6, vcc
	s_mov_b64 s[2:3], 0
	s_branch .LBB39_432
.LBB39_319:
	s_mov_b64 s[10:11], -1
	s_mov_b64 s[8:9], 0
	s_mov_b64 s[0:1], s[52:53]
.LBB39_320:
	s_and_b64 vcc, exec, s[10:11]
	s_cbranch_vccz .LBB39_325
; %bb.321:
	v_mov_b32_e32 v6, 44
	v_cmp_eq_u16_sdwa s[10:11], s75, v6 src0_sel:BYTE_0 src1_sel:DWORD
	s_mov_b64 s[0:1], -1
	s_and_b64 vcc, exec, s[10:11]
	s_cbranch_vccz .LBB39_325
; %bb.322:
	v_and_b32_e32 v7, 0xffff, v2
	v_bfe_u32 v6, v7, 7, 8
	s_movk_i32 s0, 0xff
	v_cmp_ne_u32_e32 vcc, s0, v6
	v_mov_b32_e32 v9, 0xff
	s_and_saveexec_b64 s[8:9], vcc
; %bb.323:
	v_lshlrev_b32_e32 v10, 16, v7
	s_mov_b32 s0, 0x3f0000
	v_lshrrev_b32_e32 v9, 7, v7
	v_and_b32_e32 v7, 64, v7
	v_and_or_b32 v6, v10, s0, v6
	v_cmp_ne_u32_e32 vcc, 0, v7
	v_cmp_ne_u32_e64 s[0:1], 0, v6
	s_and_b64 s[0:1], vcc, s[0:1]
	v_cndmask_b32_e64 v6, 0, 1, s[0:1]
	v_add_u32_e32 v9, v9, v6
; %bb.324:
	s_or_b64 exec, exec, s[8:9]
	s_mov_b64 s[8:9], -1
	s_mov_b64 s[0:1], 0
	global_store_byte v[0:1], v9, off
.LBB39_325:
	s_mov_b64 s[10:11], 0
.LBB39_326:
	s_and_b64 vcc, exec, s[10:11]
	s_cbranch_vccz .LBB39_329
; %bb.327:
	v_mov_b32_e32 v6, 29
	v_cmp_eq_u16_sdwa s[10:11], s75, v6 src0_sel:BYTE_0 src1_sel:DWORD
	s_mov_b64 s[0:1], -1
	s_and_b64 vcc, exec, s[10:11]
	s_cbranch_vccz .LBB39_329
; %bb.328:
	v_lshlrev_b32_e32 v6, 16, v2
	v_trunc_f32_e32 v6, v6
	v_mul_f32_e32 v7, 0x2f800000, v6
	v_floor_f32_e32 v9, v7
	v_fmac_f32_e32 v6, 0xcf800000, v9
	v_cvt_u32_f32_e32 v7, v9
	v_cvt_u32_f32_e32 v6, v6
	s_mov_b64 s[8:9], -1
	s_mov_b64 s[0:1], 0
	s_mov_b64 s[10:11], 0
	global_store_dwordx2 v[0:1], v[6:7], off
	s_branch .LBB39_330
.LBB39_329:
	s_mov_b64 s[10:11], 0
.LBB39_330:
	s_and_b64 vcc, exec, s[10:11]
	s_cbranch_vccz .LBB39_346
; %bb.331:
	v_mov_b32_e32 v6, 27
	v_cmp_lt_i16_sdwa s[10:11], s75, v6 src0_sel:BYTE_0 src1_sel:DWORD
	s_mov_b64 s[8:9], -1
	s_and_b64 vcc, exec, s[10:11]
	s_cbranch_vccnz .LBB39_337
; %bb.332:
	v_cmp_gt_i16_sdwa s[10:11], s75, v6 src0_sel:BYTE_0 src1_sel:DWORD
	s_and_b64 vcc, exec, s[10:11]
	s_cbranch_vccz .LBB39_334
; %bb.333:
	v_lshlrev_b32_e32 v6, 16, v2
	v_cvt_u32_f32_e32 v6, v6
	s_mov_b64 s[8:9], 0
	global_store_dword v[0:1], v6, off
.LBB39_334:
	s_andn2_b64 vcc, exec, s[8:9]
	s_cbranch_vccnz .LBB39_336
; %bb.335:
	v_lshlrev_b32_e32 v6, 16, v2
	v_cvt_u32_f32_e32 v6, v6
	global_store_short v[0:1], v6, off
.LBB39_336:
	s_mov_b64 s[8:9], 0
.LBB39_337:
	s_andn2_b64 vcc, exec, s[8:9]
	s_cbranch_vccnz .LBB39_345
; %bb.338:
	v_lshlrev_b32_e32 v9, 16, v2
	v_and_b32_e32 v7, 0x7fffffff, v9
	s_mov_b32 s8, 0x43800000
	v_cmp_gt_u32_e32 vcc, s8, v7
	v_mov_b32_e32 v10, 0x80
	s_and_saveexec_b64 s[8:9], vcc
	s_cbranch_execz .LBB39_344
; %bb.339:
	s_mov_b32 s10, 0x3bffffff
	v_and_b32_e32 v6, 0xffff, v2
	v_cmp_lt_u32_e32 vcc, s10, v7
	s_mov_b64 s[10:11], 0
                                        ; implicit-def: $vgpr7
	s_and_saveexec_b64 s[12:13], vcc
	s_xor_b64 s[12:13], exec, s[12:13]
	s_cbranch_execz .LBB39_573
; %bb.340:
	v_bfe_u32 v7, v6, 4, 1
	s_mov_b32 s14, 0x487ffff
	v_add3_u32 v7, v9, v7, s14
	s_mov_b64 s[10:11], exec
	v_lshrrev_b32_e32 v7, 20, v7
                                        ; implicit-def: $vgpr9
	s_or_saveexec_b64 s[12:13], s[12:13]
                                        ; implicit-def: $sgpr14
	s_xor_b64 exec, exec, s[12:13]
	s_cbranch_execnz .LBB39_574
.LBB39_341:
	s_or_b64 exec, exec, s[12:13]
	v_mov_b32_e32 v10, s14
	s_and_saveexec_b64 s[12:13], s[10:11]
.LBB39_342:
	v_lshrrev_b32_e32 v6, 8, v6
	s_movk_i32 s10, 0x80
	v_and_or_b32 v10, v6, s10, v7
.LBB39_343:
	s_or_b64 exec, exec, s[12:13]
.LBB39_344:
	s_or_b64 exec, exec, s[8:9]
	global_store_byte v[0:1], v10, off
.LBB39_345:
	s_mov_b64 s[8:9], -1
.LBB39_346:
	s_mov_b64 s[10:11], 0
.LBB39_347:
	s_and_b64 vcc, exec, s[10:11]
	s_cbranch_vccz .LBB39_388
; %bb.348:
	v_mov_b32_e32 v6, 22
	v_cmp_gt_i16_sdwa s[12:13], s75, v6 src0_sel:BYTE_0 src1_sel:DWORD
	s_mov_b64 s[10:11], -1
	s_and_b64 vcc, exec, s[12:13]
	s_cbranch_vccz .LBB39_380
; %bb.349:
	v_mov_b32_e32 v6, 24
	v_cmp_lt_i16_sdwa s[10:11], s75, v6 src0_sel:BYTE_0 src1_sel:DWORD
	s_mov_b64 s[8:9], -1
	s_and_b64 vcc, exec, s[10:11]
	s_cbranch_vccnz .LBB39_369
; %bb.350:
	v_cmp_gt_i16_sdwa s[10:11], s75, v6 src0_sel:BYTE_0 src1_sel:DWORD
	s_and_b64 vcc, exec, s[10:11]
	s_cbranch_vccz .LBB39_358
; %bb.351:
	v_lshlrev_b32_e32 v9, 16, v2
	v_and_b32_e32 v7, 0x7fffffff, v9
	s_mov_b32 s8, 0x47800000
	v_cmp_gt_u32_e32 vcc, s8, v7
	v_mov_b32_e32 v10, 0x80
	s_and_saveexec_b64 s[8:9], vcc
	s_cbranch_execz .LBB39_357
; %bb.352:
	s_mov_b32 s10, 0x37ffffff
	v_and_b32_e32 v6, 0xffff, v2
	v_cmp_lt_u32_e32 vcc, s10, v7
	s_mov_b64 s[10:11], 0
                                        ; implicit-def: $vgpr7
	s_and_saveexec_b64 s[12:13], vcc
	s_xor_b64 s[12:13], exec, s[12:13]
	s_cbranch_execz .LBB39_576
; %bb.353:
	v_bfe_u32 v7, v6, 5, 1
	s_mov_b32 s14, 0x88fffff
	v_add3_u32 v7, v9, v7, s14
	s_mov_b64 s[10:11], exec
	v_lshrrev_b32_e32 v7, 21, v7
                                        ; implicit-def: $vgpr9
	s_or_saveexec_b64 s[12:13], s[12:13]
                                        ; implicit-def: $sgpr14
	s_xor_b64 exec, exec, s[12:13]
	s_cbranch_execnz .LBB39_577
.LBB39_354:
	s_or_b64 exec, exec, s[12:13]
	v_mov_b32_e32 v10, s14
	s_and_saveexec_b64 s[12:13], s[10:11]
.LBB39_355:
	v_lshrrev_b32_e32 v6, 8, v6
	s_movk_i32 s10, 0x80
	v_and_or_b32 v10, v6, s10, v7
.LBB39_356:
	s_or_b64 exec, exec, s[12:13]
.LBB39_357:
	s_or_b64 exec, exec, s[8:9]
	s_mov_b64 s[8:9], 0
	global_store_byte v[0:1], v10, off
.LBB39_358:
	s_and_b64 vcc, exec, s[8:9]
	s_cbranch_vccz .LBB39_368
; %bb.359:
	v_lshlrev_b32_e32 v9, 16, v2
	v_and_b32_e32 v10, 0x7fffffff, v9
	s_mov_b32 s8, 0x43f00000
	v_and_b32_e32 v6, 0xffff, v2
	v_cmp_gt_u32_e32 vcc, s8, v10
                                        ; implicit-def: $vgpr7
	s_and_saveexec_b64 s[8:9], vcc
	s_xor_b64 s[8:9], exec, s[8:9]
	s_cbranch_execz .LBB39_365
; %bb.360:
	s_mov_b32 s10, 0x3c7fffff
	v_cmp_lt_u32_e32 vcc, s10, v10
                                        ; implicit-def: $vgpr7
	s_and_saveexec_b64 s[10:11], vcc
	s_xor_b64 s[10:11], exec, s[10:11]
; %bb.361:
	v_bfe_u32 v7, v6, 4, 1
	s_mov_b32 s12, 0x407ffff
	v_add3_u32 v7, v9, v7, s12
	v_lshrrev_b32_e32 v9, 20, v7
	v_and_b32_e32 v7, 0xff00000, v7
	s_mov_b32 s12, 0x7f00000
	v_mov_b32_e32 v10, 0x7e
	v_cmp_ne_u32_e32 vcc, s12, v7
	v_cndmask_b32_e32 v7, v10, v9, vcc
                                        ; implicit-def: $vgpr9
; %bb.362:
	s_andn2_saveexec_b64 s[10:11], s[10:11]
; %bb.363:
	s_mov_b32 s12, 0x46800000
	v_add_f32_e64 v7, |v9|, s12
; %bb.364:
	s_or_b64 exec, exec, s[10:11]
                                        ; implicit-def: $vgpr10
.LBB39_365:
	s_andn2_saveexec_b64 s[8:9], s[8:9]
; %bb.366:
	s_mov_b32 s10, 0x7f800000
	v_mov_b32_e32 v7, 0x7e
	v_mov_b32_e32 v9, 0x7f
	v_cmp_lt_u32_e32 vcc, s10, v10
	v_cndmask_b32_e32 v7, v7, v9, vcc
; %bb.367:
	s_or_b64 exec, exec, s[8:9]
	v_lshrrev_b32_e32 v6, 8, v6
	s_movk_i32 s8, 0x80
	v_and_or_b32 v6, v6, s8, v7
	global_store_byte v[0:1], v6, off
.LBB39_368:
	s_mov_b64 s[8:9], 0
.LBB39_369:
	s_andn2_b64 vcc, exec, s[8:9]
	s_cbranch_vccnz .LBB39_379
; %bb.370:
	v_lshlrev_b32_e32 v9, 16, v2
	v_and_b32_e32 v10, 0x7fffffff, v9
	s_mov_b32 s8, 0x47800000
	v_and_b32_e32 v6, 0xffff, v2
	v_cmp_gt_u32_e32 vcc, s8, v10
                                        ; implicit-def: $vgpr7
	s_and_saveexec_b64 s[8:9], vcc
	s_xor_b64 s[8:9], exec, s[8:9]
	s_cbranch_execz .LBB39_376
; %bb.371:
	s_mov_b32 s10, 0x387fffff
	v_cmp_lt_u32_e32 vcc, s10, v10
                                        ; implicit-def: $vgpr7
	s_and_saveexec_b64 s[10:11], vcc
	s_xor_b64 s[10:11], exec, s[10:11]
; %bb.372:
	v_bfe_u32 v7, v6, 5, 1
	s_mov_b32 s12, 0x80fffff
	v_add3_u32 v7, v9, v7, s12
	v_lshrrev_b32_e32 v7, 21, v7
                                        ; implicit-def: $vgpr9
; %bb.373:
	s_andn2_saveexec_b64 s[10:11], s[10:11]
; %bb.374:
	s_mov_b32 s12, 0x43000000
	v_add_f32_e64 v7, |v9|, s12
; %bb.375:
	s_or_b64 exec, exec, s[10:11]
                                        ; implicit-def: $vgpr10
.LBB39_376:
	s_andn2_saveexec_b64 s[8:9], s[8:9]
; %bb.377:
	s_mov_b32 s10, 0x7f800000
	v_mov_b32_e32 v7, 0x7c
	v_mov_b32_e32 v9, 0x7f
	v_cmp_lt_u32_e32 vcc, s10, v10
	v_cndmask_b32_e32 v7, v7, v9, vcc
; %bb.378:
	s_or_b64 exec, exec, s[8:9]
	v_lshrrev_b32_e32 v6, 8, v6
	s_movk_i32 s8, 0x80
	v_and_or_b32 v6, v6, s8, v7
	global_store_byte v[0:1], v6, off
.LBB39_379:
	s_mov_b64 s[10:11], 0
	s_mov_b64 s[8:9], -1
.LBB39_380:
	s_andn2_b64 vcc, exec, s[10:11]
	s_cbranch_vccnz .LBB39_388
; %bb.381:
	v_mov_b32_e32 v6, 14
	v_cmp_gt_i16_sdwa s[12:13], s75, v6 src0_sel:BYTE_0 src1_sel:DWORD
	s_mov_b64 s[10:11], -1
	s_and_b64 vcc, exec, s[12:13]
	s_cbranch_vccz .LBB39_385
; %bb.382:
	v_mov_b32_e32 v6, 15
	v_cmp_eq_u16_sdwa s[10:11], s75, v6 src0_sel:BYTE_0 src1_sel:DWORD
	s_mov_b64 s[0:1], -1
	s_and_b64 vcc, exec, s[10:11]
	s_cbranch_vccz .LBB39_384
; %bb.383:
	global_store_short v[0:1], v2, off
	s_mov_b64 s[8:9], -1
	s_mov_b64 s[0:1], 0
.LBB39_384:
	s_mov_b64 s[10:11], 0
.LBB39_385:
	s_and_b64 vcc, exec, s[10:11]
	s_cbranch_vccz .LBB39_388
; %bb.386:
	v_mov_b32_e32 v6, 11
	v_cmp_eq_u16_sdwa s[10:11], s75, v6 src0_sel:BYTE_0 src1_sel:DWORD
	s_mov_b64 s[0:1], -1
	s_and_b64 vcc, exec, s[10:11]
	s_cbranch_vccz .LBB39_388
; %bb.387:
	v_cmp_ne_u16_e32 vcc, 0, v3
	v_cndmask_b32_e64 v3, 0, 1, vcc
	s_mov_b64 s[8:9], -1
	s_mov_b64 s[0:1], 0
	global_store_byte v[0:1], v3, off
.LBB39_388:
	s_mov_b64 s[10:11], 0
.LBB39_389:
	s_and_b64 vcc, exec, s[10:11]
	s_cbranch_vccz .LBB39_428
; %bb.390:
	v_mov_b32_e32 v3, 5
	v_cmp_lt_i16_sdwa s[10:11], s75, v3 src0_sel:BYTE_0 src1_sel:DWORD
	s_mov_b64 s[8:9], -1
	s_and_b64 vcc, exec, s[10:11]
	s_cbranch_vccnz .LBB39_411
; %bb.391:
	v_mov_b32_e32 v3, 8
	v_cmp_lt_i16_sdwa s[10:11], s75, v3 src0_sel:BYTE_0 src1_sel:DWORD
	s_and_b64 vcc, exec, s[10:11]
	s_cbranch_vccnz .LBB39_401
; %bb.392:
	v_mov_b32_e32 v3, 9
	v_cmp_lt_i16_sdwa s[10:11], s75, v3 src0_sel:BYTE_0 src1_sel:DWORD
	s_and_b64 vcc, exec, s[10:11]
	s_cbranch_vccnz .LBB39_398
; %bb.393:
	v_cmp_gt_i16_sdwa s[10:11], s75, v3 src0_sel:BYTE_0 src1_sel:DWORD
	s_and_b64 vcc, exec, s[10:11]
	s_cbranch_vccz .LBB39_395
; %bb.394:
	v_lshlrev_b32_e32 v3, 16, v2
	v_mov_b32_e32 v12, 0
	v_cvt_f64_f32_e32 v[10:11], v3
	v_mov_b32_e32 v13, v12
	s_mov_b64 s[8:9], 0
	global_store_dwordx4 v[0:1], v[10:13], off
.LBB39_395:
	s_andn2_b64 vcc, exec, s[8:9]
	s_cbranch_vccnz .LBB39_397
; %bb.396:
	v_lshlrev_b32_e32 v6, 16, v2
	v_mov_b32_e32 v7, 0
	global_store_dwordx2 v[0:1], v[6:7], off
.LBB39_397:
	s_mov_b64 s[8:9], 0
.LBB39_398:
	s_andn2_b64 vcc, exec, s[8:9]
	s_cbranch_vccnz .LBB39_400
; %bb.399:
	v_lshlrev_b32_e32 v3, 16, v2
	v_cvt_f16_f32_e32 v3, v3
	global_store_dword v[0:1], v3, off
.LBB39_400:
	s_mov_b64 s[8:9], 0
.LBB39_401:
	s_andn2_b64 vcc, exec, s[8:9]
	s_cbranch_vccnz .LBB39_410
; %bb.402:
	v_mov_b32_e32 v3, 6
	v_cmp_lt_i16_sdwa s[10:11], s75, v3 src0_sel:BYTE_0 src1_sel:DWORD
	s_mov_b64 s[8:9], -1
	s_and_b64 vcc, exec, s[10:11]
	s_cbranch_vccnz .LBB39_408
; %bb.403:
	v_cmp_gt_i16_sdwa s[10:11], s75, v3 src0_sel:BYTE_0 src1_sel:DWORD
	s_and_b64 vcc, exec, s[10:11]
	s_cbranch_vccz .LBB39_405
; %bb.404:
	v_lshlrev_b32_e32 v3, 16, v2
	v_cvt_f64_f32_e32 v[6:7], v3
	s_mov_b64 s[8:9], 0
	global_store_dwordx2 v[0:1], v[6:7], off
.LBB39_405:
	s_andn2_b64 vcc, exec, s[8:9]
	s_cbranch_vccnz .LBB39_407
; %bb.406:
	v_lshlrev_b32_e32 v3, 16, v2
	global_store_dword v[0:1], v3, off
.LBB39_407:
	s_mov_b64 s[8:9], 0
.LBB39_408:
	s_andn2_b64 vcc, exec, s[8:9]
	s_cbranch_vccnz .LBB39_410
; %bb.409:
	v_lshlrev_b32_e32 v3, 16, v2
	v_cvt_f16_f32_e32 v3, v3
	global_store_short v[0:1], v3, off
.LBB39_410:
	s_mov_b64 s[8:9], 0
.LBB39_411:
	s_andn2_b64 vcc, exec, s[8:9]
	s_cbranch_vccnz .LBB39_427
; %bb.412:
	v_mov_b32_e32 v3, 2
	v_cmp_lt_i16_sdwa s[10:11], s75, v3 src0_sel:BYTE_0 src1_sel:DWORD
	s_mov_b64 s[8:9], -1
	s_and_b64 vcc, exec, s[10:11]
	s_cbranch_vccnz .LBB39_422
; %bb.413:
	v_mov_b32_e32 v3, 3
	v_cmp_lt_i16_sdwa s[10:11], s75, v3 src0_sel:BYTE_0 src1_sel:DWORD
	s_and_b64 vcc, exec, s[10:11]
	s_cbranch_vccnz .LBB39_419
; %bb.414:
	v_cmp_gt_i16_sdwa s[10:11], s75, v3 src0_sel:BYTE_0 src1_sel:DWORD
	s_and_b64 vcc, exec, s[10:11]
	s_cbranch_vccz .LBB39_416
; %bb.415:
	v_lshlrev_b32_e32 v3, 16, v2
	v_trunc_f32_e32 v3, v3
	s_mov_b32 s8, 0x2f800000
	v_mul_f32_e64 v6, |v3|, s8
	v_floor_f32_e32 v6, v6
	s_mov_b32 s8, 0xcf800000
	v_cvt_u32_f32_e32 v7, v6
	v_fma_f32 v6, v6, s8, |v3|
	v_cvt_u32_f32_e32 v6, v6
	v_ashrrev_i32_e32 v3, 31, v3
	v_xor_b32_e32 v7, v7, v3
	s_mov_b64 s[8:9], 0
	v_xor_b32_e32 v6, v6, v3
	v_sub_co_u32_e32 v6, vcc, v6, v3
	v_subb_co_u32_e32 v7, vcc, v7, v3, vcc
	global_store_dwordx2 v[0:1], v[6:7], off
.LBB39_416:
	s_andn2_b64 vcc, exec, s[8:9]
	s_cbranch_vccnz .LBB39_418
; %bb.417:
	v_lshlrev_b32_e32 v3, 16, v2
	v_cvt_i32_f32_e32 v3, v3
	global_store_dword v[0:1], v3, off
.LBB39_418:
	s_mov_b64 s[8:9], 0
.LBB39_419:
	s_andn2_b64 vcc, exec, s[8:9]
	s_cbranch_vccnz .LBB39_421
; %bb.420:
	v_lshlrev_b32_e32 v3, 16, v2
	v_cvt_i32_f32_e32 v3, v3
	global_store_short v[0:1], v3, off
.LBB39_421:
	s_mov_b64 s[8:9], 0
.LBB39_422:
	s_andn2_b64 vcc, exec, s[8:9]
	s_cbranch_vccnz .LBB39_427
; %bb.423:
	v_mov_b32_e32 v3, 0
	v_cmp_gt_i16_sdwa s[10:11], s75, v3 src0_sel:BYTE_0 src1_sel:DWORD
	s_mov_b64 s[8:9], -1
	s_and_b64 vcc, exec, s[10:11]
	v_lshlrev_b32_e32 v2, 16, v2
	s_cbranch_vccz .LBB39_425
; %bb.424:
	v_cvt_i32_f32_e32 v3, v2
	s_mov_b64 s[8:9], 0
	global_store_byte v[0:1], v3, off
.LBB39_425:
	s_andn2_b64 vcc, exec, s[8:9]
	s_cbranch_vccnz .LBB39_427
; %bb.426:
	v_trunc_f32_e32 v2, v2
	s_mov_b32 s8, 0x2f800000
	v_mul_f32_e64 v3, |v2|, s8
	v_floor_f32_e32 v3, v3
	s_mov_b32 s8, 0xcf800000
	v_fma_f32 v3, v3, s8, |v2|
	v_cvt_u32_f32_e32 v3, v3
	v_ashrrev_i32_e32 v2, 31, v2
	v_xor_b32_e32 v3, v3, v2
	v_sub_u32_e32 v2, v3, v2
	global_store_byte v[0:1], v2, off
.LBB39_427:
	s_mov_b64 s[8:9], -1
.LBB39_428:
	s_andn2_b64 vcc, exec, s[8:9]
	s_cbranch_vccnz .LBB39_430
; %bb.429:
	v_add_u32_e32 v8, 0x80, v8
	s_mov_b64 s[8:9], -1
	s_branch .LBB39_543
.LBB39_430:
	s_mov_b64 s[8:9], 0
	s_branch .LBB39_542
.LBB39_431:
	s_mov_b64 s[2:3], -1
                                        ; implicit-def: $vgpr1
.LBB39_432:
	s_mov_b64 s[8:9], 0
.LBB39_433:
	s_and_b64 vcc, exec, s[8:9]
	s_cbranch_vccz .LBB39_437
; %bb.434:
	v_cmp_eq_u16_e32 vcc, 29, v5
	s_cbranch_vccz .LBB39_436
; %bb.435:
	global_load_dwordx2 v[6:7], v[2:3], off
	s_movk_i32 s2, 0x7fff
	s_mov_b64 s[0:1], -1
	s_mov_b64 s[8:9], 0
	s_waitcnt vmcnt(0)
	v_ffbh_u32_e32 v1, v7
	v_min_u32_e32 v1, 32, v1
	v_lshlrev_b64 v[6:7], v1, v[6:7]
	v_min_u32_e32 v6, 1, v6
	v_or_b32_e32 v6, v7, v6
	v_cvt_f32_u32_e32 v6, v6
	v_sub_u32_e32 v1, 32, v1
	v_ldexp_f32 v1, v6, v1
	v_bfe_u32 v6, v1, 16, 1
	v_add3_u32 v1, v1, v6, s2
	v_lshrrev_b32_e32 v1, 16, v1
	s_mov_b64 s[2:3], 0
	s_branch .LBB39_438
.LBB39_436:
	s_mov_b64 s[2:3], -1
                                        ; implicit-def: $vgpr1
.LBB39_437:
	s_mov_b64 s[8:9], 0
.LBB39_438:
	s_and_b64 vcc, exec, s[8:9]
	s_cbranch_vccz .LBB39_456
; %bb.439:
	v_cmp_gt_i16_e32 vcc, 27, v5
	s_cbranch_vccnz .LBB39_442
; %bb.440:
	v_cmp_lt_i16_e32 vcc, 27, v5
	s_cbranch_vccz .LBB39_443
; %bb.441:
	global_load_dword v1, v[2:3], off
	s_movk_i32 s0, 0x7fff
	s_waitcnt vmcnt(0)
	v_cvt_f32_u32_e32 v1, v1
	v_bfe_u32 v6, v1, 16, 1
	v_add3_u32 v1, v1, v6, s0
	v_lshrrev_b32_e32 v1, 16, v1
	s_mov_b64 s[0:1], 0
	s_branch .LBB39_444
.LBB39_442:
	s_mov_b64 s[0:1], -1
                                        ; implicit-def: $vgpr1
	s_branch .LBB39_447
.LBB39_443:
	s_mov_b64 s[0:1], -1
                                        ; implicit-def: $vgpr1
.LBB39_444:
	s_andn2_b64 vcc, exec, s[0:1]
	s_cbranch_vccnz .LBB39_446
; %bb.445:
	global_load_ushort v1, v[2:3], off
	s_movk_i32 s0, 0x7fff
	s_waitcnt vmcnt(0)
	v_cvt_f32_u32_e32 v1, v1
	v_bfe_u32 v6, v1, 16, 1
	v_add3_u32 v1, v1, v6, s0
	v_lshrrev_b32_e32 v1, 16, v1
.LBB39_446:
	s_mov_b64 s[0:1], 0
.LBB39_447:
	s_andn2_b64 vcc, exec, s[0:1]
	s_cbranch_vccnz .LBB39_455
; %bb.448:
	global_load_ubyte v1, v[2:3], off
	s_movk_i32 s0, 0x7f
                                        ; implicit-def: $sgpr12
	s_waitcnt vmcnt(0)
	v_cmp_lt_i16_e32 vcc, s0, v1
	s_mov_b64 s[0:1], 0
	s_and_saveexec_b64 s[8:9], vcc
	s_xor_b64 s[8:9], exec, s[8:9]
	s_cbranch_execz .LBB39_469
; %bb.449:
	s_movk_i32 s0, 0x80
	v_cmp_eq_u16_e32 vcc, s0, v1
	s_mov_b64 s[0:1], -1
                                        ; implicit-def: $sgpr12
	s_and_saveexec_b64 s[10:11], vcc
; %bb.450:
	s_mov_b32 s12, 0x7f800001
	s_xor_b64 s[0:1], exec, -1
; %bb.451:
	s_or_b64 exec, exec, s[10:11]
	s_and_b64 s[0:1], s[0:1], exec
	s_or_saveexec_b64 s[8:9], s[8:9]
	v_mov_b32_e32 v6, s12
	s_xor_b64 exec, exec, s[8:9]
	s_cbranch_execnz .LBB39_470
.LBB39_452:
	s_or_b64 exec, exec, s[8:9]
	s_and_saveexec_b64 s[8:9], s[0:1]
	s_cbranch_execz .LBB39_454
.LBB39_453:
	v_lshlrev_b32_e32 v6, 24, v1
	v_and_b32_e32 v1, 0xffff, v1
	v_and_b32_e32 v7, 7, v1
	v_ffbh_u32_e32 v10, v7
	v_min_u32_e32 v10, 32, v10
	v_subrev_u32_e32 v11, 28, v10
	v_bfe_u32 v9, v1, 3, 4
	v_lshlrev_b32_e32 v1, v11, v1
	v_sub_u32_e32 v10, 29, v10
	v_and_b32_e32 v1, 7, v1
	v_cmp_eq_u32_e32 vcc, 0, v9
	v_cndmask_b32_e32 v9, v9, v10, vcc
	v_cndmask_b32_e32 v1, v7, v1, vcc
	v_mov_b32_e32 v7, 0x3b800000
	v_lshlrev_b32_e32 v1, 20, v1
	v_and_b32_e32 v6, 0x80000000, v6
	v_lshl_add_u32 v7, v9, 23, v7
	v_or3_b32 v6, v6, v7, v1
.LBB39_454:
	s_or_b64 exec, exec, s[8:9]
	v_bfe_u32 v1, v6, 16, 1
	s_movk_i32 s0, 0x7fff
	v_add3_u32 v1, v6, v1, s0
	v_lshrrev_b32_e32 v1, 16, v1
	v_mov_b32_e32 v7, 0x7fc0
	v_cmp_o_f32_e32 vcc, v6, v6
	v_cndmask_b32_e32 v1, v7, v1, vcc
.LBB39_455:
	s_mov_b64 s[0:1], -1
.LBB39_456:
	s_mov_b64 s[8:9], 0
.LBB39_457:
	s_and_b64 vcc, exec, s[8:9]
	s_cbranch_vccz .LBB39_492
; %bb.458:
	v_cmp_lt_i16_e32 vcc, 22, v5
	s_cbranch_vccz .LBB39_468
; %bb.459:
	v_cmp_gt_i16_e32 vcc, 24, v5
	s_cbranch_vccnz .LBB39_471
; %bb.460:
	v_cmp_lt_i16_e32 vcc, 24, v5
	s_cbranch_vccz .LBB39_472
; %bb.461:
	global_load_ubyte v1, v[2:3], off
	s_movk_i32 s0, 0x7f
                                        ; implicit-def: $sgpr12
	s_waitcnt vmcnt(0)
	v_cmp_lt_i16_e32 vcc, s0, v1
	s_mov_b64 s[0:1], 0
	s_and_saveexec_b64 s[8:9], vcc
	s_xor_b64 s[8:9], exec, s[8:9]
	s_cbranch_execz .LBB39_484
; %bb.462:
	s_movk_i32 s0, 0x80
	v_cmp_eq_u16_e32 vcc, s0, v1
	s_mov_b64 s[0:1], -1
                                        ; implicit-def: $sgpr12
	s_and_saveexec_b64 s[10:11], vcc
; %bb.463:
	s_mov_b32 s12, 0x7f800001
	s_xor_b64 s[0:1], exec, -1
; %bb.464:
	s_or_b64 exec, exec, s[10:11]
	s_and_b64 s[0:1], s[0:1], exec
	s_or_saveexec_b64 s[8:9], s[8:9]
	v_mov_b32_e32 v6, s12
	s_xor_b64 exec, exec, s[8:9]
	s_cbranch_execnz .LBB39_485
.LBB39_465:
	s_or_b64 exec, exec, s[8:9]
	s_and_saveexec_b64 s[8:9], s[0:1]
	s_cbranch_execz .LBB39_467
.LBB39_466:
	v_lshlrev_b32_e32 v6, 24, v1
	v_and_b32_e32 v1, 0xffff, v1
	v_and_b32_e32 v7, 3, v1
	v_ffbh_u32_e32 v10, v7
	v_min_u32_e32 v10, 32, v10
	v_subrev_u32_e32 v11, 29, v10
	v_bfe_u32 v9, v1, 2, 5
	v_lshlrev_b32_e32 v1, v11, v1
	v_sub_u32_e32 v10, 30, v10
	v_and_b32_e32 v1, 3, v1
	v_cmp_eq_u32_e32 vcc, 0, v9
	v_cndmask_b32_e32 v9, v9, v10, vcc
	v_cndmask_b32_e32 v1, v7, v1, vcc
	v_mov_b32_e32 v7, 0x37800000
	v_lshlrev_b32_e32 v1, 21, v1
	v_and_b32_e32 v6, 0x80000000, v6
	v_lshl_add_u32 v7, v9, 23, v7
	v_or3_b32 v6, v6, v7, v1
.LBB39_467:
	s_or_b64 exec, exec, s[8:9]
	v_bfe_u32 v1, v6, 16, 1
	s_movk_i32 s0, 0x7fff
	v_add3_u32 v1, v6, v1, s0
	v_lshrrev_b32_e32 v1, 16, v1
	v_mov_b32_e32 v7, 0x7fc0
	v_cmp_o_f32_e32 vcc, v6, v6
	v_cndmask_b32_e32 v1, v7, v1, vcc
	s_mov_b64 s[0:1], 0
	s_branch .LBB39_473
.LBB39_468:
	s_mov_b64 s[8:9], -1
                                        ; implicit-def: $vgpr1
	s_branch .LBB39_479
.LBB39_469:
	s_or_saveexec_b64 s[8:9], s[8:9]
	v_mov_b32_e32 v6, s12
	s_xor_b64 exec, exec, s[8:9]
	s_cbranch_execz .LBB39_452
.LBB39_470:
	v_cmp_ne_u16_e32 vcc, 0, v1
	s_andn2_b64 s[0:1], s[0:1], exec
	s_and_b64 s[10:11], vcc, exec
	v_mov_b32_e32 v6, 0
	s_or_b64 s[0:1], s[0:1], s[10:11]
	s_or_b64 exec, exec, s[8:9]
	s_and_saveexec_b64 s[8:9], s[0:1]
	s_cbranch_execnz .LBB39_453
	s_branch .LBB39_454
.LBB39_471:
	s_mov_b64 s[0:1], -1
                                        ; implicit-def: $vgpr1
	s_branch .LBB39_476
.LBB39_472:
	s_mov_b64 s[0:1], -1
                                        ; implicit-def: $vgpr1
.LBB39_473:
	s_and_b64 vcc, exec, s[0:1]
	s_cbranch_vccz .LBB39_475
; %bb.474:
	global_load_ubyte v1, v[2:3], off
	s_mov_b32 s0, 0x7f800000
	s_brev_b32 s1, 1
	s_movk_i32 s8, 0x7fff
	v_mov_b32_e32 v6, 0x7fc0
	s_waitcnt vmcnt(0)
	v_lshlrev_b32_e32 v1, 24, v1
	v_and_b32_e32 v7, 0x7f000000, v1
	v_ffbh_u32_e32 v9, v7
	v_min_u32_e32 v9, 32, v9
	v_sub_u32_e64 v9, v9, 4 clamp
	v_lshlrev_b32_e32 v11, v9, v7
	v_lshlrev_b32_e32 v9, 23, v9
	v_lshrrev_b32_e32 v11, 4, v11
	v_add_u32_e32 v10, 0x1000000, v7
	v_sub_u32_e32 v9, v11, v9
	v_ashrrev_i32_e32 v10, 8, v10
	v_add_u32_e32 v9, 0x3c000000, v9
	v_and_or_b32 v9, v10, s0, v9
	v_cmp_ne_u32_e32 vcc, 0, v7
	v_cndmask_b32_e32 v7, 0, v9, vcc
	v_and_or_b32 v1, v1, s1, v7
	v_bfe_u32 v7, v7, 16, 1
	v_add3_u32 v7, v1, v7, s8
	v_lshrrev_b32_e32 v7, 16, v7
	v_cmp_o_f32_e32 vcc, v1, v1
	v_cndmask_b32_e32 v1, v6, v7, vcc
.LBB39_475:
	s_mov_b64 s[0:1], 0
.LBB39_476:
	s_andn2_b64 vcc, exec, s[0:1]
	s_cbranch_vccnz .LBB39_478
; %bb.477:
	global_load_ubyte v1, v[2:3], off
	s_movk_i32 s0, 0x7f00
	s_brev_b32 s1, 16
	s_brev_b32 s8, 1
	s_movk_i32 s9, 0x7fff
	v_mov_b32_e32 v6, 0x7fc0
	s_waitcnt vmcnt(0)
	v_lshlrev_b16_e32 v7, 8, v1
	v_lshlrev_b32_e32 v1, 25, v1
	v_lshrrev_b32_e32 v9, 4, v1
	v_and_or_b32 v10, v7, s0, 0.5
	v_or_b32_e32 v9, 0x70000000, v9
	v_add_f32_e32 v10, -0.5, v10
	v_mul_f32_e32 v9, 0x7800000, v9
	v_cmp_gt_u32_e32 vcc, s1, v1
	v_bfe_i32 v7, v7, 0, 16
	v_cndmask_b32_e32 v1, v9, v10, vcc
	v_and_or_b32 v7, v7, s8, v1
	v_bfe_u32 v1, v1, 16, 1
	v_add3_u32 v1, v7, v1, s9
	v_lshrrev_b32_e32 v1, 16, v1
	v_cmp_o_f32_e32 vcc, v7, v7
	v_cndmask_b32_e32 v1, v6, v1, vcc
.LBB39_478:
	s_mov_b64 s[8:9], 0
	s_mov_b64 s[0:1], -1
.LBB39_479:
	s_andn2_b64 vcc, exec, s[8:9]
	s_cbranch_vccnz .LBB39_492
; %bb.480:
	v_cmp_lt_i16_e32 vcc, 14, v5
	s_cbranch_vccz .LBB39_483
; %bb.481:
	v_cmp_eq_u16_e32 vcc, 15, v5
	s_cbranch_vccz .LBB39_486
; %bb.482:
	global_load_ushort v1, v[2:3], off
	s_mov_b64 s[0:1], -1
	s_mov_b64 s[2:3], 0
	s_branch .LBB39_487
.LBB39_483:
	s_mov_b64 s[8:9], -1
                                        ; implicit-def: $vgpr1
	s_branch .LBB39_488
.LBB39_484:
	s_or_saveexec_b64 s[8:9], s[8:9]
	v_mov_b32_e32 v6, s12
	s_xor_b64 exec, exec, s[8:9]
	s_cbranch_execz .LBB39_465
.LBB39_485:
	v_cmp_ne_u16_e32 vcc, 0, v1
	s_andn2_b64 s[0:1], s[0:1], exec
	s_and_b64 s[10:11], vcc, exec
	v_mov_b32_e32 v6, 0
	s_or_b64 s[0:1], s[0:1], s[10:11]
	s_or_b64 exec, exec, s[8:9]
	s_and_saveexec_b64 s[8:9], s[0:1]
	s_cbranch_execnz .LBB39_466
	s_branch .LBB39_467
.LBB39_486:
	s_mov_b64 s[2:3], -1
                                        ; implicit-def: $vgpr1
.LBB39_487:
	s_mov_b64 s[8:9], 0
.LBB39_488:
	s_and_b64 vcc, exec, s[8:9]
	s_cbranch_vccz .LBB39_492
; %bb.489:
	v_cmp_eq_u16_e32 vcc, 11, v5
	s_cbranch_vccz .LBB39_491
; %bb.490:
	global_load_ubyte v1, v[2:3], off
	s_mov_b64 s[0:1], -1
	s_mov_b64 s[2:3], 0
	s_waitcnt vmcnt(0)
	v_cmp_ne_u16_e32 vcc, 0, v1
	v_cndmask_b32_e64 v1, 0, 1.0, vcc
	v_lshrrev_b32_e32 v1, 16, v1
	s_branch .LBB39_492
.LBB39_491:
	s_mov_b64 s[2:3], -1
                                        ; implicit-def: $vgpr1
.LBB39_492:
	s_branch .LBB39_295
.LBB39_493:
	v_cmp_gt_i16_e32 vcc, 5, v5
	s_cbranch_vccnz .LBB39_498
; %bb.494:
	v_cmp_gt_i16_e32 vcc, 8, v5
	s_cbranch_vccnz .LBB39_499
; %bb.495:
	;; [unrolled: 3-line block ×3, first 2 shown]
	v_cmp_lt_i16_e32 vcc, 9, v5
	s_cbranch_vccz .LBB39_501
; %bb.497:
	global_load_dwordx2 v[6:7], v[2:3], off
	s_movk_i32 s0, 0x7fff
	s_waitcnt vmcnt(1)
	v_mov_b32_e32 v1, 0x7fc0
	s_waitcnt vmcnt(0)
	v_cvt_f32_f64_e32 v6, v[6:7]
	v_bfe_u32 v7, v6, 16, 1
	v_add3_u32 v7, v6, v7, s0
	v_lshrrev_b32_e32 v7, 16, v7
	v_cmp_o_f32_e32 vcc, v6, v6
	v_cndmask_b32_e32 v1, v1, v7, vcc
	s_mov_b64 s[0:1], 0
	s_branch .LBB39_502
.LBB39_498:
	s_mov_b64 s[0:1], -1
                                        ; implicit-def: $vgpr1
	s_branch .LBB39_520
.LBB39_499:
	s_mov_b64 s[0:1], -1
                                        ; implicit-def: $vgpr1
	s_branch .LBB39_508
.LBB39_500:
	s_mov_b64 s[0:1], -1
                                        ; implicit-def: $vgpr1
	s_branch .LBB39_505
.LBB39_501:
	s_mov_b64 s[0:1], -1
                                        ; implicit-def: $vgpr1
.LBB39_502:
	s_andn2_b64 vcc, exec, s[0:1]
	s_cbranch_vccnz .LBB39_504
; %bb.503:
	global_load_dword v1, v[2:3], off
	s_movk_i32 s0, 0x7fff
	v_mov_b32_e32 v6, 0x7fc0
	s_waitcnt vmcnt(0)
	v_bfe_u32 v7, v1, 16, 1
	v_add3_u32 v7, v1, v7, s0
	v_lshrrev_b32_e32 v7, 16, v7
	v_cmp_o_f32_e32 vcc, v1, v1
	v_cndmask_b32_e32 v1, v6, v7, vcc
.LBB39_504:
	s_mov_b64 s[0:1], 0
.LBB39_505:
	s_andn2_b64 vcc, exec, s[0:1]
	s_cbranch_vccnz .LBB39_507
; %bb.506:
	global_load_dword v1, v[2:3], off
	s_movk_i32 s0, 0x7fff
	v_mov_b32_e32 v7, 0x7fc0
	s_waitcnt vmcnt(0)
	v_cvt_f32_f16_e32 v6, v1
	v_cmp_o_f16_e32 vcc, v1, v1
	v_bfe_u32 v9, v6, 16, 1
	v_add3_u32 v6, v6, v9, s0
	v_lshrrev_b32_e32 v6, 16, v6
	v_cndmask_b32_e32 v1, v7, v6, vcc
.LBB39_507:
	s_mov_b64 s[0:1], 0
.LBB39_508:
	s_andn2_b64 vcc, exec, s[0:1]
	s_cbranch_vccnz .LBB39_519
; %bb.509:
	v_cmp_gt_i16_e32 vcc, 6, v5
	s_cbranch_vccnz .LBB39_512
; %bb.510:
	v_cmp_lt_i16_e32 vcc, 6, v5
	s_cbranch_vccz .LBB39_513
; %bb.511:
	global_load_dwordx2 v[6:7], v[2:3], off
	s_movk_i32 s0, 0x7fff
	s_waitcnt vmcnt(1)
	v_mov_b32_e32 v1, 0x7fc0
	s_waitcnt vmcnt(0)
	v_cvt_f32_f64_e32 v6, v[6:7]
	v_bfe_u32 v7, v6, 16, 1
	v_add3_u32 v7, v6, v7, s0
	v_lshrrev_b32_e32 v7, 16, v7
	v_cmp_o_f32_e32 vcc, v6, v6
	v_cndmask_b32_e32 v1, v1, v7, vcc
	s_mov_b64 s[0:1], 0
	s_branch .LBB39_514
.LBB39_512:
	s_mov_b64 s[0:1], -1
                                        ; implicit-def: $vgpr1
	s_branch .LBB39_517
.LBB39_513:
	s_mov_b64 s[0:1], -1
                                        ; implicit-def: $vgpr1
.LBB39_514:
	s_andn2_b64 vcc, exec, s[0:1]
	s_cbranch_vccnz .LBB39_516
; %bb.515:
	global_load_dword v1, v[2:3], off
	s_movk_i32 s0, 0x7fff
	v_mov_b32_e32 v6, 0x7fc0
	s_waitcnt vmcnt(0)
	v_bfe_u32 v7, v1, 16, 1
	v_add3_u32 v7, v1, v7, s0
	v_lshrrev_b32_e32 v7, 16, v7
	v_cmp_o_f32_e32 vcc, v1, v1
	v_cndmask_b32_e32 v1, v6, v7, vcc
.LBB39_516:
	s_mov_b64 s[0:1], 0
.LBB39_517:
	s_andn2_b64 vcc, exec, s[0:1]
	s_cbranch_vccnz .LBB39_519
; %bb.518:
	global_load_ushort v1, v[2:3], off
	s_movk_i32 s0, 0x7fff
	v_mov_b32_e32 v7, 0x7fc0
	s_waitcnt vmcnt(0)
	v_cvt_f32_f16_e32 v6, v1
	v_cmp_o_f16_e32 vcc, v1, v1
	v_bfe_u32 v9, v6, 16, 1
	v_add3_u32 v6, v6, v9, s0
	v_lshrrev_b32_e32 v6, 16, v6
	v_cndmask_b32_e32 v1, v7, v6, vcc
.LBB39_519:
	s_mov_b64 s[0:1], 0
.LBB39_520:
	s_andn2_b64 vcc, exec, s[0:1]
	s_cbranch_vccnz .LBB39_540
; %bb.521:
	v_cmp_gt_i16_e32 vcc, 2, v5
	s_cbranch_vccnz .LBB39_525
; %bb.522:
	v_cmp_gt_i16_e32 vcc, 3, v5
	s_cbranch_vccnz .LBB39_526
; %bb.523:
	v_cmp_lt_i16_e32 vcc, 3, v5
	s_cbranch_vccz .LBB39_527
; %bb.524:
	global_load_dwordx2 v[6:7], v[2:3], off
	s_movk_i32 s0, 0x7fff
	s_waitcnt vmcnt(0)
	v_xor_b32_e32 v9, v6, v7
	v_ffbh_i32_e32 v1, v7
	v_ashrrev_i32_e32 v9, 31, v9
	v_add_u32_e32 v1, -1, v1
	v_add_u32_e32 v9, 32, v9
	v_min_u32_e32 v1, v1, v9
	v_lshlrev_b64 v[6:7], v1, v[6:7]
	v_min_u32_e32 v6, 1, v6
	v_or_b32_e32 v6, v7, v6
	v_cvt_f32_i32_e32 v6, v6
	v_sub_u32_e32 v1, 32, v1
	v_ldexp_f32 v1, v6, v1
	v_bfe_u32 v6, v1, 16, 1
	v_add3_u32 v1, v1, v6, s0
	v_lshrrev_b32_e32 v1, 16, v1
	s_mov_b64 s[0:1], 0
	s_branch .LBB39_528
.LBB39_525:
	s_mov_b64 s[0:1], -1
                                        ; implicit-def: $vgpr1
	s_branch .LBB39_534
.LBB39_526:
	s_mov_b64 s[0:1], -1
                                        ; implicit-def: $vgpr1
	s_branch .LBB39_531
.LBB39_527:
	s_mov_b64 s[0:1], -1
                                        ; implicit-def: $vgpr1
.LBB39_528:
	s_andn2_b64 vcc, exec, s[0:1]
	s_cbranch_vccnz .LBB39_530
; %bb.529:
	global_load_dword v1, v[2:3], off
	s_movk_i32 s0, 0x7fff
	s_waitcnt vmcnt(0)
	v_cvt_f32_i32_e32 v1, v1
	v_bfe_u32 v6, v1, 16, 1
	v_add3_u32 v1, v1, v6, s0
	v_lshrrev_b32_e32 v1, 16, v1
.LBB39_530:
	s_mov_b64 s[0:1], 0
.LBB39_531:
	s_andn2_b64 vcc, exec, s[0:1]
	s_cbranch_vccnz .LBB39_533
; %bb.532:
	global_load_sshort v1, v[2:3], off
	s_movk_i32 s0, 0x7fff
	s_waitcnt vmcnt(0)
	v_cvt_f32_i32_e32 v1, v1
	v_bfe_u32 v6, v1, 16, 1
	v_add3_u32 v1, v1, v6, s0
	v_lshrrev_b32_e32 v1, 16, v1
.LBB39_533:
	s_mov_b64 s[0:1], 0
.LBB39_534:
	s_andn2_b64 vcc, exec, s[0:1]
	s_cbranch_vccnz .LBB39_540
; %bb.535:
	v_cmp_lt_i16_e32 vcc, 0, v5
	s_cbranch_vccz .LBB39_537
; %bb.536:
	global_load_sbyte v1, v[2:3], off
	s_movk_i32 s0, 0x7fff
	s_waitcnt vmcnt(0)
	v_cvt_f32_i32_e32 v1, v1
	v_bfe_u32 v6, v1, 16, 1
	v_add3_u32 v1, v1, v6, s0
	v_lshrrev_b32_e32 v1, 16, v1
	s_mov_b64 s[0:1], 0
	s_branch .LBB39_538
.LBB39_537:
	s_mov_b64 s[0:1], -1
                                        ; implicit-def: $vgpr1
.LBB39_538:
	s_andn2_b64 vcc, exec, s[0:1]
	s_cbranch_vccnz .LBB39_540
; %bb.539:
	global_load_ubyte v1, v[2:3], off
	s_movk_i32 s0, 0x7fff
	s_waitcnt vmcnt(0)
	v_cvt_f32_ubyte0_e32 v1, v1
	v_bfe_u32 v2, v1, 16, 1
	v_add3_u32 v1, v1, v2, s0
	v_lshrrev_b32_e32 v1, 16, v1
.LBB39_540:
	s_branch .LBB39_296
.LBB39_541:
	s_mov_b64 s[8:9], 0
	s_mov_b64 s[0:1], s[52:53]
.LBB39_542:
                                        ; implicit-def: $vgpr8
.LBB39_543:
	s_andn2_b64 s[10:11], s[52:53], exec
	s_and_b64 s[0:1], s[0:1], exec
	s_or_b64 s[60:61], s[10:11], s[0:1]
	s_andn2_b64 s[0:1], s[54:55], exec
	s_and_b64 s[2:3], s[2:3], exec
	s_or_b64 s[58:59], s[0:1], s[2:3]
	s_orn2_b64 s[0:1], s[8:9], exec
.LBB39_544:
	s_or_b64 exec, exec, s[62:63]
	s_mov_b64 s[2:3], 0
	s_mov_b64 s[8:9], 0
	;; [unrolled: 1-line block ×3, first 2 shown]
                                        ; implicit-def: $vgpr2_vgpr3
                                        ; implicit-def: $vgpr0
                                        ; implicit-def: $vgpr6
	s_and_saveexec_b64 s[62:63], s[0:1]
	s_cbranch_execz .LBB39_921
; %bb.545:
	v_cmp_gt_i32_e32 vcc, s72, v8
	s_mov_b64 s[2:3], -1
	s_mov_b64 s[66:67], s[58:59]
	s_mov_b64 s[68:69], s[60:61]
	s_and_saveexec_b64 s[64:65], vcc
	s_cbranch_execz .LBB39_820
; %bb.546:
	s_andn2_b64 vcc, exec, s[40:41]
	s_cbranch_vccnz .LBB39_552
; %bb.547:
	s_mov_b32 s66, 0
	s_andn2_b64 vcc, exec, s[50:51]
	v_mov_b32_e32 v2, 0
	v_mov_b32_e32 v0, 0
	s_cbranch_vccnz .LBB39_558
; %bb.548:
	s_add_i32 s76, s73, 1
	s_cmp_eq_u32 s74, 2
	s_cbranch_scc1 .LBB39_553
; %bb.549:
	s_and_b32 s66, s76, 28
	s_mov_b32 s67, 0
	v_mov_b32_e32 v0, 0
	s_mov_b64 s[68:69], s[34:35]
	s_mov_b64 s[70:71], s[48:49]
	v_mov_b32_e32 v3, v8
	v_mov_b32_e32 v2, 0
.LBB39_550:                             ; =>This Inner Loop Header: Depth=1
	s_load_dwordx8 s[16:23], s[68:69], 0x4
	s_load_dwordx4 s[0:3], s[68:69], 0x24
	s_load_dwordx8 s[8:15], s[70:71], 0x0
	s_add_u32 s68, s68, 48
	s_addc_u32 s69, s69, 0
	s_waitcnt vmcnt(0) lgkmcnt(0)
	v_mul_hi_u32 v1, s17, v3
	v_add_u32_e32 v1, v3, v1
	v_lshrrev_b32_e32 v1, s18, v1
	v_mul_lo_u32 v6, v1, s16
	v_mul_hi_u32 v7, s20, v1
	v_sub_u32_e32 v3, v3, v6
	v_add_u32_e32 v6, v1, v7
	v_lshrrev_b32_e32 v6, s21, v6
	v_mul_lo_u32 v9, v6, s19
	v_mul_hi_u32 v10, s23, v6
	v_sub_u32_e32 v1, v1, v9
	v_add_u32_e32 v9, v6, v10
	v_mul_lo_u32 v7, v3, s9
	v_mul_lo_u32 v3, v3, s8
	;; [unrolled: 1-line block ×4, first 2 shown]
	v_lshrrev_b32_e32 v9, s0, v9
	v_add3_u32 v0, v3, v0, v1
	v_mul_hi_u32 v3, s2, v9
	v_add_u32_e32 v3, v9, v3
	v_lshrrev_b32_e32 v3, s3, v3
	s_add_i32 s67, s67, 4
	v_add3_u32 v1, v7, v2, v10
	v_mul_lo_u32 v2, v9, s22
	v_mul_lo_u32 v7, v3, s1
	s_add_u32 s70, s70, 32
	v_sub_u32_e32 v2, v6, v2
	v_sub_u32_e32 v7, v9, v7
	s_addc_u32 s71, s71, 0
	v_mul_lo_u32 v6, v2, s12
	v_mul_lo_u32 v2, v2, s13
	;; [unrolled: 1-line block ×4, first 2 shown]
	s_cmp_eq_u32 s66, s67
	v_add3_u32 v2, v2, v1, v7
	v_add3_u32 v0, v6, v0, v9
	s_cbranch_scc0 .LBB39_550
; %bb.551:
	v_mov_b32_e32 v1, v2
	s_branch .LBB39_554
.LBB39_552:
	s_mov_b64 s[0:1], -1
                                        ; implicit-def: $vgpr2
                                        ; implicit-def: $vgpr0
	s_branch .LBB39_559
.LBB39_553:
	s_mov_b32 s67, s66
	s_waitcnt vmcnt(0)
	v_pk_mov_b32 v[0:1], s[66:67], s[66:67] op_sel:[0,1]
                                        ; implicit-def: $vgpr2
	v_mov_b32_e32 v3, v8
.LBB39_554:
	s_and_b32 s8, s76, 3
	s_cmp_eq_u32 s8, 0
	s_cbranch_scc1 .LBB39_558
; %bb.555:
	s_lshl_b32 s0, s66, 3
	s_add_u32 s0, s0, s34
	s_addc_u32 s1, s35, 0
	s_add_u32 s0, s0, 0xc4
	s_addc_u32 s1, s1, 0
	s_mul_i32 s2, s66, 12
	s_add_u32 s2, s34, s2
	s_addc_u32 s3, s35, 0
.LBB39_556:                             ; =>This Inner Loop Header: Depth=1
	s_load_dwordx2 s[10:11], s[2:3], 0x4
	s_load_dword s9, s[2:3], 0xc
	s_load_dwordx2 s[12:13], s[0:1], 0x0
	v_mov_b32_e32 v2, v1
	s_add_u32 s2, s2, 12
	s_waitcnt lgkmcnt(0)
	v_mul_hi_u32 v1, s11, v3
	v_add_u32_e32 v1, v3, v1
	v_lshrrev_b32_e32 v1, s9, v1
	s_addc_u32 s3, s3, 0
	v_mul_lo_u32 v6, v1, s10
	s_add_u32 s0, s0, 8
	v_sub_u32_e32 v9, v3, v6
	v_mov_b32_e32 v3, v1
	s_addc_u32 s1, s1, 0
	s_add_i32 s8, s8, -1
	v_mad_u64_u32 v[6:7], s[10:11], v9, s13, v[2:3]
	v_mad_u64_u32 v[0:1], s[10:11], v9, s12, v[0:1]
	s_cmp_lg_u32 s8, 0
	v_mov_b32_e32 v1, v6
	s_cbranch_scc1 .LBB39_556
; %bb.557:
	v_mov_b32_e32 v2, v1
.LBB39_558:
	s_mov_b64 s[0:1], 0
.LBB39_559:
	s_andn2_b64 vcc, exec, s[0:1]
	s_cbranch_vccnz .LBB39_562
; %bb.560:
	v_mul_hi_u32 v0, s29, v8
	v_add_u32_e32 v0, v8, v0
	s_waitcnt vmcnt(0)
	v_lshrrev_b32_e32 v1, s30, v0
	v_mul_lo_u32 v0, v1, s28
	v_sub_u32_e32 v0, v8, v0
	v_mul_lo_u32 v2, v0, s37
	s_andn2_b64 vcc, exec, s[46:47]
	v_mul_lo_u32 v0, v0, s36
	s_cbranch_vccnz .LBB39_562
; %bb.561:
	v_mul_hi_u32 v3, s44, v1
	v_add_u32_e32 v3, v1, v3
	v_lshrrev_b32_e32 v3, s45, v3
	v_mul_lo_u32 v3, v3, s31
	v_sub_u32_e32 v3, v1, v3
	v_mad_u64_u32 v[0:1], s[0:1], v3, s38, v[0:1]
	v_mad_u64_u32 v[2:3], s[0:1], v3, s39, v[2:3]
.LBB39_562:
	s_waitcnt vmcnt(0)
	v_mov_b32_e32 v1, s27
	v_add_co_u32_e32 v2, vcc, s26, v2
	v_addc_co_u32_e32 v3, vcc, 0, v1, vcc
	v_cmp_gt_i16_e32 vcc, 11, v5
	s_cbranch_vccnz .LBB39_569
; %bb.563:
	v_cmp_lt_i16_e32 vcc, 25, v5
	s_cbranch_vccz .LBB39_570
; %bb.564:
	v_cmp_lt_i16_e32 vcc, 28, v5
	s_cbranch_vccz .LBB39_571
	;; [unrolled: 3-line block ×4, first 2 shown]
; %bb.567:
	v_cmp_eq_u16_e32 vcc, 46, v5
	s_mov_b64 s[8:9], 0
	s_cbranch_vccz .LBB39_578
; %bb.568:
	global_load_dword v1, v[2:3], off
	s_mov_b64 s[0:1], -1
	s_mov_b64 s[2:3], 0
	s_branch .LBB39_579
.LBB39_569:
	s_mov_b64 s[8:9], -1
	s_mov_b64 s[0:1], 0
                                        ; implicit-def: $vgpr1
	s_mov_b64 s[2:3], s[58:59]
	s_branch .LBB39_644
.LBB39_570:
	s_mov_b64 s[8:9], -1
	s_mov_b64 s[0:1], 0
	s_mov_b64 s[2:3], s[58:59]
                                        ; implicit-def: $vgpr1
	s_branch .LBB39_608
.LBB39_571:
	s_mov_b64 s[8:9], -1
	s_mov_b64 s[0:1], 0
	s_mov_b64 s[2:3], s[58:59]
                                        ; implicit-def: $vgpr1
	s_branch .LBB39_589
.LBB39_572:
	s_mov_b64 s[8:9], -1
	s_mov_b64 s[0:1], 0
	s_mov_b64 s[2:3], s[58:59]
                                        ; implicit-def: $vgpr1
	s_branch .LBB39_584
.LBB39_573:
	s_or_saveexec_b64 s[12:13], s[12:13]
                                        ; implicit-def: $sgpr14
	s_xor_b64 exec, exec, s[12:13]
	s_cbranch_execz .LBB39_341
.LBB39_574:
	s_mov_b32 s14, 0x46000000
	v_add_f32_e64 v7, |v9|, s14
	v_and_b32_e32 v7, 0xff, v7
	v_cmp_ne_u32_e32 vcc, 0, v7
	s_andn2_b64 s[10:11], s[10:11], exec
	s_and_b64 s[16:17], vcc, exec
	s_mov_b32 s14, 0
	s_or_b64 s[10:11], s[10:11], s[16:17]
	s_or_b64 exec, exec, s[12:13]
	v_mov_b32_e32 v10, s14
	s_and_saveexec_b64 s[12:13], s[10:11]
	s_cbranch_execnz .LBB39_342
	s_branch .LBB39_343
.LBB39_575:
	s_mov_b64 s[8:9], -1
	s_mov_b64 s[0:1], 0
	s_mov_b64 s[2:3], s[58:59]
                                        ; implicit-def: $vgpr1
	s_branch .LBB39_579
.LBB39_576:
	s_or_saveexec_b64 s[12:13], s[12:13]
                                        ; implicit-def: $sgpr14
	s_xor_b64 exec, exec, s[12:13]
	s_cbranch_execz .LBB39_354
.LBB39_577:
	s_mov_b32 s14, 0x42800000
	v_add_f32_e64 v7, |v9|, s14
	v_and_b32_e32 v7, 0xff, v7
	v_cmp_ne_u32_e32 vcc, 0, v7
	s_andn2_b64 s[10:11], s[10:11], exec
	s_and_b64 s[16:17], vcc, exec
	s_mov_b32 s14, 0
	s_or_b64 s[10:11], s[10:11], s[16:17]
	s_or_b64 exec, exec, s[12:13]
	v_mov_b32_e32 v10, s14
	s_and_saveexec_b64 s[12:13], s[10:11]
	s_cbranch_execnz .LBB39_355
	s_branch .LBB39_356
.LBB39_578:
	s_mov_b64 s[2:3], -1
                                        ; implicit-def: $vgpr1
	s_mov_b64 s[0:1], 0
.LBB39_579:
	s_and_b64 vcc, exec, s[8:9]
	s_cbranch_vccz .LBB39_583
; %bb.580:
	v_cmp_eq_u16_e32 vcc, 44, v5
	s_cbranch_vccz .LBB39_582
; %bb.581:
	global_load_ubyte v1, v[2:3], off
	s_movk_i32 s2, 0xff
	v_mov_b32_e32 v6, 0x7f800001
	v_mov_b32_e32 v7, 0x400000
	;; [unrolled: 1-line block ×3, first 2 shown]
	s_mov_b64 s[0:1], -1
	s_waitcnt vmcnt(0)
	v_lshlrev_b32_e32 v10, 23, v1
	v_cmp_ne_u32_e32 vcc, s2, v1
	v_cndmask_b32_e32 v6, v6, v10, vcc
	v_cmp_ne_u32_e32 vcc, 0, v1
	v_cndmask_b32_e32 v1, v7, v6, vcc
	v_add_u32_e32 v6, 0x7fff, v1
	v_lshrrev_b32_e32 v6, 16, v6
	v_cmp_o_f32_e32 vcc, v1, v1
	v_cndmask_b32_e32 v1, v9, v6, vcc
	s_mov_b64 s[2:3], 0
	s_branch .LBB39_583
.LBB39_582:
	s_mov_b64 s[2:3], -1
                                        ; implicit-def: $vgpr1
.LBB39_583:
	s_mov_b64 s[8:9], 0
.LBB39_584:
	s_and_b64 vcc, exec, s[8:9]
	s_cbranch_vccz .LBB39_588
; %bb.585:
	v_cmp_eq_u16_e32 vcc, 29, v5
	s_cbranch_vccz .LBB39_587
; %bb.586:
	global_load_dwordx2 v[6:7], v[2:3], off
	s_movk_i32 s2, 0x7fff
	s_mov_b64 s[0:1], -1
	s_mov_b64 s[8:9], 0
	s_waitcnt vmcnt(0)
	v_ffbh_u32_e32 v1, v7
	v_min_u32_e32 v1, 32, v1
	v_lshlrev_b64 v[6:7], v1, v[6:7]
	v_min_u32_e32 v6, 1, v6
	v_or_b32_e32 v6, v7, v6
	v_cvt_f32_u32_e32 v6, v6
	v_sub_u32_e32 v1, 32, v1
	v_ldexp_f32 v1, v6, v1
	v_bfe_u32 v6, v1, 16, 1
	v_add3_u32 v1, v1, v6, s2
	v_lshrrev_b32_e32 v1, 16, v1
	s_mov_b64 s[2:3], 0
	s_branch .LBB39_589
.LBB39_587:
	s_mov_b64 s[2:3], -1
                                        ; implicit-def: $vgpr1
.LBB39_588:
	s_mov_b64 s[8:9], 0
.LBB39_589:
	s_and_b64 vcc, exec, s[8:9]
	s_cbranch_vccz .LBB39_607
; %bb.590:
	v_cmp_gt_i16_e32 vcc, 27, v5
	s_cbranch_vccnz .LBB39_593
; %bb.591:
	v_cmp_lt_i16_e32 vcc, 27, v5
	s_cbranch_vccz .LBB39_594
; %bb.592:
	global_load_dword v1, v[2:3], off
	s_movk_i32 s0, 0x7fff
	s_waitcnt vmcnt(0)
	v_cvt_f32_u32_e32 v1, v1
	v_bfe_u32 v6, v1, 16, 1
	v_add3_u32 v1, v1, v6, s0
	v_lshrrev_b32_e32 v1, 16, v1
	s_mov_b64 s[0:1], 0
	s_branch .LBB39_595
.LBB39_593:
	s_mov_b64 s[0:1], -1
                                        ; implicit-def: $vgpr1
	s_branch .LBB39_598
.LBB39_594:
	s_mov_b64 s[0:1], -1
                                        ; implicit-def: $vgpr1
.LBB39_595:
	s_andn2_b64 vcc, exec, s[0:1]
	s_cbranch_vccnz .LBB39_597
; %bb.596:
	global_load_ushort v1, v[2:3], off
	s_movk_i32 s0, 0x7fff
	s_waitcnt vmcnt(0)
	v_cvt_f32_u32_e32 v1, v1
	v_bfe_u32 v6, v1, 16, 1
	v_add3_u32 v1, v1, v6, s0
	v_lshrrev_b32_e32 v1, 16, v1
.LBB39_597:
	s_mov_b64 s[0:1], 0
.LBB39_598:
	s_andn2_b64 vcc, exec, s[0:1]
	s_cbranch_vccnz .LBB39_606
; %bb.599:
	global_load_ubyte v1, v[2:3], off
	s_movk_i32 s0, 0x7f
                                        ; implicit-def: $sgpr12
	s_waitcnt vmcnt(0)
	v_cmp_lt_i16_e32 vcc, s0, v1
	s_mov_b64 s[0:1], 0
	s_and_saveexec_b64 s[8:9], vcc
	s_xor_b64 s[8:9], exec, s[8:9]
	s_cbranch_execz .LBB39_620
; %bb.600:
	s_movk_i32 s0, 0x80
	v_cmp_eq_u16_e32 vcc, s0, v1
	s_mov_b64 s[0:1], -1
                                        ; implicit-def: $sgpr12
	s_and_saveexec_b64 s[10:11], vcc
; %bb.601:
	s_mov_b32 s12, 0x7f800001
	s_xor_b64 s[0:1], exec, -1
; %bb.602:
	s_or_b64 exec, exec, s[10:11]
	s_and_b64 s[0:1], s[0:1], exec
	s_or_saveexec_b64 s[8:9], s[8:9]
	v_mov_b32_e32 v6, s12
	s_xor_b64 exec, exec, s[8:9]
	s_cbranch_execnz .LBB39_621
.LBB39_603:
	s_or_b64 exec, exec, s[8:9]
	s_and_saveexec_b64 s[8:9], s[0:1]
	s_cbranch_execz .LBB39_605
.LBB39_604:
	v_lshlrev_b32_e32 v6, 24, v1
	v_and_b32_e32 v1, 0xffff, v1
	v_and_b32_e32 v7, 7, v1
	v_ffbh_u32_e32 v10, v7
	v_min_u32_e32 v10, 32, v10
	v_subrev_u32_e32 v11, 28, v10
	v_bfe_u32 v9, v1, 3, 4
	v_lshlrev_b32_e32 v1, v11, v1
	v_sub_u32_e32 v10, 29, v10
	v_and_b32_e32 v1, 7, v1
	v_cmp_eq_u32_e32 vcc, 0, v9
	v_cndmask_b32_e32 v9, v9, v10, vcc
	v_cndmask_b32_e32 v1, v7, v1, vcc
	v_mov_b32_e32 v7, 0x3b800000
	v_lshlrev_b32_e32 v1, 20, v1
	v_and_b32_e32 v6, 0x80000000, v6
	v_lshl_add_u32 v7, v9, 23, v7
	v_or3_b32 v6, v6, v7, v1
.LBB39_605:
	s_or_b64 exec, exec, s[8:9]
	v_bfe_u32 v1, v6, 16, 1
	s_movk_i32 s0, 0x7fff
	v_add3_u32 v1, v6, v1, s0
	v_lshrrev_b32_e32 v1, 16, v1
	v_mov_b32_e32 v7, 0x7fc0
	v_cmp_o_f32_e32 vcc, v6, v6
	v_cndmask_b32_e32 v1, v7, v1, vcc
.LBB39_606:
	s_mov_b64 s[0:1], -1
.LBB39_607:
	s_mov_b64 s[8:9], 0
.LBB39_608:
	s_and_b64 vcc, exec, s[8:9]
	s_cbranch_vccz .LBB39_643
; %bb.609:
	v_cmp_lt_i16_e32 vcc, 22, v5
	s_cbranch_vccz .LBB39_619
; %bb.610:
	v_cmp_gt_i16_e32 vcc, 24, v5
	s_cbranch_vccnz .LBB39_622
; %bb.611:
	v_cmp_lt_i16_e32 vcc, 24, v5
	s_cbranch_vccz .LBB39_623
; %bb.612:
	global_load_ubyte v1, v[2:3], off
	s_movk_i32 s0, 0x7f
                                        ; implicit-def: $sgpr12
	s_waitcnt vmcnt(0)
	v_cmp_lt_i16_e32 vcc, s0, v1
	s_mov_b64 s[0:1], 0
	s_and_saveexec_b64 s[8:9], vcc
	s_xor_b64 s[8:9], exec, s[8:9]
	s_cbranch_execz .LBB39_635
; %bb.613:
	s_movk_i32 s0, 0x80
	v_cmp_eq_u16_e32 vcc, s0, v1
	s_mov_b64 s[0:1], -1
                                        ; implicit-def: $sgpr12
	s_and_saveexec_b64 s[10:11], vcc
; %bb.614:
	s_mov_b32 s12, 0x7f800001
	s_xor_b64 s[0:1], exec, -1
; %bb.615:
	s_or_b64 exec, exec, s[10:11]
	s_and_b64 s[0:1], s[0:1], exec
	s_or_saveexec_b64 s[8:9], s[8:9]
	v_mov_b32_e32 v6, s12
	s_xor_b64 exec, exec, s[8:9]
	s_cbranch_execnz .LBB39_636
.LBB39_616:
	s_or_b64 exec, exec, s[8:9]
	s_and_saveexec_b64 s[8:9], s[0:1]
	s_cbranch_execz .LBB39_618
.LBB39_617:
	v_lshlrev_b32_e32 v6, 24, v1
	v_and_b32_e32 v1, 0xffff, v1
	v_and_b32_e32 v7, 3, v1
	v_ffbh_u32_e32 v10, v7
	v_min_u32_e32 v10, 32, v10
	v_subrev_u32_e32 v11, 29, v10
	v_bfe_u32 v9, v1, 2, 5
	v_lshlrev_b32_e32 v1, v11, v1
	v_sub_u32_e32 v10, 30, v10
	v_and_b32_e32 v1, 3, v1
	v_cmp_eq_u32_e32 vcc, 0, v9
	v_cndmask_b32_e32 v9, v9, v10, vcc
	v_cndmask_b32_e32 v1, v7, v1, vcc
	v_mov_b32_e32 v7, 0x37800000
	v_lshlrev_b32_e32 v1, 21, v1
	v_and_b32_e32 v6, 0x80000000, v6
	v_lshl_add_u32 v7, v9, 23, v7
	v_or3_b32 v6, v6, v7, v1
.LBB39_618:
	s_or_b64 exec, exec, s[8:9]
	v_bfe_u32 v1, v6, 16, 1
	s_movk_i32 s0, 0x7fff
	v_add3_u32 v1, v6, v1, s0
	v_lshrrev_b32_e32 v1, 16, v1
	v_mov_b32_e32 v7, 0x7fc0
	v_cmp_o_f32_e32 vcc, v6, v6
	v_cndmask_b32_e32 v1, v7, v1, vcc
	s_mov_b64 s[0:1], 0
	s_branch .LBB39_624
.LBB39_619:
	s_mov_b64 s[8:9], -1
                                        ; implicit-def: $vgpr1
	s_branch .LBB39_630
.LBB39_620:
	s_or_saveexec_b64 s[8:9], s[8:9]
	v_mov_b32_e32 v6, s12
	s_xor_b64 exec, exec, s[8:9]
	s_cbranch_execz .LBB39_603
.LBB39_621:
	v_cmp_ne_u16_e32 vcc, 0, v1
	s_andn2_b64 s[0:1], s[0:1], exec
	s_and_b64 s[10:11], vcc, exec
	v_mov_b32_e32 v6, 0
	s_or_b64 s[0:1], s[0:1], s[10:11]
	s_or_b64 exec, exec, s[8:9]
	s_and_saveexec_b64 s[8:9], s[0:1]
	s_cbranch_execnz .LBB39_604
	s_branch .LBB39_605
.LBB39_622:
	s_mov_b64 s[0:1], -1
                                        ; implicit-def: $vgpr1
	s_branch .LBB39_627
.LBB39_623:
	s_mov_b64 s[0:1], -1
                                        ; implicit-def: $vgpr1
.LBB39_624:
	s_and_b64 vcc, exec, s[0:1]
	s_cbranch_vccz .LBB39_626
; %bb.625:
	global_load_ubyte v1, v[2:3], off
	s_mov_b32 s0, 0x7f800000
	s_brev_b32 s1, 1
	s_movk_i32 s8, 0x7fff
	v_mov_b32_e32 v6, 0x7fc0
	s_waitcnt vmcnt(0)
	v_lshlrev_b32_e32 v1, 24, v1
	v_and_b32_e32 v7, 0x7f000000, v1
	v_ffbh_u32_e32 v9, v7
	v_min_u32_e32 v9, 32, v9
	v_sub_u32_e64 v9, v9, 4 clamp
	v_lshlrev_b32_e32 v11, v9, v7
	v_lshlrev_b32_e32 v9, 23, v9
	v_lshrrev_b32_e32 v11, 4, v11
	v_add_u32_e32 v10, 0x1000000, v7
	v_sub_u32_e32 v9, v11, v9
	v_ashrrev_i32_e32 v10, 8, v10
	v_add_u32_e32 v9, 0x3c000000, v9
	v_and_or_b32 v9, v10, s0, v9
	v_cmp_ne_u32_e32 vcc, 0, v7
	v_cndmask_b32_e32 v7, 0, v9, vcc
	v_and_or_b32 v1, v1, s1, v7
	v_bfe_u32 v7, v7, 16, 1
	v_add3_u32 v7, v1, v7, s8
	v_lshrrev_b32_e32 v7, 16, v7
	v_cmp_o_f32_e32 vcc, v1, v1
	v_cndmask_b32_e32 v1, v6, v7, vcc
.LBB39_626:
	s_mov_b64 s[0:1], 0
.LBB39_627:
	s_andn2_b64 vcc, exec, s[0:1]
	s_cbranch_vccnz .LBB39_629
; %bb.628:
	global_load_ubyte v1, v[2:3], off
	s_movk_i32 s0, 0x7f00
	s_brev_b32 s1, 16
	s_brev_b32 s8, 1
	s_movk_i32 s9, 0x7fff
	v_mov_b32_e32 v6, 0x7fc0
	s_waitcnt vmcnt(0)
	v_lshlrev_b16_e32 v7, 8, v1
	v_lshlrev_b32_e32 v1, 25, v1
	v_lshrrev_b32_e32 v9, 4, v1
	v_and_or_b32 v10, v7, s0, 0.5
	v_or_b32_e32 v9, 0x70000000, v9
	v_add_f32_e32 v10, -0.5, v10
	v_mul_f32_e32 v9, 0x7800000, v9
	v_cmp_gt_u32_e32 vcc, s1, v1
	v_bfe_i32 v7, v7, 0, 16
	v_cndmask_b32_e32 v1, v9, v10, vcc
	v_and_or_b32 v7, v7, s8, v1
	v_bfe_u32 v1, v1, 16, 1
	v_add3_u32 v1, v7, v1, s9
	v_lshrrev_b32_e32 v1, 16, v1
	v_cmp_o_f32_e32 vcc, v7, v7
	v_cndmask_b32_e32 v1, v6, v1, vcc
.LBB39_629:
	s_mov_b64 s[8:9], 0
	s_mov_b64 s[0:1], -1
.LBB39_630:
	s_andn2_b64 vcc, exec, s[8:9]
	s_cbranch_vccnz .LBB39_643
; %bb.631:
	v_cmp_lt_i16_e32 vcc, 14, v5
	s_cbranch_vccz .LBB39_634
; %bb.632:
	v_cmp_eq_u16_e32 vcc, 15, v5
	s_cbranch_vccz .LBB39_637
; %bb.633:
	global_load_ushort v1, v[2:3], off
	s_mov_b64 s[0:1], -1
	s_mov_b64 s[2:3], 0
	s_branch .LBB39_638
.LBB39_634:
	s_mov_b64 s[8:9], -1
                                        ; implicit-def: $vgpr1
	s_branch .LBB39_639
.LBB39_635:
	s_or_saveexec_b64 s[8:9], s[8:9]
	v_mov_b32_e32 v6, s12
	s_xor_b64 exec, exec, s[8:9]
	s_cbranch_execz .LBB39_616
.LBB39_636:
	v_cmp_ne_u16_e32 vcc, 0, v1
	s_andn2_b64 s[0:1], s[0:1], exec
	s_and_b64 s[10:11], vcc, exec
	v_mov_b32_e32 v6, 0
	s_or_b64 s[0:1], s[0:1], s[10:11]
	s_or_b64 exec, exec, s[8:9]
	s_and_saveexec_b64 s[8:9], s[0:1]
	s_cbranch_execnz .LBB39_617
	s_branch .LBB39_618
.LBB39_637:
	s_mov_b64 s[2:3], -1
                                        ; implicit-def: $vgpr1
.LBB39_638:
	s_mov_b64 s[8:9], 0
.LBB39_639:
	s_and_b64 vcc, exec, s[8:9]
	s_cbranch_vccz .LBB39_643
; %bb.640:
	v_cmp_eq_u16_e32 vcc, 11, v5
	s_cbranch_vccz .LBB39_642
; %bb.641:
	global_load_ubyte v1, v[2:3], off
	s_mov_b64 s[0:1], -1
	s_mov_b64 s[2:3], 0
	s_waitcnt vmcnt(0)
	v_cmp_ne_u16_e32 vcc, 0, v1
	v_cndmask_b32_e64 v1, 0, 1.0, vcc
	v_lshrrev_b32_e32 v1, 16, v1
	s_branch .LBB39_643
.LBB39_642:
	s_mov_b64 s[2:3], -1
                                        ; implicit-def: $vgpr1
.LBB39_643:
	s_mov_b64 s[8:9], 0
.LBB39_644:
	s_and_b64 vcc, exec, s[8:9]
	s_cbranch_vccz .LBB39_693
; %bb.645:
	v_cmp_gt_i16_e32 vcc, 5, v5
	s_cbranch_vccnz .LBB39_650
; %bb.646:
	v_cmp_gt_i16_e32 vcc, 8, v5
	s_cbranch_vccnz .LBB39_651
	;; [unrolled: 3-line block ×3, first 2 shown]
; %bb.648:
	v_cmp_lt_i16_e32 vcc, 9, v5
	s_cbranch_vccz .LBB39_653
; %bb.649:
	global_load_dwordx2 v[6:7], v[2:3], off
	s_movk_i32 s0, 0x7fff
	s_waitcnt vmcnt(1)
	v_mov_b32_e32 v1, 0x7fc0
	s_waitcnt vmcnt(0)
	v_cvt_f32_f64_e32 v6, v[6:7]
	v_bfe_u32 v7, v6, 16, 1
	v_add3_u32 v7, v6, v7, s0
	v_lshrrev_b32_e32 v7, 16, v7
	v_cmp_o_f32_e32 vcc, v6, v6
	v_cndmask_b32_e32 v1, v1, v7, vcc
	s_mov_b64 s[0:1], 0
	s_branch .LBB39_654
.LBB39_650:
	s_mov_b64 s[0:1], -1
                                        ; implicit-def: $vgpr1
	s_branch .LBB39_672
.LBB39_651:
	s_mov_b64 s[0:1], -1
                                        ; implicit-def: $vgpr1
	s_branch .LBB39_660
.LBB39_652:
	s_mov_b64 s[0:1], -1
                                        ; implicit-def: $vgpr1
	s_branch .LBB39_657
.LBB39_653:
	s_mov_b64 s[0:1], -1
                                        ; implicit-def: $vgpr1
.LBB39_654:
	s_andn2_b64 vcc, exec, s[0:1]
	s_cbranch_vccnz .LBB39_656
; %bb.655:
	global_load_dword v1, v[2:3], off
	s_movk_i32 s0, 0x7fff
	v_mov_b32_e32 v6, 0x7fc0
	s_waitcnt vmcnt(0)
	v_bfe_u32 v7, v1, 16, 1
	v_add3_u32 v7, v1, v7, s0
	v_lshrrev_b32_e32 v7, 16, v7
	v_cmp_o_f32_e32 vcc, v1, v1
	v_cndmask_b32_e32 v1, v6, v7, vcc
.LBB39_656:
	s_mov_b64 s[0:1], 0
.LBB39_657:
	s_andn2_b64 vcc, exec, s[0:1]
	s_cbranch_vccnz .LBB39_659
; %bb.658:
	global_load_dword v1, v[2:3], off
	s_movk_i32 s0, 0x7fff
	v_mov_b32_e32 v7, 0x7fc0
	s_waitcnt vmcnt(0)
	v_cvt_f32_f16_e32 v6, v1
	v_cmp_o_f16_e32 vcc, v1, v1
	v_bfe_u32 v9, v6, 16, 1
	v_add3_u32 v6, v6, v9, s0
	v_lshrrev_b32_e32 v6, 16, v6
	v_cndmask_b32_e32 v1, v7, v6, vcc
.LBB39_659:
	s_mov_b64 s[0:1], 0
.LBB39_660:
	s_andn2_b64 vcc, exec, s[0:1]
	s_cbranch_vccnz .LBB39_671
; %bb.661:
	v_cmp_gt_i16_e32 vcc, 6, v5
	s_cbranch_vccnz .LBB39_664
; %bb.662:
	v_cmp_lt_i16_e32 vcc, 6, v5
	s_cbranch_vccz .LBB39_665
; %bb.663:
	global_load_dwordx2 v[6:7], v[2:3], off
	s_movk_i32 s0, 0x7fff
	s_waitcnt vmcnt(1)
	v_mov_b32_e32 v1, 0x7fc0
	s_waitcnt vmcnt(0)
	v_cvt_f32_f64_e32 v6, v[6:7]
	v_bfe_u32 v7, v6, 16, 1
	v_add3_u32 v7, v6, v7, s0
	v_lshrrev_b32_e32 v7, 16, v7
	v_cmp_o_f32_e32 vcc, v6, v6
	v_cndmask_b32_e32 v1, v1, v7, vcc
	s_mov_b64 s[0:1], 0
	s_branch .LBB39_666
.LBB39_664:
	s_mov_b64 s[0:1], -1
                                        ; implicit-def: $vgpr1
	s_branch .LBB39_669
.LBB39_665:
	s_mov_b64 s[0:1], -1
                                        ; implicit-def: $vgpr1
.LBB39_666:
	s_andn2_b64 vcc, exec, s[0:1]
	s_cbranch_vccnz .LBB39_668
; %bb.667:
	global_load_dword v1, v[2:3], off
	s_movk_i32 s0, 0x7fff
	v_mov_b32_e32 v6, 0x7fc0
	s_waitcnt vmcnt(0)
	v_bfe_u32 v7, v1, 16, 1
	v_add3_u32 v7, v1, v7, s0
	v_lshrrev_b32_e32 v7, 16, v7
	v_cmp_o_f32_e32 vcc, v1, v1
	v_cndmask_b32_e32 v1, v6, v7, vcc
.LBB39_668:
	s_mov_b64 s[0:1], 0
.LBB39_669:
	s_andn2_b64 vcc, exec, s[0:1]
	s_cbranch_vccnz .LBB39_671
; %bb.670:
	global_load_ushort v1, v[2:3], off
	s_movk_i32 s0, 0x7fff
	v_mov_b32_e32 v7, 0x7fc0
	s_waitcnt vmcnt(0)
	v_cvt_f32_f16_e32 v6, v1
	v_cmp_o_f16_e32 vcc, v1, v1
	v_bfe_u32 v9, v6, 16, 1
	v_add3_u32 v6, v6, v9, s0
	v_lshrrev_b32_e32 v6, 16, v6
	v_cndmask_b32_e32 v1, v7, v6, vcc
.LBB39_671:
	s_mov_b64 s[0:1], 0
.LBB39_672:
	s_andn2_b64 vcc, exec, s[0:1]
	s_cbranch_vccnz .LBB39_692
; %bb.673:
	v_cmp_gt_i16_e32 vcc, 2, v5
	s_cbranch_vccnz .LBB39_677
; %bb.674:
	v_cmp_gt_i16_e32 vcc, 3, v5
	s_cbranch_vccnz .LBB39_678
; %bb.675:
	v_cmp_lt_i16_e32 vcc, 3, v5
	s_cbranch_vccz .LBB39_679
; %bb.676:
	global_load_dwordx2 v[6:7], v[2:3], off
	s_movk_i32 s0, 0x7fff
	s_waitcnt vmcnt(0)
	v_xor_b32_e32 v9, v6, v7
	v_ffbh_i32_e32 v1, v7
	v_ashrrev_i32_e32 v9, 31, v9
	v_add_u32_e32 v1, -1, v1
	v_add_u32_e32 v9, 32, v9
	v_min_u32_e32 v1, v1, v9
	v_lshlrev_b64 v[6:7], v1, v[6:7]
	v_min_u32_e32 v6, 1, v6
	v_or_b32_e32 v6, v7, v6
	v_cvt_f32_i32_e32 v6, v6
	v_sub_u32_e32 v1, 32, v1
	v_ldexp_f32 v1, v6, v1
	v_bfe_u32 v6, v1, 16, 1
	v_add3_u32 v1, v1, v6, s0
	v_lshrrev_b32_e32 v1, 16, v1
	s_mov_b64 s[0:1], 0
	s_branch .LBB39_680
.LBB39_677:
	s_mov_b64 s[0:1], -1
                                        ; implicit-def: $vgpr1
	s_branch .LBB39_686
.LBB39_678:
	s_mov_b64 s[0:1], -1
                                        ; implicit-def: $vgpr1
	s_branch .LBB39_683
.LBB39_679:
	s_mov_b64 s[0:1], -1
                                        ; implicit-def: $vgpr1
.LBB39_680:
	s_andn2_b64 vcc, exec, s[0:1]
	s_cbranch_vccnz .LBB39_682
; %bb.681:
	global_load_dword v1, v[2:3], off
	s_movk_i32 s0, 0x7fff
	s_waitcnt vmcnt(0)
	v_cvt_f32_i32_e32 v1, v1
	v_bfe_u32 v6, v1, 16, 1
	v_add3_u32 v1, v1, v6, s0
	v_lshrrev_b32_e32 v1, 16, v1
.LBB39_682:
	s_mov_b64 s[0:1], 0
.LBB39_683:
	s_andn2_b64 vcc, exec, s[0:1]
	s_cbranch_vccnz .LBB39_685
; %bb.684:
	global_load_sshort v1, v[2:3], off
	s_movk_i32 s0, 0x7fff
	s_waitcnt vmcnt(0)
	v_cvt_f32_i32_e32 v1, v1
	v_bfe_u32 v6, v1, 16, 1
	v_add3_u32 v1, v1, v6, s0
	v_lshrrev_b32_e32 v1, 16, v1
.LBB39_685:
	s_mov_b64 s[0:1], 0
.LBB39_686:
	s_andn2_b64 vcc, exec, s[0:1]
	s_cbranch_vccnz .LBB39_692
; %bb.687:
	v_cmp_lt_i16_e32 vcc, 0, v5
	s_cbranch_vccz .LBB39_689
; %bb.688:
	global_load_sbyte v1, v[2:3], off
	s_movk_i32 s0, 0x7fff
	s_waitcnt vmcnt(0)
	v_cvt_f32_i32_e32 v1, v1
	v_bfe_u32 v6, v1, 16, 1
	v_add3_u32 v1, v1, v6, s0
	v_lshrrev_b32_e32 v1, 16, v1
	s_mov_b64 s[0:1], 0
	s_branch .LBB39_690
.LBB39_689:
	s_mov_b64 s[0:1], -1
                                        ; implicit-def: $vgpr1
.LBB39_690:
	s_andn2_b64 vcc, exec, s[0:1]
	s_cbranch_vccnz .LBB39_692
; %bb.691:
	global_load_ubyte v1, v[2:3], off
	s_movk_i32 s0, 0x7fff
	s_waitcnt vmcnt(0)
	v_cvt_f32_ubyte0_e32 v1, v1
	v_bfe_u32 v2, v1, 16, 1
	v_add3_u32 v1, v1, v2, s0
	v_lshrrev_b32_e32 v1, 16, v1
.LBB39_692:
	s_mov_b64 s[0:1], -1
.LBB39_693:
	s_andn2_b64 vcc, exec, s[0:1]
	s_cbranch_vccnz .LBB39_701
; %bb.694:
	s_waitcnt vmcnt(0)
	v_and_b32_e32 v3, 0x7fff, v1
	v_mov_b32_e32 v1, s25
	v_add_co_u32_e32 v0, vcc, s24, v0
	v_mov_b32_e32 v6, 11
	v_addc_co_u32_e32 v1, vcc, 0, v1, vcc
	v_cmp_lt_i16_sdwa s[0:1], s75, v6 src0_sel:BYTE_0 src1_sel:DWORD
	v_or_b32_e32 v2, v3, v4
	s_and_b64 vcc, exec, s[0:1]
	s_cbranch_vccnz .LBB39_702
; %bb.695:
	v_mov_b32_e32 v6, 25
	v_cmp_gt_i16_sdwa s[0:1], s75, v6 src0_sel:BYTE_0 src1_sel:DWORD
	s_and_b64 vcc, exec, s[0:1]
	s_cbranch_vccz .LBB39_703
; %bb.696:
	v_mov_b32_e32 v6, 28
	v_cmp_gt_i16_sdwa s[0:1], s75, v6 src0_sel:BYTE_0 src1_sel:DWORD
	s_and_b64 vcc, exec, s[0:1]
	s_cbranch_vccz .LBB39_704
	;; [unrolled: 5-line block ×4, first 2 shown]
; %bb.699:
	v_mov_b32_e32 v6, 46
	v_cmp_eq_u16_sdwa s[8:9], s75, v6 src0_sel:BYTE_0 src1_sel:DWORD
	s_mov_b64 s[10:11], 0
	s_mov_b64 s[0:1], -1
	s_and_b64 vcc, exec, s[8:9]
	s_mov_b64 s[8:9], 0
	s_cbranch_vccz .LBB39_707
; %bb.700:
	v_and_b32_e32 v6, 0xffff, v2
	global_store_dword v[0:1], v6, off
	s_mov_b64 s[8:9], -1
	s_mov_b64 s[0:1], 0
	s_branch .LBB39_707
.LBB39_701:
	s_mov_b64 s[8:9], 0
	s_mov_b64 s[0:1], s[60:61]
	s_branch .LBB39_818
.LBB39_702:
	s_mov_b64 s[10:11], -1
	s_mov_b64 s[8:9], 0
	s_mov_b64 s[0:1], s[60:61]
	s_branch .LBB39_776
.LBB39_703:
	s_mov_b64 s[10:11], -1
	s_mov_b64 s[8:9], 0
	s_mov_b64 s[0:1], s[60:61]
	s_branch .LBB39_734
.LBB39_704:
	s_mov_b64 s[10:11], -1
	s_mov_b64 s[8:9], 0
	s_mov_b64 s[0:1], s[60:61]
	s_branch .LBB39_717
.LBB39_705:
	s_mov_b64 s[10:11], -1
	s_mov_b64 s[8:9], 0
	s_mov_b64 s[0:1], s[60:61]
	s_branch .LBB39_713
.LBB39_706:
	s_mov_b64 s[10:11], -1
	s_mov_b64 s[8:9], 0
	s_mov_b64 s[0:1], s[60:61]
.LBB39_707:
	s_and_b64 vcc, exec, s[10:11]
	s_cbranch_vccz .LBB39_712
; %bb.708:
	v_mov_b32_e32 v6, 44
	v_cmp_eq_u16_sdwa s[10:11], s75, v6 src0_sel:BYTE_0 src1_sel:DWORD
	s_mov_b64 s[0:1], -1
	s_and_b64 vcc, exec, s[10:11]
	s_cbranch_vccz .LBB39_712
; %bb.709:
	v_and_b32_e32 v7, 0xffff, v2
	v_bfe_u32 v6, v7, 7, 8
	s_movk_i32 s0, 0xff
	v_cmp_ne_u32_e32 vcc, s0, v6
	v_mov_b32_e32 v9, 0xff
	s_and_saveexec_b64 s[8:9], vcc
; %bb.710:
	v_lshlrev_b32_e32 v10, 16, v7
	s_mov_b32 s0, 0x3f0000
	v_lshrrev_b32_e32 v9, 7, v7
	v_and_b32_e32 v7, 64, v7
	v_and_or_b32 v6, v10, s0, v6
	v_cmp_ne_u32_e32 vcc, 0, v7
	v_cmp_ne_u32_e64 s[0:1], 0, v6
	s_and_b64 s[0:1], vcc, s[0:1]
	v_cndmask_b32_e64 v6, 0, 1, s[0:1]
	v_add_u32_e32 v9, v9, v6
; %bb.711:
	s_or_b64 exec, exec, s[8:9]
	s_mov_b64 s[8:9], -1
	s_mov_b64 s[0:1], 0
	global_store_byte v[0:1], v9, off
.LBB39_712:
	s_mov_b64 s[10:11], 0
.LBB39_713:
	s_and_b64 vcc, exec, s[10:11]
	s_cbranch_vccz .LBB39_716
; %bb.714:
	v_mov_b32_e32 v6, 29
	v_cmp_eq_u16_sdwa s[10:11], s75, v6 src0_sel:BYTE_0 src1_sel:DWORD
	s_mov_b64 s[0:1], -1
	s_and_b64 vcc, exec, s[10:11]
	s_cbranch_vccz .LBB39_716
; %bb.715:
	v_lshlrev_b32_e32 v6, 16, v2
	v_trunc_f32_e32 v6, v6
	v_mul_f32_e32 v7, 0x2f800000, v6
	v_floor_f32_e32 v9, v7
	v_fmac_f32_e32 v6, 0xcf800000, v9
	v_cvt_u32_f32_e32 v7, v9
	v_cvt_u32_f32_e32 v6, v6
	s_mov_b64 s[8:9], -1
	s_mov_b64 s[0:1], 0
	s_mov_b64 s[10:11], 0
	global_store_dwordx2 v[0:1], v[6:7], off
	s_branch .LBB39_717
.LBB39_716:
	s_mov_b64 s[10:11], 0
.LBB39_717:
	s_and_b64 vcc, exec, s[10:11]
	s_cbranch_vccz .LBB39_733
; %bb.718:
	v_mov_b32_e32 v6, 27
	v_cmp_lt_i16_sdwa s[10:11], s75, v6 src0_sel:BYTE_0 src1_sel:DWORD
	s_mov_b64 s[8:9], -1
	s_and_b64 vcc, exec, s[10:11]
	s_cbranch_vccnz .LBB39_724
; %bb.719:
	v_cmp_gt_i16_sdwa s[10:11], s75, v6 src0_sel:BYTE_0 src1_sel:DWORD
	s_and_b64 vcc, exec, s[10:11]
	s_cbranch_vccz .LBB39_721
; %bb.720:
	v_lshlrev_b32_e32 v6, 16, v2
	v_cvt_u32_f32_e32 v6, v6
	s_mov_b64 s[8:9], 0
	global_store_dword v[0:1], v6, off
.LBB39_721:
	s_andn2_b64 vcc, exec, s[8:9]
	s_cbranch_vccnz .LBB39_723
; %bb.722:
	v_lshlrev_b32_e32 v6, 16, v2
	v_cvt_u32_f32_e32 v6, v6
	global_store_short v[0:1], v6, off
.LBB39_723:
	s_mov_b64 s[8:9], 0
.LBB39_724:
	s_andn2_b64 vcc, exec, s[8:9]
	s_cbranch_vccnz .LBB39_732
; %bb.725:
	v_lshlrev_b32_e32 v9, 16, v2
	v_and_b32_e32 v7, 0x7fffffff, v9
	s_mov_b32 s8, 0x43800000
	v_cmp_gt_u32_e32 vcc, s8, v7
	v_mov_b32_e32 v10, 0x80
	s_and_saveexec_b64 s[8:9], vcc
	s_cbranch_execz .LBB39_731
; %bb.726:
	s_mov_b32 s10, 0x3bffffff
	v_and_b32_e32 v6, 0xffff, v2
	v_cmp_lt_u32_e32 vcc, s10, v7
	s_mov_b64 s[10:11], 0
                                        ; implicit-def: $vgpr7
	s_and_saveexec_b64 s[12:13], vcc
	s_xor_b64 s[12:13], exec, s[12:13]
	s_cbranch_execz .LBB39_849
; %bb.727:
	v_bfe_u32 v7, v6, 4, 1
	s_mov_b32 s14, 0x487ffff
	v_add3_u32 v7, v9, v7, s14
	s_mov_b64 s[10:11], exec
	v_lshrrev_b32_e32 v7, 20, v7
                                        ; implicit-def: $vgpr9
	s_or_saveexec_b64 s[12:13], s[12:13]
                                        ; implicit-def: $sgpr14
	s_xor_b64 exec, exec, s[12:13]
	s_cbranch_execnz .LBB39_850
.LBB39_728:
	s_or_b64 exec, exec, s[12:13]
	v_mov_b32_e32 v10, s14
	s_and_saveexec_b64 s[12:13], s[10:11]
.LBB39_729:
	v_lshrrev_b32_e32 v6, 8, v6
	s_movk_i32 s10, 0x80
	v_and_or_b32 v10, v6, s10, v7
.LBB39_730:
	s_or_b64 exec, exec, s[12:13]
.LBB39_731:
	s_or_b64 exec, exec, s[8:9]
	global_store_byte v[0:1], v10, off
.LBB39_732:
	s_mov_b64 s[8:9], -1
.LBB39_733:
	s_mov_b64 s[10:11], 0
.LBB39_734:
	s_and_b64 vcc, exec, s[10:11]
	s_cbranch_vccz .LBB39_775
; %bb.735:
	v_mov_b32_e32 v6, 22
	v_cmp_gt_i16_sdwa s[12:13], s75, v6 src0_sel:BYTE_0 src1_sel:DWORD
	s_mov_b64 s[10:11], -1
	s_and_b64 vcc, exec, s[12:13]
	s_cbranch_vccz .LBB39_767
; %bb.736:
	v_mov_b32_e32 v6, 24
	v_cmp_lt_i16_sdwa s[10:11], s75, v6 src0_sel:BYTE_0 src1_sel:DWORD
	s_mov_b64 s[8:9], -1
	s_and_b64 vcc, exec, s[10:11]
	s_cbranch_vccnz .LBB39_756
; %bb.737:
	v_cmp_gt_i16_sdwa s[10:11], s75, v6 src0_sel:BYTE_0 src1_sel:DWORD
	s_and_b64 vcc, exec, s[10:11]
	s_cbranch_vccz .LBB39_745
; %bb.738:
	v_lshlrev_b32_e32 v9, 16, v2
	v_and_b32_e32 v7, 0x7fffffff, v9
	s_mov_b32 s8, 0x47800000
	v_cmp_gt_u32_e32 vcc, s8, v7
	v_mov_b32_e32 v10, 0x80
	s_and_saveexec_b64 s[8:9], vcc
	s_cbranch_execz .LBB39_744
; %bb.739:
	s_mov_b32 s10, 0x37ffffff
	v_and_b32_e32 v6, 0xffff, v2
	v_cmp_lt_u32_e32 vcc, s10, v7
	s_mov_b64 s[10:11], 0
                                        ; implicit-def: $vgpr7
	s_and_saveexec_b64 s[12:13], vcc
	s_xor_b64 s[12:13], exec, s[12:13]
	s_cbranch_execz .LBB39_852
; %bb.740:
	v_bfe_u32 v7, v6, 5, 1
	s_mov_b32 s14, 0x88fffff
	v_add3_u32 v7, v9, v7, s14
	s_mov_b64 s[10:11], exec
	v_lshrrev_b32_e32 v7, 21, v7
                                        ; implicit-def: $vgpr9
	s_or_saveexec_b64 s[12:13], s[12:13]
                                        ; implicit-def: $sgpr14
	s_xor_b64 exec, exec, s[12:13]
	s_cbranch_execnz .LBB39_853
.LBB39_741:
	s_or_b64 exec, exec, s[12:13]
	v_mov_b32_e32 v10, s14
	s_and_saveexec_b64 s[12:13], s[10:11]
.LBB39_742:
	v_lshrrev_b32_e32 v6, 8, v6
	s_movk_i32 s10, 0x80
	v_and_or_b32 v10, v6, s10, v7
.LBB39_743:
	s_or_b64 exec, exec, s[12:13]
.LBB39_744:
	s_or_b64 exec, exec, s[8:9]
	s_mov_b64 s[8:9], 0
	global_store_byte v[0:1], v10, off
.LBB39_745:
	s_and_b64 vcc, exec, s[8:9]
	s_cbranch_vccz .LBB39_755
; %bb.746:
	v_lshlrev_b32_e32 v9, 16, v2
	v_and_b32_e32 v10, 0x7fffffff, v9
	s_mov_b32 s8, 0x43f00000
	v_and_b32_e32 v6, 0xffff, v2
	v_cmp_gt_u32_e32 vcc, s8, v10
                                        ; implicit-def: $vgpr7
	s_and_saveexec_b64 s[8:9], vcc
	s_xor_b64 s[8:9], exec, s[8:9]
	s_cbranch_execz .LBB39_752
; %bb.747:
	s_mov_b32 s10, 0x3c7fffff
	v_cmp_lt_u32_e32 vcc, s10, v10
                                        ; implicit-def: $vgpr7
	s_and_saveexec_b64 s[10:11], vcc
	s_xor_b64 s[10:11], exec, s[10:11]
; %bb.748:
	v_bfe_u32 v7, v6, 4, 1
	s_mov_b32 s12, 0x407ffff
	v_add3_u32 v7, v9, v7, s12
	v_lshrrev_b32_e32 v9, 20, v7
	v_and_b32_e32 v7, 0xff00000, v7
	s_mov_b32 s12, 0x7f00000
	v_mov_b32_e32 v10, 0x7e
	v_cmp_ne_u32_e32 vcc, s12, v7
	v_cndmask_b32_e32 v7, v10, v9, vcc
                                        ; implicit-def: $vgpr9
; %bb.749:
	s_andn2_saveexec_b64 s[10:11], s[10:11]
; %bb.750:
	s_mov_b32 s12, 0x46800000
	v_add_f32_e64 v7, |v9|, s12
; %bb.751:
	s_or_b64 exec, exec, s[10:11]
                                        ; implicit-def: $vgpr10
.LBB39_752:
	s_andn2_saveexec_b64 s[8:9], s[8:9]
; %bb.753:
	s_mov_b32 s10, 0x7f800000
	v_mov_b32_e32 v7, 0x7e
	v_mov_b32_e32 v9, 0x7f
	v_cmp_lt_u32_e32 vcc, s10, v10
	v_cndmask_b32_e32 v7, v7, v9, vcc
; %bb.754:
	s_or_b64 exec, exec, s[8:9]
	v_lshrrev_b32_e32 v6, 8, v6
	s_movk_i32 s8, 0x80
	v_and_or_b32 v6, v6, s8, v7
	global_store_byte v[0:1], v6, off
.LBB39_755:
	s_mov_b64 s[8:9], 0
.LBB39_756:
	s_andn2_b64 vcc, exec, s[8:9]
	s_cbranch_vccnz .LBB39_766
; %bb.757:
	v_lshlrev_b32_e32 v9, 16, v2
	v_and_b32_e32 v10, 0x7fffffff, v9
	s_mov_b32 s8, 0x47800000
	v_and_b32_e32 v6, 0xffff, v2
	v_cmp_gt_u32_e32 vcc, s8, v10
                                        ; implicit-def: $vgpr7
	s_and_saveexec_b64 s[8:9], vcc
	s_xor_b64 s[8:9], exec, s[8:9]
	s_cbranch_execz .LBB39_763
; %bb.758:
	s_mov_b32 s10, 0x387fffff
	v_cmp_lt_u32_e32 vcc, s10, v10
                                        ; implicit-def: $vgpr7
	s_and_saveexec_b64 s[10:11], vcc
	s_xor_b64 s[10:11], exec, s[10:11]
; %bb.759:
	v_bfe_u32 v7, v6, 5, 1
	s_mov_b32 s12, 0x80fffff
	v_add3_u32 v7, v9, v7, s12
	v_lshrrev_b32_e32 v7, 21, v7
                                        ; implicit-def: $vgpr9
; %bb.760:
	s_andn2_saveexec_b64 s[10:11], s[10:11]
; %bb.761:
	s_mov_b32 s12, 0x43000000
	v_add_f32_e64 v7, |v9|, s12
; %bb.762:
	s_or_b64 exec, exec, s[10:11]
                                        ; implicit-def: $vgpr10
.LBB39_763:
	s_andn2_saveexec_b64 s[8:9], s[8:9]
; %bb.764:
	s_mov_b32 s10, 0x7f800000
	v_mov_b32_e32 v7, 0x7c
	v_mov_b32_e32 v9, 0x7f
	v_cmp_lt_u32_e32 vcc, s10, v10
	v_cndmask_b32_e32 v7, v7, v9, vcc
; %bb.765:
	s_or_b64 exec, exec, s[8:9]
	v_lshrrev_b32_e32 v6, 8, v6
	s_movk_i32 s8, 0x80
	v_and_or_b32 v6, v6, s8, v7
	global_store_byte v[0:1], v6, off
.LBB39_766:
	s_mov_b64 s[10:11], 0
	s_mov_b64 s[8:9], -1
.LBB39_767:
	s_andn2_b64 vcc, exec, s[10:11]
	s_cbranch_vccnz .LBB39_775
; %bb.768:
	v_mov_b32_e32 v6, 14
	v_cmp_gt_i16_sdwa s[12:13], s75, v6 src0_sel:BYTE_0 src1_sel:DWORD
	s_mov_b64 s[10:11], -1
	s_and_b64 vcc, exec, s[12:13]
	s_cbranch_vccz .LBB39_772
; %bb.769:
	v_mov_b32_e32 v6, 15
	v_cmp_eq_u16_sdwa s[10:11], s75, v6 src0_sel:BYTE_0 src1_sel:DWORD
	s_mov_b64 s[0:1], -1
	s_and_b64 vcc, exec, s[10:11]
	s_cbranch_vccz .LBB39_771
; %bb.770:
	global_store_short v[0:1], v2, off
	s_mov_b64 s[8:9], -1
	s_mov_b64 s[0:1], 0
.LBB39_771:
	s_mov_b64 s[10:11], 0
.LBB39_772:
	s_and_b64 vcc, exec, s[10:11]
	s_cbranch_vccz .LBB39_775
; %bb.773:
	v_mov_b32_e32 v6, 11
	v_cmp_eq_u16_sdwa s[10:11], s75, v6 src0_sel:BYTE_0 src1_sel:DWORD
	s_mov_b64 s[0:1], -1
	s_and_b64 vcc, exec, s[10:11]
	s_cbranch_vccz .LBB39_775
; %bb.774:
	v_cmp_ne_u16_e32 vcc, 0, v3
	v_cndmask_b32_e64 v3, 0, 1, vcc
	s_mov_b64 s[8:9], -1
	s_mov_b64 s[0:1], 0
	global_store_byte v[0:1], v3, off
.LBB39_775:
	s_mov_b64 s[10:11], 0
.LBB39_776:
	s_and_b64 vcc, exec, s[10:11]
	s_cbranch_vccz .LBB39_815
; %bb.777:
	v_mov_b32_e32 v3, 5
	v_cmp_lt_i16_sdwa s[10:11], s75, v3 src0_sel:BYTE_0 src1_sel:DWORD
	s_mov_b64 s[8:9], -1
	s_and_b64 vcc, exec, s[10:11]
	s_cbranch_vccnz .LBB39_798
; %bb.778:
	v_mov_b32_e32 v3, 8
	v_cmp_lt_i16_sdwa s[10:11], s75, v3 src0_sel:BYTE_0 src1_sel:DWORD
	s_and_b64 vcc, exec, s[10:11]
	s_cbranch_vccnz .LBB39_788
; %bb.779:
	v_mov_b32_e32 v3, 9
	v_cmp_lt_i16_sdwa s[10:11], s75, v3 src0_sel:BYTE_0 src1_sel:DWORD
	s_and_b64 vcc, exec, s[10:11]
	s_cbranch_vccnz .LBB39_785
; %bb.780:
	v_cmp_gt_i16_sdwa s[10:11], s75, v3 src0_sel:BYTE_0 src1_sel:DWORD
	s_and_b64 vcc, exec, s[10:11]
	s_cbranch_vccz .LBB39_782
; %bb.781:
	v_lshlrev_b32_e32 v3, 16, v2
	v_mov_b32_e32 v12, 0
	v_cvt_f64_f32_e32 v[10:11], v3
	v_mov_b32_e32 v13, v12
	s_mov_b64 s[8:9], 0
	global_store_dwordx4 v[0:1], v[10:13], off
.LBB39_782:
	s_andn2_b64 vcc, exec, s[8:9]
	s_cbranch_vccnz .LBB39_784
; %bb.783:
	v_lshlrev_b32_e32 v6, 16, v2
	v_mov_b32_e32 v7, 0
	global_store_dwordx2 v[0:1], v[6:7], off
.LBB39_784:
	s_mov_b64 s[8:9], 0
.LBB39_785:
	s_andn2_b64 vcc, exec, s[8:9]
	s_cbranch_vccnz .LBB39_787
; %bb.786:
	v_lshlrev_b32_e32 v3, 16, v2
	v_cvt_f16_f32_e32 v3, v3
	global_store_dword v[0:1], v3, off
.LBB39_787:
	s_mov_b64 s[8:9], 0
.LBB39_788:
	s_andn2_b64 vcc, exec, s[8:9]
	s_cbranch_vccnz .LBB39_797
; %bb.789:
	v_mov_b32_e32 v3, 6
	v_cmp_lt_i16_sdwa s[10:11], s75, v3 src0_sel:BYTE_0 src1_sel:DWORD
	s_mov_b64 s[8:9], -1
	s_and_b64 vcc, exec, s[10:11]
	s_cbranch_vccnz .LBB39_795
; %bb.790:
	v_cmp_gt_i16_sdwa s[10:11], s75, v3 src0_sel:BYTE_0 src1_sel:DWORD
	s_and_b64 vcc, exec, s[10:11]
	s_cbranch_vccz .LBB39_792
; %bb.791:
	v_lshlrev_b32_e32 v3, 16, v2
	v_cvt_f64_f32_e32 v[6:7], v3
	s_mov_b64 s[8:9], 0
	global_store_dwordx2 v[0:1], v[6:7], off
.LBB39_792:
	s_andn2_b64 vcc, exec, s[8:9]
	s_cbranch_vccnz .LBB39_794
; %bb.793:
	v_lshlrev_b32_e32 v3, 16, v2
	global_store_dword v[0:1], v3, off
.LBB39_794:
	s_mov_b64 s[8:9], 0
.LBB39_795:
	s_andn2_b64 vcc, exec, s[8:9]
	s_cbranch_vccnz .LBB39_797
; %bb.796:
	v_lshlrev_b32_e32 v3, 16, v2
	v_cvt_f16_f32_e32 v3, v3
	global_store_short v[0:1], v3, off
.LBB39_797:
	s_mov_b64 s[8:9], 0
.LBB39_798:
	s_andn2_b64 vcc, exec, s[8:9]
	s_cbranch_vccnz .LBB39_814
; %bb.799:
	v_mov_b32_e32 v3, 2
	v_cmp_lt_i16_sdwa s[10:11], s75, v3 src0_sel:BYTE_0 src1_sel:DWORD
	s_mov_b64 s[8:9], -1
	s_and_b64 vcc, exec, s[10:11]
	s_cbranch_vccnz .LBB39_809
; %bb.800:
	v_mov_b32_e32 v3, 3
	v_cmp_lt_i16_sdwa s[10:11], s75, v3 src0_sel:BYTE_0 src1_sel:DWORD
	s_and_b64 vcc, exec, s[10:11]
	s_cbranch_vccnz .LBB39_806
; %bb.801:
	v_cmp_gt_i16_sdwa s[10:11], s75, v3 src0_sel:BYTE_0 src1_sel:DWORD
	s_and_b64 vcc, exec, s[10:11]
	s_cbranch_vccz .LBB39_803
; %bb.802:
	v_lshlrev_b32_e32 v3, 16, v2
	v_trunc_f32_e32 v3, v3
	s_mov_b32 s8, 0x2f800000
	v_mul_f32_e64 v6, |v3|, s8
	v_floor_f32_e32 v6, v6
	s_mov_b32 s8, 0xcf800000
	v_cvt_u32_f32_e32 v7, v6
	v_fma_f32 v6, v6, s8, |v3|
	v_cvt_u32_f32_e32 v6, v6
	v_ashrrev_i32_e32 v3, 31, v3
	v_xor_b32_e32 v7, v7, v3
	s_mov_b64 s[8:9], 0
	v_xor_b32_e32 v6, v6, v3
	v_sub_co_u32_e32 v6, vcc, v6, v3
	v_subb_co_u32_e32 v7, vcc, v7, v3, vcc
	global_store_dwordx2 v[0:1], v[6:7], off
.LBB39_803:
	s_andn2_b64 vcc, exec, s[8:9]
	s_cbranch_vccnz .LBB39_805
; %bb.804:
	v_lshlrev_b32_e32 v3, 16, v2
	v_cvt_i32_f32_e32 v3, v3
	global_store_dword v[0:1], v3, off
.LBB39_805:
	s_mov_b64 s[8:9], 0
.LBB39_806:
	s_andn2_b64 vcc, exec, s[8:9]
	s_cbranch_vccnz .LBB39_808
; %bb.807:
	v_lshlrev_b32_e32 v3, 16, v2
	v_cvt_i32_f32_e32 v3, v3
	global_store_short v[0:1], v3, off
.LBB39_808:
	s_mov_b64 s[8:9], 0
.LBB39_809:
	s_andn2_b64 vcc, exec, s[8:9]
	s_cbranch_vccnz .LBB39_814
; %bb.810:
	v_mov_b32_e32 v3, 0
	v_cmp_gt_i16_sdwa s[10:11], s75, v3 src0_sel:BYTE_0 src1_sel:DWORD
	s_mov_b64 s[8:9], -1
	s_and_b64 vcc, exec, s[10:11]
	v_lshlrev_b32_e32 v2, 16, v2
	s_cbranch_vccz .LBB39_812
; %bb.811:
	v_cvt_i32_f32_e32 v3, v2
	s_mov_b64 s[8:9], 0
	global_store_byte v[0:1], v3, off
.LBB39_812:
	s_andn2_b64 vcc, exec, s[8:9]
	s_cbranch_vccnz .LBB39_814
; %bb.813:
	v_trunc_f32_e32 v2, v2
	s_mov_b32 s8, 0x2f800000
	v_mul_f32_e64 v3, |v2|, s8
	v_floor_f32_e32 v3, v3
	s_mov_b32 s8, 0xcf800000
	v_fma_f32 v3, v3, s8, |v2|
	v_cvt_u32_f32_e32 v3, v3
	v_ashrrev_i32_e32 v2, 31, v2
	v_xor_b32_e32 v3, v3, v2
	v_sub_u32_e32 v2, v3, v2
	global_store_byte v[0:1], v2, off
.LBB39_814:
	s_mov_b64 s[8:9], -1
.LBB39_815:
	s_andn2_b64 vcc, exec, s[8:9]
	s_cbranch_vccnz .LBB39_817
; %bb.816:
	v_add_u32_e32 v8, 0x80, v8
	s_mov_b64 s[8:9], -1
	s_branch .LBB39_819
.LBB39_817:
	s_mov_b64 s[8:9], 0
.LBB39_818:
                                        ; implicit-def: $vgpr8
.LBB39_819:
	s_andn2_b64 s[10:11], s[60:61], exec
	s_and_b64 s[0:1], s[0:1], exec
	s_or_b64 s[68:69], s[10:11], s[0:1]
	s_andn2_b64 s[0:1], s[58:59], exec
	s_and_b64 s[2:3], s[2:3], exec
	s_or_b64 s[66:67], s[0:1], s[2:3]
	s_orn2_b64 s[2:3], s[8:9], exec
.LBB39_820:
	s_or_b64 exec, exec, s[64:65]
	s_mov_b64 s[0:1], 0
	s_mov_b64 s[8:9], 0
	;; [unrolled: 1-line block ×3, first 2 shown]
                                        ; implicit-def: $vgpr2_vgpr3
                                        ; implicit-def: $vgpr0
                                        ; implicit-def: $vgpr6
	s_and_saveexec_b64 s[64:65], s[2:3]
	s_cbranch_execz .LBB39_920
; %bb.821:
	v_cmp_gt_i32_e32 vcc, s72, v8
	s_mov_b64 s[2:3], 0
	s_mov_b64 s[12:13], s[66:67]
                                        ; implicit-def: $vgpr2_vgpr3
                                        ; implicit-def: $vgpr0
                                        ; implicit-def: $vgpr6
	s_and_saveexec_b64 s[70:71], vcc
	s_cbranch_execz .LBB39_919
; %bb.822:
	s_andn2_b64 vcc, exec, s[40:41]
	s_cbranch_vccnz .LBB39_828
; %bb.823:
	s_mov_b32 s72, 0
	s_andn2_b64 vcc, exec, s[50:51]
	v_mov_b32_e32 v2, 0
	v_mov_b32_e32 v0, 0
	s_cbranch_vccnz .LBB39_834
; %bb.824:
	s_add_i32 s76, s73, 1
	s_cmp_eq_u32 s74, 2
	s_cbranch_scc1 .LBB39_829
; %bb.825:
	s_and_b32 s72, s76, 28
	s_mov_b32 s73, 0
	v_mov_b32_e32 v0, 0
	s_mov_b64 s[50:51], s[34:35]
	v_mov_b32_e32 v3, v8
	v_mov_b32_e32 v2, 0
.LBB39_826:                             ; =>This Inner Loop Header: Depth=1
	s_load_dwordx8 s[16:23], s[50:51], 0x4
	s_load_dwordx4 s[0:3], s[50:51], 0x24
	s_load_dwordx8 s[8:15], s[48:49], 0x0
	s_add_u32 s50, s50, 48
	s_addc_u32 s51, s51, 0
	s_waitcnt vmcnt(0) lgkmcnt(0)
	v_mul_hi_u32 v1, s17, v3
	v_add_u32_e32 v1, v3, v1
	v_lshrrev_b32_e32 v1, s18, v1
	v_mul_lo_u32 v6, v1, s16
	v_mul_hi_u32 v7, s20, v1
	v_sub_u32_e32 v3, v3, v6
	v_add_u32_e32 v6, v1, v7
	v_lshrrev_b32_e32 v6, s21, v6
	v_mul_lo_u32 v9, v6, s19
	v_mul_hi_u32 v10, s23, v6
	v_sub_u32_e32 v1, v1, v9
	v_add_u32_e32 v9, v6, v10
	v_mul_lo_u32 v7, v3, s9
	v_mul_lo_u32 v3, v3, s8
	;; [unrolled: 1-line block ×4, first 2 shown]
	v_lshrrev_b32_e32 v9, s0, v9
	v_add3_u32 v0, v3, v0, v1
	v_mul_hi_u32 v3, s2, v9
	v_add_u32_e32 v3, v9, v3
	v_lshrrev_b32_e32 v3, s3, v3
	s_add_i32 s73, s73, 4
	v_add3_u32 v1, v7, v2, v10
	v_mul_lo_u32 v2, v9, s22
	v_mul_lo_u32 v7, v3, s1
	s_add_u32 s48, s48, 32
	v_sub_u32_e32 v2, v6, v2
	v_sub_u32_e32 v7, v9, v7
	s_addc_u32 s49, s49, 0
	v_mul_lo_u32 v6, v2, s12
	v_mul_lo_u32 v2, v2, s13
	;; [unrolled: 1-line block ×4, first 2 shown]
	s_cmp_eq_u32 s72, s73
	v_add3_u32 v2, v2, v1, v7
	v_add3_u32 v0, v6, v0, v9
	s_cbranch_scc0 .LBB39_826
; %bb.827:
	v_mov_b32_e32 v1, v2
	s_branch .LBB39_830
.LBB39_828:
	s_mov_b64 s[0:1], -1
                                        ; implicit-def: $vgpr2
                                        ; implicit-def: $vgpr0
	s_branch .LBB39_835
.LBB39_829:
	s_mov_b32 s73, s72
	s_waitcnt vmcnt(0)
	v_pk_mov_b32 v[0:1], s[72:73], s[72:73] op_sel:[0,1]
                                        ; implicit-def: $vgpr2
	v_mov_b32_e32 v3, v8
.LBB39_830:
	s_and_b32 s8, s76, 3
	s_cmp_eq_u32 s8, 0
	s_cbranch_scc1 .LBB39_834
; %bb.831:
	s_lshl_b32 s0, s72, 3
	s_add_u32 s0, s0, s34
	s_addc_u32 s1, s35, 0
	s_add_u32 s0, s0, 0xc4
	s_addc_u32 s1, s1, 0
	s_mul_i32 s2, s72, 12
	s_add_u32 s2, s34, s2
	s_addc_u32 s3, s35, 0
.LBB39_832:                             ; =>This Inner Loop Header: Depth=1
	s_load_dwordx2 s[10:11], s[2:3], 0x4
	s_load_dword s9, s[2:3], 0xc
	s_load_dwordx2 s[12:13], s[0:1], 0x0
	v_mov_b32_e32 v2, v1
	s_add_u32 s2, s2, 12
	s_waitcnt lgkmcnt(0)
	v_mul_hi_u32 v1, s11, v3
	v_add_u32_e32 v1, v3, v1
	v_lshrrev_b32_e32 v1, s9, v1
	s_addc_u32 s3, s3, 0
	v_mul_lo_u32 v6, v1, s10
	s_add_u32 s0, s0, 8
	v_sub_u32_e32 v9, v3, v6
	v_mov_b32_e32 v3, v1
	s_addc_u32 s1, s1, 0
	s_add_i32 s8, s8, -1
	v_mad_u64_u32 v[6:7], s[10:11], v9, s13, v[2:3]
	v_mad_u64_u32 v[0:1], s[10:11], v9, s12, v[0:1]
	s_cmp_lg_u32 s8, 0
	v_mov_b32_e32 v1, v6
	s_cbranch_scc1 .LBB39_832
; %bb.833:
	v_mov_b32_e32 v2, v1
.LBB39_834:
	s_mov_b64 s[0:1], 0
.LBB39_835:
	s_andn2_b64 vcc, exec, s[0:1]
	s_cbranch_vccnz .LBB39_838
; %bb.836:
	v_mul_hi_u32 v0, s29, v8
	v_add_u32_e32 v0, v8, v0
	s_waitcnt vmcnt(0)
	v_lshrrev_b32_e32 v1, s30, v0
	v_mul_lo_u32 v0, v1, s28
	v_sub_u32_e32 v0, v8, v0
	v_mul_lo_u32 v2, v0, s37
	s_andn2_b64 vcc, exec, s[46:47]
	v_mul_lo_u32 v0, v0, s36
	s_cbranch_vccnz .LBB39_838
; %bb.837:
	v_mul_hi_u32 v3, s44, v1
	v_add_u32_e32 v3, v1, v3
	v_lshrrev_b32_e32 v3, s45, v3
	v_mul_lo_u32 v3, v3, s31
	v_sub_u32_e32 v3, v1, v3
	v_mad_u64_u32 v[0:1], s[0:1], v3, s38, v[0:1]
	v_mad_u64_u32 v[2:3], s[0:1], v3, s39, v[2:3]
.LBB39_838:
	s_waitcnt vmcnt(0)
	v_mov_b32_e32 v1, s27
	v_add_co_u32_e32 v2, vcc, s26, v2
	v_addc_co_u32_e32 v3, vcc, 0, v1, vcc
	v_cmp_gt_i16_e32 vcc, 11, v5
	s_cbranch_vccnz .LBB39_845
; %bb.839:
	v_cmp_lt_i16_e32 vcc, 25, v5
	s_mov_b64 s[2:3], 0
	s_cbranch_vccz .LBB39_846
; %bb.840:
	v_cmp_lt_i16_e32 vcc, 28, v5
	s_cbranch_vccz .LBB39_847
; %bb.841:
	v_cmp_lt_i16_e32 vcc, 43, v5
	;; [unrolled: 3-line block ×3, first 2 shown]
	s_cbranch_vccz .LBB39_851
; %bb.843:
	v_cmp_eq_u16_e32 vcc, 46, v5
	s_mov_b64 s[10:11], 0
	s_cbranch_vccz .LBB39_854
; %bb.844:
	global_load_dword v6, v[2:3], off
	s_mov_b64 s[0:1], 0
	s_mov_b64 s[8:9], -1
	s_branch .LBB39_855
.LBB39_845:
	s_mov_b64 s[12:13], -1
	s_mov_b64 s[8:9], 0
	s_mov_b64 s[2:3], 0
	s_mov_b64 s[0:1], s[66:67]
                                        ; implicit-def: $vgpr6
	s_branch .LBB39_918
.LBB39_846:
	s_mov_b64 s[10:11], -1
	s_mov_b64 s[8:9], 0
	s_mov_b64 s[0:1], s[66:67]
                                        ; implicit-def: $vgpr6
	s_branch .LBB39_884
.LBB39_847:
	s_mov_b64 s[10:11], -1
	s_mov_b64 s[8:9], 0
	s_mov_b64 s[0:1], s[66:67]
                                        ; implicit-def: $vgpr6
	s_branch .LBB39_865
.LBB39_848:
	s_mov_b64 s[10:11], -1
	s_mov_b64 s[8:9], 0
	s_mov_b64 s[0:1], s[66:67]
                                        ; implicit-def: $vgpr6
	s_branch .LBB39_860
.LBB39_849:
	s_or_saveexec_b64 s[12:13], s[12:13]
                                        ; implicit-def: $sgpr14
	s_xor_b64 exec, exec, s[12:13]
	s_cbranch_execz .LBB39_728
.LBB39_850:
	s_mov_b32 s14, 0x46000000
	v_add_f32_e64 v7, |v9|, s14
	v_and_b32_e32 v7, 0xff, v7
	v_cmp_ne_u32_e32 vcc, 0, v7
	s_andn2_b64 s[10:11], s[10:11], exec
	s_and_b64 s[16:17], vcc, exec
	s_mov_b32 s14, 0
	s_or_b64 s[10:11], s[10:11], s[16:17]
	s_or_b64 exec, exec, s[12:13]
	v_mov_b32_e32 v10, s14
	s_and_saveexec_b64 s[12:13], s[10:11]
	s_cbranch_execnz .LBB39_729
	s_branch .LBB39_730
.LBB39_851:
	s_mov_b64 s[10:11], -1
	s_mov_b64 s[8:9], 0
	s_mov_b64 s[0:1], s[66:67]
                                        ; implicit-def: $vgpr6
	s_branch .LBB39_855
.LBB39_852:
	s_or_saveexec_b64 s[12:13], s[12:13]
                                        ; implicit-def: $sgpr14
	s_xor_b64 exec, exec, s[12:13]
	s_cbranch_execz .LBB39_741
.LBB39_853:
	s_mov_b32 s14, 0x42800000
	v_add_f32_e64 v7, |v9|, s14
	v_and_b32_e32 v7, 0xff, v7
	v_cmp_ne_u32_e32 vcc, 0, v7
	s_andn2_b64 s[10:11], s[10:11], exec
	s_and_b64 s[16:17], vcc, exec
	s_mov_b32 s14, 0
	s_or_b64 s[10:11], s[10:11], s[16:17]
	s_or_b64 exec, exec, s[12:13]
	v_mov_b32_e32 v10, s14
	s_and_saveexec_b64 s[12:13], s[10:11]
	s_cbranch_execnz .LBB39_742
	s_branch .LBB39_743
.LBB39_854:
	s_mov_b64 s[0:1], -1
                                        ; implicit-def: $vgpr6
	s_mov_b64 s[8:9], 0
.LBB39_855:
	s_and_b64 vcc, exec, s[10:11]
	s_cbranch_vccz .LBB39_859
; %bb.856:
	v_cmp_eq_u16_e32 vcc, 44, v5
	s_cbranch_vccz .LBB39_858
; %bb.857:
	global_load_ubyte v1, v[2:3], off
	s_movk_i32 s8, 0xff
	s_waitcnt vmcnt(1)
	v_mov_b32_e32 v6, 0x7f800001
	v_mov_b32_e32 v7, 0x400000
	;; [unrolled: 1-line block ×3, first 2 shown]
	s_mov_b64 s[0:1], 0
	s_waitcnt vmcnt(0)
	v_lshlrev_b32_e32 v9, 23, v1
	v_cmp_ne_u32_e32 vcc, s8, v1
	v_cndmask_b32_e32 v6, v6, v9, vcc
	v_cmp_ne_u32_e32 vcc, 0, v1
	v_cndmask_b32_e32 v1, v7, v6, vcc
	v_add_u32_e32 v6, 0x7fff, v1
	v_lshrrev_b32_e32 v6, 16, v6
	v_cmp_o_f32_e32 vcc, v1, v1
	v_cndmask_b32_e32 v6, v8, v6, vcc
	s_mov_b64 s[8:9], -1
	s_branch .LBB39_859
.LBB39_858:
	s_mov_b64 s[0:1], -1
                                        ; implicit-def: $vgpr6
.LBB39_859:
	s_mov_b64 s[10:11], 0
.LBB39_860:
	s_and_b64 vcc, exec, s[10:11]
	s_cbranch_vccz .LBB39_864
; %bb.861:
	v_cmp_eq_u16_e32 vcc, 29, v5
	s_cbranch_vccz .LBB39_863
; %bb.862:
	global_load_dwordx2 v[6:7], v[2:3], off
	s_movk_i32 s8, 0x7fff
	s_mov_b64 s[0:1], 0
	s_mov_b64 s[10:11], 0
	s_waitcnt vmcnt(0)
	v_ffbh_u32_e32 v1, v7
	v_min_u32_e32 v1, 32, v1
	v_lshlrev_b64 v[6:7], v1, v[6:7]
	v_min_u32_e32 v6, 1, v6
	v_or_b32_e32 v6, v7, v6
	v_cvt_f32_u32_e32 v6, v6
	v_sub_u32_e32 v1, 32, v1
	v_ldexp_f32 v1, v6, v1
	v_bfe_u32 v6, v1, 16, 1
	v_add3_u32 v1, v1, v6, s8
	v_lshrrev_b32_e32 v6, 16, v1
	s_mov_b64 s[8:9], -1
	s_branch .LBB39_865
.LBB39_863:
	s_mov_b64 s[0:1], -1
                                        ; implicit-def: $vgpr6
.LBB39_864:
	s_mov_b64 s[10:11], 0
.LBB39_865:
	s_and_b64 vcc, exec, s[10:11]
	s_cbranch_vccz .LBB39_883
; %bb.866:
	v_cmp_gt_i16_e32 vcc, 27, v5
	s_cbranch_vccnz .LBB39_869
; %bb.867:
	v_cmp_lt_i16_e32 vcc, 27, v5
	s_cbranch_vccz .LBB39_870
; %bb.868:
	global_load_dword v1, v[2:3], off
	s_movk_i32 s8, 0x7fff
	s_waitcnt vmcnt(0)
	v_cvt_f32_u32_e32 v1, v1
	v_bfe_u32 v6, v1, 16, 1
	v_add3_u32 v1, v1, v6, s8
	v_lshrrev_b32_e32 v6, 16, v1
	s_mov_b64 s[8:9], 0
	s_branch .LBB39_871
.LBB39_869:
	s_mov_b64 s[8:9], -1
                                        ; implicit-def: $vgpr6
	s_branch .LBB39_874
.LBB39_870:
	s_mov_b64 s[8:9], -1
                                        ; implicit-def: $vgpr6
.LBB39_871:
	s_andn2_b64 vcc, exec, s[8:9]
	s_cbranch_vccnz .LBB39_873
; %bb.872:
	global_load_ushort v1, v[2:3], off
	s_movk_i32 s8, 0x7fff
	s_waitcnt vmcnt(0)
	v_cvt_f32_u32_e32 v1, v1
	v_bfe_u32 v6, v1, 16, 1
	v_add3_u32 v1, v1, v6, s8
	v_lshrrev_b32_e32 v6, 16, v1
.LBB39_873:
	s_mov_b64 s[8:9], 0
.LBB39_874:
	s_andn2_b64 vcc, exec, s[8:9]
	s_cbranch_vccnz .LBB39_882
; %bb.875:
	global_load_ubyte v1, v[2:3], off
	s_movk_i32 s8, 0x7f
                                        ; implicit-def: $sgpr14
	s_waitcnt vmcnt(0)
	v_cmp_lt_i16_e32 vcc, s8, v1
	s_mov_b64 s[8:9], 0
	s_and_saveexec_b64 s[10:11], vcc
	s_xor_b64 s[10:11], exec, s[10:11]
	s_cbranch_execz .LBB39_896
; %bb.876:
	s_movk_i32 s8, 0x80
	v_cmp_eq_u16_e32 vcc, s8, v1
	s_mov_b64 s[8:9], -1
                                        ; implicit-def: $sgpr14
	s_and_saveexec_b64 s[12:13], vcc
; %bb.877:
	s_mov_b32 s14, 0x7f800001
	s_xor_b64 s[8:9], exec, -1
; %bb.878:
	s_or_b64 exec, exec, s[12:13]
	s_and_b64 s[8:9], s[8:9], exec
	s_or_saveexec_b64 s[10:11], s[10:11]
	v_mov_b32_e32 v6, s14
	s_xor_b64 exec, exec, s[10:11]
	s_cbranch_execnz .LBB39_897
.LBB39_879:
	s_or_b64 exec, exec, s[10:11]
	s_and_saveexec_b64 s[10:11], s[8:9]
	s_cbranch_execz .LBB39_881
.LBB39_880:
	v_lshlrev_b32_e32 v6, 24, v1
	v_and_b32_e32 v1, 0xffff, v1
	v_and_b32_e32 v7, 7, v1
	v_ffbh_u32_e32 v9, v7
	v_min_u32_e32 v9, 32, v9
	v_subrev_u32_e32 v10, 28, v9
	v_bfe_u32 v8, v1, 3, 4
	v_lshlrev_b32_e32 v1, v10, v1
	v_sub_u32_e32 v9, 29, v9
	v_and_b32_e32 v1, 7, v1
	v_cmp_eq_u32_e32 vcc, 0, v8
	v_cndmask_b32_e32 v8, v8, v9, vcc
	v_cndmask_b32_e32 v1, v7, v1, vcc
	v_mov_b32_e32 v7, 0x3b800000
	v_lshlrev_b32_e32 v1, 20, v1
	v_and_b32_e32 v6, 0x80000000, v6
	v_lshl_add_u32 v7, v8, 23, v7
	v_or3_b32 v6, v6, v7, v1
.LBB39_881:
	s_or_b64 exec, exec, s[10:11]
	v_bfe_u32 v1, v6, 16, 1
	s_movk_i32 s8, 0x7fff
	v_add3_u32 v1, v6, v1, s8
	v_lshrrev_b32_e32 v1, 16, v1
	v_mov_b32_e32 v7, 0x7fc0
	v_cmp_o_f32_e32 vcc, v6, v6
	v_cndmask_b32_e32 v6, v7, v1, vcc
.LBB39_882:
	s_mov_b64 s[8:9], -1
.LBB39_883:
	s_mov_b64 s[10:11], 0
.LBB39_884:
	s_and_b64 vcc, exec, s[10:11]
	s_cbranch_vccz .LBB39_917
; %bb.885:
	v_cmp_lt_i16_e32 vcc, 22, v5
	s_cbranch_vccz .LBB39_895
; %bb.886:
	v_cmp_gt_i16_e32 vcc, 24, v5
	s_cbranch_vccnz .LBB39_898
; %bb.887:
	v_cmp_lt_i16_e32 vcc, 24, v5
	s_cbranch_vccz .LBB39_899
; %bb.888:
	global_load_ubyte v1, v[2:3], off
	s_movk_i32 s2, 0x7f
                                        ; implicit-def: $sgpr12
	s_waitcnt vmcnt(0)
	v_cmp_lt_i16_e32 vcc, s2, v1
	s_mov_b64 s[2:3], 0
	s_and_saveexec_b64 s[8:9], vcc
	s_xor_b64 s[8:9], exec, s[8:9]
	s_cbranch_execz .LBB39_911
; %bb.889:
	s_movk_i32 s2, 0x80
	v_cmp_eq_u16_e32 vcc, s2, v1
	s_mov_b64 s[2:3], -1
                                        ; implicit-def: $sgpr12
	s_and_saveexec_b64 s[10:11], vcc
; %bb.890:
	s_mov_b32 s12, 0x7f800001
	s_xor_b64 s[2:3], exec, -1
; %bb.891:
	s_or_b64 exec, exec, s[10:11]
	s_and_b64 s[2:3], s[2:3], exec
	s_or_saveexec_b64 s[8:9], s[8:9]
	v_mov_b32_e32 v6, s12
	s_xor_b64 exec, exec, s[8:9]
	s_cbranch_execnz .LBB39_912
.LBB39_892:
	s_or_b64 exec, exec, s[8:9]
	s_and_saveexec_b64 s[8:9], s[2:3]
	s_cbranch_execz .LBB39_894
.LBB39_893:
	v_lshlrev_b32_e32 v6, 24, v1
	v_and_b32_e32 v1, 0xffff, v1
	v_and_b32_e32 v7, 3, v1
	v_ffbh_u32_e32 v9, v7
	v_min_u32_e32 v9, 32, v9
	v_subrev_u32_e32 v10, 29, v9
	v_bfe_u32 v8, v1, 2, 5
	v_lshlrev_b32_e32 v1, v10, v1
	v_sub_u32_e32 v9, 30, v9
	v_and_b32_e32 v1, 3, v1
	v_cmp_eq_u32_e32 vcc, 0, v8
	v_cndmask_b32_e32 v8, v8, v9, vcc
	v_cndmask_b32_e32 v1, v7, v1, vcc
	v_mov_b32_e32 v7, 0x37800000
	v_lshlrev_b32_e32 v1, 21, v1
	v_and_b32_e32 v6, 0x80000000, v6
	v_lshl_add_u32 v7, v8, 23, v7
	v_or3_b32 v6, v6, v7, v1
.LBB39_894:
	s_or_b64 exec, exec, s[8:9]
	v_bfe_u32 v1, v6, 16, 1
	s_movk_i32 s2, 0x7fff
	v_add3_u32 v1, v6, v1, s2
	v_lshrrev_b32_e32 v1, 16, v1
	v_mov_b32_e32 v7, 0x7fc0
	v_cmp_o_f32_e32 vcc, v6, v6
	v_cndmask_b32_e32 v6, v7, v1, vcc
	s_mov_b64 s[2:3], 0
	s_branch .LBB39_900
.LBB39_895:
	s_mov_b64 s[2:3], -1
                                        ; implicit-def: $vgpr6
	s_branch .LBB39_906
.LBB39_896:
	s_or_saveexec_b64 s[10:11], s[10:11]
	v_mov_b32_e32 v6, s14
	s_xor_b64 exec, exec, s[10:11]
	s_cbranch_execz .LBB39_879
.LBB39_897:
	v_cmp_ne_u16_e32 vcc, 0, v1
	s_andn2_b64 s[8:9], s[8:9], exec
	s_and_b64 s[12:13], vcc, exec
	v_mov_b32_e32 v6, 0
	s_or_b64 s[8:9], s[8:9], s[12:13]
	s_or_b64 exec, exec, s[10:11]
	s_and_saveexec_b64 s[10:11], s[8:9]
	s_cbranch_execnz .LBB39_880
	s_branch .LBB39_881
.LBB39_898:
	s_mov_b64 s[2:3], -1
                                        ; implicit-def: $vgpr6
	s_branch .LBB39_903
.LBB39_899:
	s_mov_b64 s[2:3], -1
                                        ; implicit-def: $vgpr6
.LBB39_900:
	s_and_b64 vcc, exec, s[2:3]
	s_cbranch_vccz .LBB39_902
; %bb.901:
	global_load_ubyte v1, v[2:3], off
	s_mov_b32 s2, 0x7f800000
	s_brev_b32 s3, 1
	s_movk_i32 s8, 0x7fff
	s_waitcnt vmcnt(1)
	v_mov_b32_e32 v6, 0x7fc0
	s_waitcnt vmcnt(0)
	v_lshlrev_b32_e32 v1, 24, v1
	v_and_b32_e32 v7, 0x7f000000, v1
	v_ffbh_u32_e32 v8, v7
	v_min_u32_e32 v8, 32, v8
	v_sub_u32_e64 v8, v8, 4 clamp
	v_lshlrev_b32_e32 v10, v8, v7
	v_lshlrev_b32_e32 v8, 23, v8
	v_lshrrev_b32_e32 v10, 4, v10
	v_add_u32_e32 v9, 0x1000000, v7
	v_sub_u32_e32 v8, v10, v8
	v_ashrrev_i32_e32 v9, 8, v9
	v_add_u32_e32 v8, 0x3c000000, v8
	v_and_or_b32 v8, v9, s2, v8
	v_cmp_ne_u32_e32 vcc, 0, v7
	v_cndmask_b32_e32 v7, 0, v8, vcc
	v_and_or_b32 v1, v1, s3, v7
	v_bfe_u32 v7, v7, 16, 1
	v_add3_u32 v7, v1, v7, s8
	v_lshrrev_b32_e32 v7, 16, v7
	v_cmp_o_f32_e32 vcc, v1, v1
	v_cndmask_b32_e32 v6, v6, v7, vcc
.LBB39_902:
	s_mov_b64 s[2:3], 0
.LBB39_903:
	s_andn2_b64 vcc, exec, s[2:3]
	s_cbranch_vccnz .LBB39_905
; %bb.904:
	global_load_ubyte v1, v[2:3], off
	s_movk_i32 s2, 0x7f00
	s_brev_b32 s3, 16
	s_brev_b32 s8, 1
	s_movk_i32 s9, 0x7fff
	s_waitcnt vmcnt(1)
	v_mov_b32_e32 v6, 0x7fc0
	s_waitcnt vmcnt(0)
	v_lshlrev_b16_e32 v7, 8, v1
	v_lshlrev_b32_e32 v1, 25, v1
	v_lshrrev_b32_e32 v8, 4, v1
	v_and_or_b32 v9, v7, s2, 0.5
	v_or_b32_e32 v8, 0x70000000, v8
	v_add_f32_e32 v9, -0.5, v9
	v_mul_f32_e32 v8, 0x7800000, v8
	v_cmp_gt_u32_e32 vcc, s3, v1
	v_bfe_i32 v7, v7, 0, 16
	v_cndmask_b32_e32 v1, v8, v9, vcc
	v_and_or_b32 v7, v7, s8, v1
	v_bfe_u32 v1, v1, 16, 1
	v_add3_u32 v1, v7, v1, s9
	v_lshrrev_b32_e32 v1, 16, v1
	v_cmp_o_f32_e32 vcc, v7, v7
	v_cndmask_b32_e32 v6, v6, v1, vcc
.LBB39_905:
	s_mov_b64 s[2:3], 0
	s_mov_b64 s[8:9], -1
.LBB39_906:
	s_andn2_b64 vcc, exec, s[2:3]
	s_mov_b64 s[2:3], 0
	s_cbranch_vccnz .LBB39_917
; %bb.907:
	v_cmp_lt_i16_e32 vcc, 14, v5
	s_cbranch_vccz .LBB39_910
; %bb.908:
	v_cmp_eq_u16_e32 vcc, 15, v5
	s_cbranch_vccz .LBB39_913
; %bb.909:
	global_load_ushort v6, v[2:3], off
	s_mov_b64 s[0:1], 0
	s_mov_b64 s[8:9], -1
	s_branch .LBB39_914
.LBB39_910:
	s_mov_b64 s[10:11], -1
                                        ; implicit-def: $vgpr6
	s_branch .LBB39_915
.LBB39_911:
	s_or_saveexec_b64 s[8:9], s[8:9]
	v_mov_b32_e32 v6, s12
	s_xor_b64 exec, exec, s[8:9]
	s_cbranch_execz .LBB39_892
.LBB39_912:
	v_cmp_ne_u16_e32 vcc, 0, v1
	s_andn2_b64 s[2:3], s[2:3], exec
	s_and_b64 s[10:11], vcc, exec
	v_mov_b32_e32 v6, 0
	s_or_b64 s[2:3], s[2:3], s[10:11]
	s_or_b64 exec, exec, s[8:9]
	s_and_saveexec_b64 s[8:9], s[2:3]
	s_cbranch_execnz .LBB39_893
	s_branch .LBB39_894
.LBB39_913:
	s_mov_b64 s[0:1], -1
                                        ; implicit-def: $vgpr6
.LBB39_914:
	s_mov_b64 s[10:11], 0
.LBB39_915:
	s_and_b64 vcc, exec, s[10:11]
	s_cbranch_vccz .LBB39_917
; %bb.916:
	v_cmp_ne_u16_e32 vcc, 11, v5
	s_andn2_b64 s[0:1], s[0:1], exec
	s_and_b64 s[10:11], vcc, exec
	s_mov_b64 s[2:3], -1
	s_or_b64 s[0:1], s[0:1], s[10:11]
                                        ; implicit-def: $vgpr6
.LBB39_917:
	s_mov_b64 s[12:13], 0
.LBB39_918:
	s_and_b64 s[10:11], s[8:9], exec
	s_and_b64 s[8:9], s[12:13], exec
	s_andn2_b64 s[12:13], s[66:67], exec
	s_and_b64 s[0:1], s[0:1], exec
	s_and_b64 s[2:3], s[2:3], exec
	s_or_b64 s[12:13], s[12:13], s[0:1]
.LBB39_919:
	s_or_b64 exec, exec, s[70:71]
	s_and_b64 s[0:1], s[2:3], exec
	s_andn2_b64 s[2:3], s[66:67], exec
	s_and_b64 s[12:13], s[12:13], exec
	s_and_b64 s[10:11], s[10:11], exec
	s_and_b64 s[8:9], s[8:9], exec
	s_or_b64 s[66:67], s[2:3], s[12:13]
.LBB39_920:
	s_or_b64 exec, exec, s[64:65]
	s_andn2_b64 s[2:3], s[60:61], exec
	s_and_b64 s[12:13], s[68:69], exec
	s_or_b64 s[60:61], s[2:3], s[12:13]
	s_and_b64 s[2:3], s[0:1], exec
	s_andn2_b64 s[0:1], s[58:59], exec
	s_and_b64 s[12:13], s[66:67], exec
	s_and_b64 s[10:11], s[10:11], exec
	;; [unrolled: 1-line block ×3, first 2 shown]
	s_or_b64 s[58:59], s[0:1], s[12:13]
.LBB39_921:
	s_or_b64 exec, exec, s[62:63]
	s_andn2_b64 s[0:1], s[52:53], exec
	s_and_b64 s[12:13], s[60:61], exec
	s_or_b64 s[52:53], s[0:1], s[12:13]
	s_and_b64 s[0:1], s[10:11], exec
	s_and_b64 s[10:11], s[8:9], exec
	;; [unrolled: 1-line block ×3, first 2 shown]
	s_andn2_b64 s[2:3], s[54:55], exec
	s_and_b64 s[8:9], s[58:59], exec
	s_or_b64 s[54:55], s[2:3], s[8:9]
	s_or_b64 exec, exec, s[56:57]
	s_mov_b64 s[2:3], 0
	s_and_saveexec_b64 s[8:9], s[54:55]
	s_cbranch_execz .LBB39_276
.LBB39_922:
	s_mov_b64 s[2:3], exec
	s_andn2_b64 s[60:61], s[60:61], exec
	s_trap 2
                                        ; implicit-def: $vgpr6
	s_or_b64 exec, exec, s[8:9]
	s_and_saveexec_b64 s[8:9], s[60:61]
	s_xor_b64 s[8:9], exec, s[8:9]
	s_cbranch_execnz .LBB39_277
.LBB39_923:
	s_or_b64 exec, exec, s[8:9]
	s_and_saveexec_b64 s[8:9], s[10:11]
	s_cbranch_execz .LBB39_969
.LBB39_924:
	v_cmp_gt_i16_e32 vcc, 5, v5
	s_cbranch_vccnz .LBB39_929
; %bb.925:
	v_cmp_gt_i16_e32 vcc, 8, v5
	s_cbranch_vccnz .LBB39_930
; %bb.926:
	v_cmp_gt_i16_e32 vcc, 9, v5
	s_cbranch_vccnz .LBB39_931
; %bb.927:
	v_cmp_lt_i16_e32 vcc, 9, v5
	s_cbranch_vccz .LBB39_932
; %bb.928:
	global_load_dwordx2 v[6:7], v[2:3], off
	s_movk_i32 s10, 0x7fff
	s_waitcnt vmcnt(1)
	v_mov_b32_e32 v1, 0x7fc0
	s_waitcnt vmcnt(0)
	v_cvt_f32_f64_e32 v6, v[6:7]
	v_bfe_u32 v7, v6, 16, 1
	v_add3_u32 v7, v6, v7, s10
	v_lshrrev_b32_e32 v7, 16, v7
	v_cmp_o_f32_e32 vcc, v6, v6
	v_cndmask_b32_e32 v6, v1, v7, vcc
	s_mov_b64 s[10:11], 0
	s_branch .LBB39_933
.LBB39_929:
                                        ; implicit-def: $vgpr6
	s_branch .LBB39_950
.LBB39_930:
                                        ; implicit-def: $vgpr6
	s_branch .LBB39_939
.LBB39_931:
	s_mov_b64 s[10:11], -1
                                        ; implicit-def: $vgpr6
	s_branch .LBB39_936
.LBB39_932:
	s_mov_b64 s[10:11], -1
                                        ; implicit-def: $vgpr6
.LBB39_933:
	s_andn2_b64 vcc, exec, s[10:11]
	s_cbranch_vccnz .LBB39_935
; %bb.934:
	global_load_dword v1, v[2:3], off
	s_movk_i32 s10, 0x7fff
	s_waitcnt vmcnt(1)
	v_mov_b32_e32 v6, 0x7fc0
	s_waitcnt vmcnt(0)
	v_bfe_u32 v7, v1, 16, 1
	v_add3_u32 v7, v1, v7, s10
	v_lshrrev_b32_e32 v7, 16, v7
	v_cmp_o_f32_e32 vcc, v1, v1
	v_cndmask_b32_e32 v6, v6, v7, vcc
.LBB39_935:
	s_mov_b64 s[10:11], 0
.LBB39_936:
	s_andn2_b64 vcc, exec, s[10:11]
	s_cbranch_vccnz .LBB39_938
; %bb.937:
	global_load_dword v1, v[2:3], off
	s_movk_i32 s10, 0x7fff
	v_mov_b32_e32 v7, 0x7fc0
	s_waitcnt vmcnt(0)
	v_cvt_f32_f16_e32 v6, v1
	v_cmp_o_f16_e32 vcc, v1, v1
	v_bfe_u32 v8, v6, 16, 1
	v_add3_u32 v6, v6, v8, s10
	v_lshrrev_b32_e32 v6, 16, v6
	v_cndmask_b32_e32 v6, v7, v6, vcc
.LBB39_938:
	s_cbranch_execnz .LBB39_949
.LBB39_939:
	v_cmp_gt_i16_e32 vcc, 6, v5
	s_cbranch_vccnz .LBB39_942
; %bb.940:
	v_cmp_lt_i16_e32 vcc, 6, v5
	s_cbranch_vccz .LBB39_943
; %bb.941:
	global_load_dwordx2 v[6:7], v[2:3], off
	s_movk_i32 s10, 0x7fff
	s_waitcnt vmcnt(1)
	v_mov_b32_e32 v1, 0x7fc0
	s_waitcnt vmcnt(0)
	v_cvt_f32_f64_e32 v6, v[6:7]
	v_bfe_u32 v7, v6, 16, 1
	v_add3_u32 v7, v6, v7, s10
	v_lshrrev_b32_e32 v7, 16, v7
	v_cmp_o_f32_e32 vcc, v6, v6
	v_cndmask_b32_e32 v6, v1, v7, vcc
	s_mov_b64 s[10:11], 0
	s_branch .LBB39_944
.LBB39_942:
	s_mov_b64 s[10:11], -1
                                        ; implicit-def: $vgpr6
	s_branch .LBB39_947
.LBB39_943:
	s_mov_b64 s[10:11], -1
                                        ; implicit-def: $vgpr6
.LBB39_944:
	s_andn2_b64 vcc, exec, s[10:11]
	s_cbranch_vccnz .LBB39_946
; %bb.945:
	global_load_dword v1, v[2:3], off
	s_movk_i32 s10, 0x7fff
	s_waitcnt vmcnt(1)
	v_mov_b32_e32 v6, 0x7fc0
	s_waitcnt vmcnt(0)
	v_bfe_u32 v7, v1, 16, 1
	v_add3_u32 v7, v1, v7, s10
	v_lshrrev_b32_e32 v7, 16, v7
	v_cmp_o_f32_e32 vcc, v1, v1
	v_cndmask_b32_e32 v6, v6, v7, vcc
.LBB39_946:
	s_mov_b64 s[10:11], 0
.LBB39_947:
	s_andn2_b64 vcc, exec, s[10:11]
	s_cbranch_vccnz .LBB39_949
; %bb.948:
	global_load_ushort v1, v[2:3], off
	s_movk_i32 s10, 0x7fff
	v_mov_b32_e32 v7, 0x7fc0
	s_waitcnt vmcnt(0)
	v_cvt_f32_f16_e32 v6, v1
	v_cmp_o_f16_e32 vcc, v1, v1
	v_bfe_u32 v8, v6, 16, 1
	v_add3_u32 v6, v6, v8, s10
	v_lshrrev_b32_e32 v6, 16, v6
	v_cndmask_b32_e32 v6, v7, v6, vcc
.LBB39_949:
	s_cbranch_execnz .LBB39_968
.LBB39_950:
	v_cmp_gt_i16_e32 vcc, 2, v5
	s_cbranch_vccnz .LBB39_954
; %bb.951:
	v_cmp_gt_i16_e32 vcc, 3, v5
	s_cbranch_vccnz .LBB39_955
; %bb.952:
	v_cmp_lt_i16_e32 vcc, 3, v5
	s_cbranch_vccz .LBB39_956
; %bb.953:
	global_load_dwordx2 v[6:7], v[2:3], off
	s_movk_i32 s10, 0x7fff
	s_waitcnt vmcnt(0)
	v_xor_b32_e32 v8, v6, v7
	v_ffbh_i32_e32 v1, v7
	v_ashrrev_i32_e32 v8, 31, v8
	v_add_u32_e32 v1, -1, v1
	v_add_u32_e32 v8, 32, v8
	v_min_u32_e32 v1, v1, v8
	v_lshlrev_b64 v[6:7], v1, v[6:7]
	v_min_u32_e32 v6, 1, v6
	v_or_b32_e32 v6, v7, v6
	v_cvt_f32_i32_e32 v6, v6
	v_sub_u32_e32 v1, 32, v1
	v_ldexp_f32 v1, v6, v1
	v_bfe_u32 v6, v1, 16, 1
	v_add3_u32 v1, v1, v6, s10
	v_lshrrev_b32_e32 v6, 16, v1
	s_mov_b64 s[10:11], 0
	s_branch .LBB39_957
.LBB39_954:
                                        ; implicit-def: $vgpr6
	s_branch .LBB39_963
.LBB39_955:
	s_mov_b64 s[10:11], -1
                                        ; implicit-def: $vgpr6
	s_branch .LBB39_960
.LBB39_956:
	s_mov_b64 s[10:11], -1
                                        ; implicit-def: $vgpr6
.LBB39_957:
	s_andn2_b64 vcc, exec, s[10:11]
	s_cbranch_vccnz .LBB39_959
; %bb.958:
	global_load_dword v1, v[2:3], off
	s_movk_i32 s10, 0x7fff
	s_waitcnt vmcnt(0)
	v_cvt_f32_i32_e32 v1, v1
	v_bfe_u32 v6, v1, 16, 1
	v_add3_u32 v1, v1, v6, s10
	v_lshrrev_b32_e32 v6, 16, v1
.LBB39_959:
	s_mov_b64 s[10:11], 0
.LBB39_960:
	s_andn2_b64 vcc, exec, s[10:11]
	s_cbranch_vccnz .LBB39_962
; %bb.961:
	global_load_sshort v1, v[2:3], off
	s_movk_i32 s10, 0x7fff
	s_waitcnt vmcnt(0)
	v_cvt_f32_i32_e32 v1, v1
	v_bfe_u32 v6, v1, 16, 1
	v_add3_u32 v1, v1, v6, s10
	v_lshrrev_b32_e32 v6, 16, v1
.LBB39_962:
	s_cbranch_execnz .LBB39_968
.LBB39_963:
	v_cmp_lt_i16_e32 vcc, 0, v5
	s_cbranch_vccz .LBB39_965
; %bb.964:
	global_load_sbyte v1, v[2:3], off
	s_movk_i32 s10, 0x7fff
	s_waitcnt vmcnt(0)
	v_cvt_f32_i32_e32 v1, v1
	v_bfe_u32 v5, v1, 16, 1
	v_add3_u32 v1, v1, v5, s10
	v_lshrrev_b32_e32 v6, 16, v1
	s_mov_b64 s[10:11], 0
	s_branch .LBB39_966
.LBB39_965:
	s_mov_b64 s[10:11], -1
                                        ; implicit-def: $vgpr6
.LBB39_966:
	s_andn2_b64 vcc, exec, s[10:11]
	s_cbranch_vccnz .LBB39_968
; %bb.967:
	global_load_ubyte v1, v[2:3], off
	s_movk_i32 s10, 0x7fff
	s_waitcnt vmcnt(0)
	v_cvt_f32_ubyte0_e32 v1, v1
	v_bfe_u32 v2, v1, 16, 1
	v_add3_u32 v1, v1, v2, s10
	v_lshrrev_b32_e32 v6, 16, v1
.LBB39_968:
	s_or_b64 s[0:1], s[0:1], exec
.LBB39_969:
	s_or_b64 exec, exec, s[8:9]
	s_mov_b64 s[12:13], 0
	s_mov_b64 s[10:11], 0
                                        ; implicit-def: $vgpr5
                                        ; implicit-def: $vgpr2_vgpr3
                                        ; implicit-def: $vgpr1
                                        ; implicit-def: $vgpr7
	s_and_saveexec_b64 s[8:9], s[0:1]
	s_cbranch_execz .LBB39_987
; %bb.970:
	v_mov_b32_e32 v3, s25
	v_add_co_u32_e32 v2, vcc, s24, v0
	v_mov_b32_e32 v0, 0xff
	v_addc_co_u32_e32 v3, vcc, 0, v3, vcc
	v_and_b32_e32 v5, s75, v0
	s_waitcnt vmcnt(0)
	v_and_b32_e32 v7, 0x7fff, v6
	v_cmp_gt_i16_e32 vcc, 11, v5
	v_or_b32_e32 v1, v7, v4
	s_cbranch_vccnz .LBB39_990
; %bb.971:
	v_cmp_lt_i16_e32 vcc, 25, v5
	s_mov_b64 s[12:13], -1
	s_mov_b64 s[0:1], s[52:53]
	s_cbranch_vccz .LBB39_1008
; %bb.972:
	v_cmp_lt_i16_e32 vcc, 28, v5
	s_mov_b64 s[10:11], -1
	s_mov_b64 s[0:1], s[52:53]
	s_cbranch_vccz .LBB39_992
; %bb.973:
	v_cmp_lt_i16_e32 vcc, 43, v5
	s_mov_b64 s[0:1], s[52:53]
	s_cbranch_vccz .LBB39_984
; %bb.974:
	v_cmp_lt_i16_e32 vcc, 45, v5
	s_mov_b64 s[0:1], s[52:53]
	s_cbranch_vccz .LBB39_978
; %bb.975:
	v_cmp_eq_u16_e32 vcc, 46, v5
	s_mov_b64 s[0:1], -1
	s_cbranch_vccz .LBB39_977
; %bb.976:
	v_and_b32_e32 v0, 0xffff, v1
	global_store_dword v[2:3], v0, off
	s_mov_b64 s[0:1], 0
.LBB39_977:
	s_mov_b64 s[10:11], 0
.LBB39_978:
	s_and_b64 vcc, exec, s[10:11]
	s_cbranch_vccz .LBB39_983
; %bb.979:
	v_cmp_eq_u16_e32 vcc, 44, v5
	s_mov_b64 s[0:1], -1
	s_cbranch_vccz .LBB39_983
; %bb.980:
	v_and_b32_e32 v4, 0xffff, v1
	v_bfe_u32 v0, v4, 7, 8
	s_movk_i32 s0, 0xff
	v_cmp_ne_u32_e32 vcc, s0, v0
	v_mov_b32_e32 v6, 0xff
	s_and_saveexec_b64 s[10:11], vcc
; %bb.981:
	v_lshlrev_b32_e32 v8, 16, v4
	s_mov_b32 s0, 0x3f0000
	v_lshrrev_b32_e32 v6, 7, v4
	v_and_b32_e32 v4, 64, v4
	v_and_or_b32 v0, v8, s0, v0
	v_cmp_ne_u32_e32 vcc, 0, v4
	v_cmp_ne_u32_e64 s[0:1], 0, v0
	s_and_b64 s[0:1], vcc, s[0:1]
	v_cndmask_b32_e64 v0, 0, 1, s[0:1]
	v_add_u32_e32 v6, v6, v0
; %bb.982:
	s_or_b64 exec, exec, s[10:11]
	s_mov_b64 s[0:1], 0
	global_store_byte v[2:3], v6, off
.LBB39_983:
	s_mov_b64 s[10:11], 0
.LBB39_984:
	s_and_b64 vcc, exec, s[10:11]
	s_cbranch_vccz .LBB39_991
; %bb.985:
	v_cmp_eq_u16_e32 vcc, 29, v5
	s_mov_b64 s[0:1], -1
	s_cbranch_vccz .LBB39_991
; %bb.986:
	v_lshlrev_b32_e32 v0, 16, v1
	v_trunc_f32_e32 v0, v0
	v_mul_f32_e32 v4, 0x2f800000, v0
	v_floor_f32_e32 v4, v4
	v_fmac_f32_e32 v0, 0xcf800000, v4
	v_cvt_u32_f32_e32 v9, v4
	v_cvt_u32_f32_e32 v8, v0
	s_mov_b64 s[0:1], 0
	s_mov_b64 s[10:11], 0
	global_store_dwordx2 v[2:3], v[8:9], off
	s_branch .LBB39_992
.LBB39_987:
	s_or_b64 exec, exec, s[8:9]
	s_and_saveexec_b64 s[0:1], s[52:53]
	s_cbranch_execnz .LBB39_1050
.LBB39_988:
	s_or_b64 exec, exec, s[0:1]
	s_and_saveexec_b64 s[0:1], s[12:13]
	s_xor_b64 s[0:1], exec, s[0:1]
	s_cbranch_execz .LBB39_1051
.LBB39_989:
	v_cmp_ne_u16_e32 vcc, 0, v7
	v_cndmask_b32_e64 v0, 0, 1, vcc
	global_store_byte v[2:3], v0, off
	s_or_b64 exec, exec, s[0:1]
	s_and_saveexec_b64 s[0:1], s[10:11]
	s_xor_b64 s[0:1], exec, s[0:1]
	s_cbranch_execz .LBB39_1089
	s_branch .LBB39_1052
.LBB39_990:
	s_mov_b64 s[10:11], -1
	s_mov_b64 s[0:1], s[52:53]
	s_branch .LBB39_1049
.LBB39_991:
	s_mov_b64 s[10:11], 0
.LBB39_992:
	s_and_b64 vcc, exec, s[10:11]
	s_cbranch_vccz .LBB39_1007
; %bb.993:
	v_cmp_gt_i16_e32 vcc, 27, v5
	s_mov_b64 s[10:11], -1
	s_cbranch_vccnz .LBB39_999
; %bb.994:
	v_cmp_lt_i16_e32 vcc, 27, v5
	s_cbranch_vccz .LBB39_996
; %bb.995:
	v_lshlrev_b32_e32 v0, 16, v1
	v_cvt_u32_f32_e32 v0, v0
	s_mov_b64 s[10:11], 0
	global_store_dword v[2:3], v0, off
.LBB39_996:
	s_andn2_b64 vcc, exec, s[10:11]
	s_cbranch_vccnz .LBB39_998
; %bb.997:
	v_lshlrev_b32_e32 v0, 16, v1
	v_cvt_u32_f32_e32 v0, v0
	global_store_short v[2:3], v0, off
.LBB39_998:
	s_mov_b64 s[10:11], 0
.LBB39_999:
	s_andn2_b64 vcc, exec, s[10:11]
	s_cbranch_vccnz .LBB39_1007
; %bb.1000:
	v_lshlrev_b32_e32 v6, 16, v1
	v_and_b32_e32 v4, 0x7fffffff, v6
	s_mov_b32 s10, 0x43800000
	v_cmp_gt_u32_e32 vcc, s10, v4
	v_mov_b32_e32 v8, 0x80
	s_and_saveexec_b64 s[10:11], vcc
	s_cbranch_execz .LBB39_1006
; %bb.1001:
	s_mov_b32 s12, 0x3bffffff
	v_and_b32_e32 v0, 0xffff, v1
	v_cmp_lt_u32_e32 vcc, s12, v4
	s_mov_b64 s[12:13], 0
                                        ; implicit-def: $vgpr4
	s_and_saveexec_b64 s[14:15], vcc
	s_xor_b64 s[14:15], exec, s[14:15]
	s_cbranch_execz .LBB39_1160
; %bb.1002:
	v_bfe_u32 v4, v0, 4, 1
	s_mov_b32 s16, 0x487ffff
	v_add3_u32 v4, v6, v4, s16
	s_mov_b64 s[12:13], exec
	v_lshrrev_b32_e32 v4, 20, v4
                                        ; implicit-def: $vgpr6
	s_or_saveexec_b64 s[14:15], s[14:15]
                                        ; implicit-def: $sgpr16
	s_xor_b64 exec, exec, s[14:15]
	s_cbranch_execnz .LBB39_1161
.LBB39_1003:
	s_or_b64 exec, exec, s[14:15]
	v_mov_b32_e32 v8, s16
	s_and_saveexec_b64 s[14:15], s[12:13]
.LBB39_1004:
	v_lshrrev_b32_e32 v0, 8, v0
	s_movk_i32 s12, 0x80
	v_and_or_b32 v8, v0, s12, v4
.LBB39_1005:
	s_or_b64 exec, exec, s[14:15]
.LBB39_1006:
	s_or_b64 exec, exec, s[10:11]
	global_store_byte v[2:3], v8, off
.LBB39_1007:
	s_mov_b64 s[12:13], 0
.LBB39_1008:
	s_mov_b64 s[10:11], 0
	s_and_b64 vcc, exec, s[12:13]
	s_cbranch_vccz .LBB39_1048
; %bb.1009:
	v_cmp_lt_i16_e32 vcc, 22, v5
	s_mov_b64 s[12:13], -1
	s_cbranch_vccz .LBB39_1041
; %bb.1010:
	v_cmp_gt_i16_e32 vcc, 24, v5
	s_cbranch_vccnz .LBB39_1030
; %bb.1011:
	v_cmp_lt_i16_e32 vcc, 24, v5
	s_cbranch_vccz .LBB39_1019
; %bb.1012:
	v_lshlrev_b32_e32 v6, 16, v1
	v_and_b32_e32 v4, 0x7fffffff, v6
	s_mov_b32 s12, 0x47800000
	v_cmp_gt_u32_e32 vcc, s12, v4
	v_mov_b32_e32 v8, 0x80
	s_and_saveexec_b64 s[12:13], vcc
	s_cbranch_execz .LBB39_1018
; %bb.1013:
	s_mov_b32 s14, 0x37ffffff
	v_and_b32_e32 v0, 0xffff, v1
	v_cmp_lt_u32_e32 vcc, s14, v4
	s_mov_b64 s[14:15], 0
                                        ; implicit-def: $vgpr4
	s_and_saveexec_b64 s[16:17], vcc
	s_xor_b64 s[16:17], exec, s[16:17]
	s_cbranch_execz .LBB39_1284
; %bb.1014:
	v_bfe_u32 v4, v0, 5, 1
	s_mov_b32 s18, 0x88fffff
	v_add3_u32 v4, v6, v4, s18
	s_mov_b64 s[14:15], exec
	v_lshrrev_b32_e32 v4, 21, v4
                                        ; implicit-def: $vgpr6
	s_or_saveexec_b64 s[16:17], s[16:17]
                                        ; implicit-def: $sgpr18
	s_xor_b64 exec, exec, s[16:17]
	s_cbranch_execnz .LBB39_1285
.LBB39_1015:
	s_or_b64 exec, exec, s[16:17]
	v_mov_b32_e32 v8, s18
	s_and_saveexec_b64 s[16:17], s[14:15]
.LBB39_1016:
	v_lshrrev_b32_e32 v0, 8, v0
	s_movk_i32 s14, 0x80
	v_and_or_b32 v8, v0, s14, v4
.LBB39_1017:
	s_or_b64 exec, exec, s[16:17]
.LBB39_1018:
	s_or_b64 exec, exec, s[12:13]
	s_mov_b64 s[12:13], 0
	global_store_byte v[2:3], v8, off
.LBB39_1019:
	s_and_b64 vcc, exec, s[12:13]
	s_cbranch_vccz .LBB39_1029
; %bb.1020:
	v_lshlrev_b32_e32 v6, 16, v1
	v_and_b32_e32 v8, 0x7fffffff, v6
	s_mov_b32 s12, 0x43f00000
	v_and_b32_e32 v0, 0xffff, v1
	v_cmp_gt_u32_e32 vcc, s12, v8
                                        ; implicit-def: $vgpr4
	s_and_saveexec_b64 s[12:13], vcc
	s_xor_b64 s[12:13], exec, s[12:13]
	s_cbranch_execz .LBB39_1026
; %bb.1021:
	s_mov_b32 s14, 0x3c7fffff
	v_cmp_lt_u32_e32 vcc, s14, v8
                                        ; implicit-def: $vgpr4
	s_and_saveexec_b64 s[14:15], vcc
	s_xor_b64 s[14:15], exec, s[14:15]
; %bb.1022:
	v_bfe_u32 v4, v0, 4, 1
	s_mov_b32 s16, 0x407ffff
	v_add3_u32 v4, v6, v4, s16
	v_lshrrev_b32_e32 v6, 20, v4
	v_and_b32_e32 v4, 0xff00000, v4
	s_mov_b32 s16, 0x7f00000
	v_mov_b32_e32 v8, 0x7e
	v_cmp_ne_u32_e32 vcc, s16, v4
	v_cndmask_b32_e32 v4, v8, v6, vcc
                                        ; implicit-def: $vgpr6
; %bb.1023:
	s_andn2_saveexec_b64 s[14:15], s[14:15]
; %bb.1024:
	s_mov_b32 s16, 0x46800000
	v_add_f32_e64 v4, |v6|, s16
; %bb.1025:
	s_or_b64 exec, exec, s[14:15]
                                        ; implicit-def: $vgpr8
.LBB39_1026:
	s_andn2_saveexec_b64 s[12:13], s[12:13]
; %bb.1027:
	s_mov_b32 s14, 0x7f800000
	v_mov_b32_e32 v4, 0x7e
	v_mov_b32_e32 v6, 0x7f
	v_cmp_lt_u32_e32 vcc, s14, v8
	v_cndmask_b32_e32 v4, v4, v6, vcc
; %bb.1028:
	s_or_b64 exec, exec, s[12:13]
	v_lshrrev_b32_e32 v0, 8, v0
	s_movk_i32 s12, 0x80
	v_and_or_b32 v0, v0, s12, v4
	global_store_byte v[2:3], v0, off
.LBB39_1029:
	s_mov_b64 s[12:13], 0
.LBB39_1030:
	s_andn2_b64 vcc, exec, s[12:13]
	s_cbranch_vccnz .LBB39_1040
; %bb.1031:
	v_lshlrev_b32_e32 v6, 16, v1
	v_and_b32_e32 v8, 0x7fffffff, v6
	s_mov_b32 s12, 0x47800000
	v_and_b32_e32 v0, 0xffff, v1
	v_cmp_gt_u32_e32 vcc, s12, v8
                                        ; implicit-def: $vgpr4
	s_and_saveexec_b64 s[12:13], vcc
	s_xor_b64 s[12:13], exec, s[12:13]
	s_cbranch_execz .LBB39_1037
; %bb.1032:
	s_mov_b32 s14, 0x387fffff
	v_cmp_lt_u32_e32 vcc, s14, v8
                                        ; implicit-def: $vgpr4
	s_and_saveexec_b64 s[14:15], vcc
	s_xor_b64 s[14:15], exec, s[14:15]
; %bb.1033:
	v_bfe_u32 v4, v0, 5, 1
	s_mov_b32 s16, 0x80fffff
	v_add3_u32 v4, v6, v4, s16
	v_lshrrev_b32_e32 v4, 21, v4
                                        ; implicit-def: $vgpr6
; %bb.1034:
	s_andn2_saveexec_b64 s[14:15], s[14:15]
; %bb.1035:
	s_mov_b32 s16, 0x43000000
	v_add_f32_e64 v4, |v6|, s16
; %bb.1036:
	s_or_b64 exec, exec, s[14:15]
                                        ; implicit-def: $vgpr8
.LBB39_1037:
	s_andn2_saveexec_b64 s[12:13], s[12:13]
; %bb.1038:
	s_mov_b32 s14, 0x7f800000
	v_mov_b32_e32 v4, 0x7c
	v_mov_b32_e32 v6, 0x7f
	v_cmp_lt_u32_e32 vcc, s14, v8
	v_cndmask_b32_e32 v4, v4, v6, vcc
; %bb.1039:
	s_or_b64 exec, exec, s[12:13]
	v_lshrrev_b32_e32 v0, 8, v0
	s_movk_i32 s12, 0x80
	v_and_or_b32 v0, v0, s12, v4
	global_store_byte v[2:3], v0, off
.LBB39_1040:
	s_mov_b64 s[12:13], 0
.LBB39_1041:
	s_andn2_b64 vcc, exec, s[12:13]
	s_mov_b64 s[12:13], 0
	s_cbranch_vccnz .LBB39_1049
; %bb.1042:
	v_cmp_lt_i16_e32 vcc, 14, v5
	s_mov_b64 s[14:15], -1
	s_cbranch_vccz .LBB39_1046
; %bb.1043:
	v_cmp_eq_u16_e32 vcc, 15, v5
	s_mov_b64 s[0:1], -1
	s_cbranch_vccz .LBB39_1045
; %bb.1044:
	global_store_short v[2:3], v1, off
	s_mov_b64 s[0:1], 0
.LBB39_1045:
	s_mov_b64 s[14:15], 0
.LBB39_1046:
	s_and_b64 vcc, exec, s[14:15]
	s_cbranch_vccz .LBB39_1049
; %bb.1047:
	v_cmp_ne_u16_e32 vcc, 11, v5
	s_andn2_b64 s[0:1], s[0:1], exec
	s_and_b64 s[14:15], vcc, exec
	s_mov_b64 s[12:13], -1
	s_or_b64 s[0:1], s[0:1], s[14:15]
	s_branch .LBB39_1049
.LBB39_1048:
	s_mov_b64 s[12:13], 0
.LBB39_1049:
	s_andn2_b64 s[14:15], s[52:53], exec
	s_and_b64 s[0:1], s[0:1], exec
	s_and_b64 s[10:11], s[10:11], exec
	;; [unrolled: 1-line block ×3, first 2 shown]
	s_or_b64 s[52:53], s[14:15], s[0:1]
	s_or_b64 exec, exec, s[8:9]
	s_and_saveexec_b64 s[0:1], s[52:53]
	s_cbranch_execz .LBB39_988
.LBB39_1050:
	s_or_b64 s[2:3], s[2:3], exec
	s_andn2_b64 s[12:13], s[12:13], exec
	s_trap 2
	s_or_b64 exec, exec, s[0:1]
	s_and_saveexec_b64 s[0:1], s[12:13]
	s_xor_b64 s[0:1], exec, s[0:1]
	s_cbranch_execnz .LBB39_989
.LBB39_1051:
	s_or_b64 exec, exec, s[0:1]
	s_and_saveexec_b64 s[0:1], s[10:11]
	s_xor_b64 s[0:1], exec, s[0:1]
	s_cbranch_execz .LBB39_1089
.LBB39_1052:
	v_cmp_gt_i16_e32 vcc, 5, v5
	s_mov_b64 s[8:9], -1
	s_cbranch_vccnz .LBB39_1073
; %bb.1053:
	v_cmp_gt_i16_e32 vcc, 8, v5
	s_cbranch_vccnz .LBB39_1063
; %bb.1054:
	v_cmp_gt_i16_e32 vcc, 9, v5
	s_cbranch_vccnz .LBB39_1060
; %bb.1055:
	v_cmp_lt_i16_e32 vcc, 9, v5
	s_cbranch_vccz .LBB39_1057
; %bb.1056:
	s_waitcnt vmcnt(0)
	v_lshlrev_b32_e32 v0, 16, v1
	v_mov_b32_e32 v8, 0
	v_cvt_f64_f32_e32 v[6:7], v0
	v_mov_b32_e32 v9, v8
	s_mov_b64 s[8:9], 0
	global_store_dwordx4 v[2:3], v[6:9], off
.LBB39_1057:
	s_andn2_b64 vcc, exec, s[8:9]
	s_cbranch_vccnz .LBB39_1059
; %bb.1058:
	s_waitcnt vmcnt(0)
	v_lshlrev_b32_e32 v6, 16, v1
	v_mov_b32_e32 v7, 0
	global_store_dwordx2 v[2:3], v[6:7], off
.LBB39_1059:
	s_mov_b64 s[8:9], 0
.LBB39_1060:
	s_andn2_b64 vcc, exec, s[8:9]
	s_cbranch_vccnz .LBB39_1062
; %bb.1061:
	s_waitcnt vmcnt(0)
	v_lshlrev_b32_e32 v0, 16, v1
	v_cvt_f16_f32_e32 v0, v0
	global_store_dword v[2:3], v0, off
.LBB39_1062:
	s_mov_b64 s[8:9], 0
.LBB39_1063:
	s_andn2_b64 vcc, exec, s[8:9]
	s_cbranch_vccnz .LBB39_1072
; %bb.1064:
	v_cmp_gt_i16_e32 vcc, 6, v5
	s_mov_b64 s[8:9], -1
	s_cbranch_vccnz .LBB39_1070
; %bb.1065:
	v_cmp_lt_i16_e32 vcc, 6, v5
	s_cbranch_vccz .LBB39_1067
; %bb.1066:
	s_waitcnt vmcnt(0)
	v_lshlrev_b32_e32 v0, 16, v1
	v_cvt_f64_f32_e32 v[6:7], v0
	s_mov_b64 s[8:9], 0
	global_store_dwordx2 v[2:3], v[6:7], off
.LBB39_1067:
	s_andn2_b64 vcc, exec, s[8:9]
	s_cbranch_vccnz .LBB39_1069
; %bb.1068:
	s_waitcnt vmcnt(0)
	v_lshlrev_b32_e32 v0, 16, v1
	global_store_dword v[2:3], v0, off
.LBB39_1069:
	s_mov_b64 s[8:9], 0
.LBB39_1070:
	s_andn2_b64 vcc, exec, s[8:9]
	s_cbranch_vccnz .LBB39_1072
; %bb.1071:
	s_waitcnt vmcnt(0)
	v_lshlrev_b32_e32 v0, 16, v1
	v_cvt_f16_f32_e32 v0, v0
	global_store_short v[2:3], v0, off
.LBB39_1072:
	s_mov_b64 s[8:9], 0
.LBB39_1073:
	s_andn2_b64 vcc, exec, s[8:9]
	s_cbranch_vccnz .LBB39_1089
; %bb.1074:
	v_cmp_gt_i16_e32 vcc, 2, v5
	s_mov_b64 s[8:9], -1
	s_cbranch_vccnz .LBB39_1084
; %bb.1075:
	v_cmp_gt_i16_e32 vcc, 3, v5
	s_cbranch_vccnz .LBB39_1081
; %bb.1076:
	v_cmp_lt_i16_e32 vcc, 3, v5
	s_cbranch_vccz .LBB39_1078
; %bb.1077:
	s_waitcnt vmcnt(0)
	v_lshlrev_b32_e32 v0, 16, v1
	v_trunc_f32_e32 v0, v0
	s_mov_b32 s8, 0x2f800000
	v_mul_f32_e64 v4, |v0|, s8
	v_floor_f32_e32 v4, v4
	s_mov_b32 s8, 0xcf800000
	v_cvt_u32_f32_e32 v6, v4
	v_fma_f32 v4, v4, s8, |v0|
	v_cvt_u32_f32_e32 v4, v4
	v_ashrrev_i32_e32 v0, 31, v0
	v_xor_b32_e32 v7, v6, v0
	s_mov_b64 s[8:9], 0
	v_xor_b32_e32 v4, v4, v0
	v_sub_co_u32_e32 v6, vcc, v4, v0
	v_subb_co_u32_e32 v7, vcc, v7, v0, vcc
	global_store_dwordx2 v[2:3], v[6:7], off
.LBB39_1078:
	s_andn2_b64 vcc, exec, s[8:9]
	s_cbranch_vccnz .LBB39_1080
; %bb.1079:
	s_waitcnt vmcnt(0)
	v_lshlrev_b32_e32 v0, 16, v1
	v_cvt_i32_f32_e32 v0, v0
	global_store_dword v[2:3], v0, off
.LBB39_1080:
	s_mov_b64 s[8:9], 0
.LBB39_1081:
	s_andn2_b64 vcc, exec, s[8:9]
	s_cbranch_vccnz .LBB39_1083
; %bb.1082:
	s_waitcnt vmcnt(0)
	v_lshlrev_b32_e32 v0, 16, v1
	v_cvt_i32_f32_e32 v0, v0
	global_store_short v[2:3], v0, off
.LBB39_1083:
	s_mov_b64 s[8:9], 0
.LBB39_1084:
	s_andn2_b64 vcc, exec, s[8:9]
	s_cbranch_vccnz .LBB39_1089
; %bb.1085:
	v_cmp_lt_i16_e32 vcc, 0, v5
	s_mov_b64 s[8:9], -1
	s_cbranch_vccz .LBB39_1087
; %bb.1086:
	s_waitcnt vmcnt(0)
	v_lshlrev_b32_e32 v0, 16, v1
	v_cvt_i32_f32_e32 v0, v0
	s_mov_b64 s[8:9], 0
	global_store_byte v[2:3], v0, off
.LBB39_1087:
	s_andn2_b64 vcc, exec, s[8:9]
	s_cbranch_vccnz .LBB39_1089
; %bb.1088:
	s_waitcnt vmcnt(0)
	v_lshlrev_b32_e32 v0, 16, v1
	v_trunc_f32_e32 v0, v0
	s_mov_b32 s8, 0x2f800000
	v_mul_f32_e64 v1, |v0|, s8
	v_floor_f32_e32 v1, v1
	s_mov_b32 s8, 0xcf800000
	v_fma_f32 v1, v1, s8, |v0|
	v_cvt_u32_f32_e32 v1, v1
	v_ashrrev_i32_e32 v0, 31, v0
	v_xor_b32_e32 v1, v1, v0
	v_sub_u32_e32 v0, v1, v0
	global_store_byte v[2:3], v0, off
.LBB39_1089:
	s_or_b64 exec, exec, s[0:1]
	s_and_b64 s[28:29], s[2:3], exec
                                        ; implicit-def: $vgpr9
                                        ; implicit-def: $vgpr8
.LBB39_1090:
	s_or_saveexec_b64 s[30:31], s[42:43]
	s_mov_b64 s[0:1], 0
                                        ; implicit-def: $vgpr0_vgpr1
                                        ; implicit-def: $sgpr16
                                        ; implicit-def: $vgpr2
                                        ; implicit-def: $vgpr3
	s_xor_b64 exec, exec, s[30:31]
	s_cbranch_execz .LBB39_2045
; %bb.1091:
	v_cndmask_b32_e64 v0, 0, 1, s[40:41]
	v_cmp_ne_u32_e64 s[0:1], 1, v0
	s_andn2_b64 vcc, exec, s[40:41]
	s_cbranch_vccnz .LBB39_1098
; %bb.1092:
	s_mov_b32 s2, 0
	s_cmp_lg_u32 s33, 0
	v_mov_b32_e32 v14, 0
	s_waitcnt vmcnt(0)
	v_mov_b32_e32 v6, 0
	s_cbranch_scc0 .LBB39_1097
; %bb.1093:
	s_min_u32 s38, s74, 15
	s_add_i32 s38, s38, 1
	s_cmp_eq_u32 s74, 2
	s_cbranch_scc1 .LBB39_1099
; %bb.1094:
	s_add_u32 s6, s34, 0xc4
	s_addc_u32 s7, s35, 0
	s_and_b32 s2, s38, 28
	s_mov_b32 s3, 0
	v_mov_b32_e32 v6, 0
	s_mov_b64 s[36:37], s[34:35]
	v_mov_b32_e32 v0, v8
	v_mov_b32_e32 v14, 0
.LBB39_1095:                            ; =>This Inner Loop Header: Depth=1
	s_load_dwordx8 s[16:23], s[36:37], 0x4
	s_load_dwordx4 s[24:27], s[36:37], 0x24
	s_load_dwordx8 s[8:15], s[6:7], 0x0
	s_add_u32 s36, s36, 48
	s_addc_u32 s37, s37, 0
	s_waitcnt lgkmcnt(0)
	v_mul_hi_u32 v1, s17, v0
	v_add_u32_e32 v1, v0, v1
	v_lshrrev_b32_e32 v1, s18, v1
	v_mul_lo_u32 v2, v1, s16
	v_mul_hi_u32 v3, s20, v1
	v_sub_u32_e32 v0, v0, v2
	v_add_u32_e32 v2, v1, v3
	v_lshrrev_b32_e32 v2, s21, v2
	v_mul_lo_u32 v4, v2, s19
	v_mul_hi_u32 v5, s23, v2
	v_sub_u32_e32 v1, v1, v4
	v_add_u32_e32 v4, v2, v5
	v_mul_lo_u32 v3, v0, s9
	v_mul_lo_u32 v0, v0, s8
	;; [unrolled: 1-line block ×4, first 2 shown]
	v_lshrrev_b32_e32 v4, s24, v4
	v_add3_u32 v1, v0, v6, v1
	v_add3_u32 v3, v3, v14, v5
	v_mul_lo_u32 v0, v4, s22
	v_mul_hi_u32 v5, s26, v4
	v_sub_u32_e32 v0, v2, v0
	v_add_u32_e32 v2, v4, v5
	v_mul_lo_u32 v5, v0, s12
	v_mul_lo_u32 v6, v0, s13
	v_lshrrev_b32_e32 v0, s27, v2
	s_add_i32 s3, s3, 4
	v_mul_lo_u32 v2, v0, s25
	s_add_u32 s6, s6, 32
	v_sub_u32_e32 v2, v4, v2
	s_addc_u32 s7, s7, 0
	v_mul_lo_u32 v4, v2, s14
	v_mul_lo_u32 v2, v2, s15
	s_cmp_lg_u32 s2, s3
	v_add3_u32 v14, v6, v3, v2
	v_add3_u32 v6, v5, v1, v4
	s_cbranch_scc1 .LBB39_1095
; %bb.1096:
	v_mov_b32_e32 v7, v14
	s_and_b32 s8, s38, 3
	s_cmp_eq_u32 s8, 0
	s_cbranch_scc0 .LBB39_1100
.LBB39_1097:
	s_cbranch_execz .LBB39_1103
	s_branch .LBB39_1105
.LBB39_1098:
                                        ; implicit-def: $vgpr14
                                        ; implicit-def: $vgpr6
	s_branch .LBB39_1103
.LBB39_1099:
	s_mov_b32 s3, s2
	v_pk_mov_b32 v[6:7], s[2:3], s[2:3] op_sel:[0,1]
                                        ; implicit-def: $vgpr14
	v_mov_b32_e32 v0, v8
	s_and_b32 s8, s38, 3
	s_cmp_eq_u32 s8, 0
	s_cbranch_scc1 .LBB39_1097
.LBB39_1100:
	s_lshl_b32 s3, s2, 3
	s_add_u32 s3, s3, s34
	s_addc_u32 s7, 0, s35
	s_add_u32 s6, s3, 0xc4
	s_addc_u32 s7, s7, 0
	s_mul_i32 s2, s2, 12
	s_add_u32 s2, s34, s2
	s_addc_u32 s3, 0, s35
.LBB39_1101:                            ; =>This Inner Loop Header: Depth=1
	s_load_dwordx2 s[10:11], s[2:3], 0x4
	s_load_dword s9, s[2:3], 0xc
	s_load_dwordx2 s[12:13], s[6:7], 0x0
	s_add_u32 s2, s2, 12
	s_addc_u32 s3, s3, 0
	s_waitcnt lgkmcnt(0)
	v_mul_hi_u32 v1, s11, v0
	v_add_u32_e32 v1, v0, v1
	v_lshrrev_b32_e32 v1, s9, v1
	v_mul_lo_u32 v3, v1, s10
	v_mov_b32_e32 v2, v7
	s_add_u32 s6, s6, 8
	v_sub_u32_e32 v4, v0, v3
	s_addc_u32 s7, s7, 0
	s_add_i32 s8, s8, -1
	v_mad_u64_u32 v[2:3], s[10:11], v4, s13, v[2:3]
	v_mad_u64_u32 v[6:7], s[10:11], v4, s12, v[6:7]
	s_cmp_lg_u32 s8, 0
	v_mov_b32_e32 v0, v1
	v_mov_b32_e32 v7, v2
	s_cbranch_scc1 .LBB39_1101
; %bb.1102:
	v_mov_b32_e32 v14, v7
	s_cbranch_execnz .LBB39_1105
.LBB39_1103:
	s_load_dwordx4 s[8:11], s[34:35], 0x4
	s_load_dwordx2 s[2:3], s[34:35], 0xc4
	s_cmp_lt_u32 s33, 2
	s_waitcnt lgkmcnt(0)
	v_mul_hi_u32 v0, s9, v8
	v_add_u32_e32 v0, v8, v0
	v_lshrrev_b32_e32 v0, s10, v0
	s_waitcnt vmcnt(0)
	v_mul_lo_u32 v1, v0, s8
	v_sub_u32_e32 v1, v8, v1
	v_mul_lo_u32 v14, v1, s3
	v_mul_lo_u32 v6, v1, s2
	s_cbranch_scc1 .LBB39_1105
; %bb.1104:
	s_load_dwordx4 s[8:11], s[34:35], 0x10
	s_load_dwordx2 s[2:3], s[34:35], 0xcc
	s_waitcnt lgkmcnt(0)
	v_mul_hi_u32 v1, s9, v0
	v_add_u32_e32 v1, v0, v1
	v_lshrrev_b32_e32 v1, s10, v1
	v_mul_lo_u32 v1, v1, s8
	v_sub_u32_e32 v0, v0, v1
	v_mad_u64_u32 v[6:7], s[6:7], v0, s2, v[6:7]
	v_mad_u64_u32 v[14:15], s[2:3], v0, s3, v[14:15]
.LBB39_1105:
	s_and_b64 vcc, exec, s[0:1]
	v_add_u32_e32 v0, 0x80, v8
	s_cbranch_vccnz .LBB39_1112
; %bb.1106:
	s_mov_b32 s2, 0
	s_cmp_lg_u32 s33, 0
	v_mov_b32_e32 v12, 0
	v_mov_b32_e32 v4, 0
	s_cbranch_scc0 .LBB39_1111
; %bb.1107:
	s_min_u32 s38, s74, 15
	s_add_i32 s38, s38, 1
	s_cmp_eq_u32 s74, 2
	s_cbranch_scc1 .LBB39_1113
; %bb.1108:
	s_add_u32 s6, s34, 0xc4
	s_addc_u32 s7, s35, 0
	s_and_b32 s2, s38, 28
	s_mov_b32 s3, 0
	v_mov_b32_e32 v4, 0
	s_mov_b64 s[36:37], s[34:35]
	s_waitcnt vmcnt(0)
	v_mov_b32_e32 v1, v0
	v_mov_b32_e32 v12, 0
.LBB39_1109:                            ; =>This Inner Loop Header: Depth=1
	s_load_dwordx8 s[16:23], s[36:37], 0x4
	s_load_dwordx4 s[24:27], s[36:37], 0x24
	s_load_dwordx8 s[8:15], s[6:7], 0x0
	s_add_u32 s36, s36, 48
	s_addc_u32 s37, s37, 0
	s_waitcnt lgkmcnt(0)
	v_mul_hi_u32 v2, s17, v1
	v_add_u32_e32 v2, v1, v2
	v_lshrrev_b32_e32 v2, s18, v2
	v_mul_lo_u32 v3, v2, s16
	v_mul_hi_u32 v5, s20, v2
	v_sub_u32_e32 v1, v1, v3
	v_add_u32_e32 v3, v2, v5
	v_lshrrev_b32_e32 v3, s21, v3
	v_mul_lo_u32 v7, v3, s19
	v_mul_hi_u32 v10, s23, v3
	v_sub_u32_e32 v2, v2, v7
	v_add_u32_e32 v7, v3, v10
	v_mul_lo_u32 v5, v1, s9
	v_mul_lo_u32 v1, v1, s8
	;; [unrolled: 1-line block ×4, first 2 shown]
	v_lshrrev_b32_e32 v7, s24, v7
	v_add3_u32 v2, v1, v4, v2
	v_add3_u32 v4, v5, v12, v10
	v_mul_lo_u32 v1, v7, s22
	v_mul_hi_u32 v5, s26, v7
	v_sub_u32_e32 v1, v3, v1
	v_add_u32_e32 v3, v7, v5
	v_mul_lo_u32 v5, v1, s12
	v_mul_lo_u32 v10, v1, s13
	v_lshrrev_b32_e32 v1, s27, v3
	s_add_i32 s3, s3, 4
	v_mul_lo_u32 v3, v1, s25
	s_add_u32 s6, s6, 32
	v_sub_u32_e32 v3, v7, v3
	s_addc_u32 s7, s7, 0
	v_mul_lo_u32 v7, v3, s14
	v_mul_lo_u32 v3, v3, s15
	s_cmp_lg_u32 s2, s3
	v_add3_u32 v12, v10, v4, v3
	v_add3_u32 v4, v5, v2, v7
	s_cbranch_scc1 .LBB39_1109
; %bb.1110:
	v_mov_b32_e32 v5, v12
	s_and_b32 s8, s38, 3
	s_cmp_eq_u32 s8, 0
	s_cbranch_scc0 .LBB39_1114
.LBB39_1111:
	s_cbranch_execz .LBB39_1117
	s_branch .LBB39_1119
.LBB39_1112:
                                        ; implicit-def: $vgpr12
                                        ; implicit-def: $vgpr4
	s_branch .LBB39_1117
.LBB39_1113:
	s_mov_b32 s3, s2
	v_pk_mov_b32 v[4:5], s[2:3], s[2:3] op_sel:[0,1]
                                        ; implicit-def: $vgpr12
	s_waitcnt vmcnt(0)
	v_mov_b32_e32 v1, v0
	s_and_b32 s8, s38, 3
	s_cmp_eq_u32 s8, 0
	s_cbranch_scc1 .LBB39_1111
.LBB39_1114:
	s_lshl_b32 s3, s2, 3
	s_add_u32 s3, s3, s34
	s_addc_u32 s7, 0, s35
	s_add_u32 s6, s3, 0xc4
	s_addc_u32 s7, s7, 0
	s_mul_i32 s2, s2, 12
	s_add_u32 s2, s34, s2
	s_addc_u32 s3, 0, s35
.LBB39_1115:                            ; =>This Inner Loop Header: Depth=1
	s_load_dwordx2 s[10:11], s[2:3], 0x4
	s_load_dword s9, s[2:3], 0xc
	s_load_dwordx2 s[12:13], s[6:7], 0x0
	s_add_u32 s2, s2, 12
	v_mov_b32_e32 v2, v5
	s_waitcnt lgkmcnt(0)
	v_mul_hi_u32 v3, s11, v1
	v_add_u32_e32 v3, v1, v3
	v_lshrrev_b32_e32 v3, s9, v3
	s_addc_u32 s3, s3, 0
	v_mul_lo_u32 v5, v3, s10
	s_add_u32 s6, s6, 8
	v_sub_u32_e32 v5, v1, v5
	s_addc_u32 s7, s7, 0
	s_add_i32 s8, s8, -1
	v_mov_b32_e32 v1, v3
	v_mad_u64_u32 v[2:3], s[10:11], v5, s13, v[2:3]
	v_mad_u64_u32 v[4:5], s[10:11], v5, s12, v[4:5]
	s_cmp_lg_u32 s8, 0
	v_mov_b32_e32 v5, v2
	s_cbranch_scc1 .LBB39_1115
; %bb.1116:
	v_mov_b32_e32 v12, v5
	s_cbranch_execnz .LBB39_1119
.LBB39_1117:
	s_load_dwordx4 s[8:11], s[34:35], 0x4
	s_load_dwordx2 s[2:3], s[34:35], 0xc4
	s_cmp_lt_u32 s33, 2
	s_waitcnt vmcnt(0) lgkmcnt(0)
	v_mul_hi_u32 v1, s9, v0
	v_add_u32_e32 v1, v0, v1
	v_lshrrev_b32_e32 v1, s10, v1
	v_mul_lo_u32 v2, v1, s8
	v_sub_u32_e32 v0, v0, v2
	v_mul_lo_u32 v12, v0, s3
	v_mul_lo_u32 v4, v0, s2
	s_cbranch_scc1 .LBB39_1119
; %bb.1118:
	s_load_dwordx4 s[8:11], s[34:35], 0x10
	s_load_dwordx2 s[2:3], s[34:35], 0xcc
	s_waitcnt lgkmcnt(0)
	v_mul_hi_u32 v0, s9, v1
	v_add_u32_e32 v0, v1, v0
	v_lshrrev_b32_e32 v0, s10, v0
	v_mul_lo_u32 v0, v0, s8
	v_sub_u32_e32 v0, v1, v0
	v_mad_u64_u32 v[4:5], s[6:7], v0, s2, v[4:5]
	v_mad_u64_u32 v[12:13], s[2:3], v0, s3, v[12:13]
.LBB39_1119:
	s_and_b64 vcc, exec, s[0:1]
	v_add_u32_e32 v0, 0x100, v8
	s_cbranch_vccnz .LBB39_1126
; %bb.1120:
	s_mov_b32 s2, 0
	s_cmp_lg_u32 s33, 0
	v_mov_b32_e32 v10, 0
	v_mov_b32_e32 v2, 0
	s_cbranch_scc0 .LBB39_1125
; %bb.1121:
	s_min_u32 s38, s74, 15
	s_add_i32 s38, s38, 1
	s_cmp_eq_u32 s74, 2
	s_cbranch_scc1 .LBB39_1127
; %bb.1122:
	s_add_u32 s6, s34, 0xc4
	s_addc_u32 s7, s35, 0
	s_and_b32 s2, s38, 28
	s_mov_b32 s3, 0
	v_mov_b32_e32 v2, 0
	s_mov_b64 s[36:37], s[34:35]
	s_waitcnt vmcnt(0)
	v_mov_b32_e32 v1, v0
	v_mov_b32_e32 v10, 0
.LBB39_1123:                            ; =>This Inner Loop Header: Depth=1
	s_load_dwordx8 s[16:23], s[36:37], 0x4
	s_load_dwordx4 s[24:27], s[36:37], 0x24
	s_load_dwordx8 s[8:15], s[6:7], 0x0
	s_add_u32 s36, s36, 48
	s_addc_u32 s37, s37, 0
	s_waitcnt lgkmcnt(0)
	v_mul_hi_u32 v3, s17, v1
	v_add_u32_e32 v3, v1, v3
	v_lshrrev_b32_e32 v3, s18, v3
	v_mul_lo_u32 v5, v3, s16
	v_mul_hi_u32 v7, s20, v3
	v_sub_u32_e32 v1, v1, v5
	v_add_u32_e32 v5, v3, v7
	v_lshrrev_b32_e32 v5, s21, v5
	v_mul_lo_u32 v8, v5, s19
	v_mul_hi_u32 v11, s23, v5
	v_sub_u32_e32 v3, v3, v8
	v_add_u32_e32 v8, v5, v11
	v_mul_lo_u32 v7, v1, s9
	v_mul_lo_u32 v1, v1, s8
	v_mul_lo_u32 v11, v3, s11
	v_mul_lo_u32 v3, v3, s10
	v_lshrrev_b32_e32 v8, s24, v8
	v_add3_u32 v2, v1, v2, v3
	v_add3_u32 v3, v7, v10, v11
	v_mul_lo_u32 v1, v8, s22
	v_mul_hi_u32 v7, s26, v8
	v_sub_u32_e32 v1, v5, v1
	v_add_u32_e32 v5, v8, v7
	v_mul_lo_u32 v7, v1, s12
	v_mul_lo_u32 v10, v1, s13
	v_lshrrev_b32_e32 v1, s27, v5
	s_add_i32 s3, s3, 4
	v_mul_lo_u32 v5, v1, s25
	s_add_u32 s6, s6, 32
	v_sub_u32_e32 v5, v8, v5
	s_addc_u32 s7, s7, 0
	v_mul_lo_u32 v8, v5, s14
	v_mul_lo_u32 v5, v5, s15
	s_cmp_lg_u32 s2, s3
	v_add3_u32 v10, v10, v3, v5
	v_add3_u32 v2, v7, v2, v8
	s_cbranch_scc1 .LBB39_1123
; %bb.1124:
	v_mov_b32_e32 v3, v10
	s_and_b32 s8, s38, 3
	s_cmp_eq_u32 s8, 0
	s_cbranch_scc0 .LBB39_1128
.LBB39_1125:
	s_cbranch_execz .LBB39_1131
	s_branch .LBB39_1133
.LBB39_1126:
                                        ; implicit-def: $vgpr10
                                        ; implicit-def: $vgpr2
	s_branch .LBB39_1131
.LBB39_1127:
	s_mov_b32 s3, s2
	v_pk_mov_b32 v[2:3], s[2:3], s[2:3] op_sel:[0,1]
                                        ; implicit-def: $vgpr10
	s_waitcnt vmcnt(0)
	v_mov_b32_e32 v1, v0
	s_and_b32 s8, s38, 3
	s_cmp_eq_u32 s8, 0
	s_cbranch_scc1 .LBB39_1125
.LBB39_1128:
	s_lshl_b32 s3, s2, 3
	s_add_u32 s3, s3, s34
	s_addc_u32 s7, 0, s35
	s_add_u32 s6, s3, 0xc4
	s_addc_u32 s7, s7, 0
	s_mul_i32 s2, s2, 12
	s_add_u32 s2, s34, s2
	s_addc_u32 s3, 0, s35
.LBB39_1129:                            ; =>This Inner Loop Header: Depth=1
	s_load_dwordx2 s[10:11], s[2:3], 0x4
	s_load_dword s9, s[2:3], 0xc
	s_load_dwordx2 s[12:13], s[6:7], 0x0
	v_mov_b32_e32 v8, v3
	s_add_u32 s2, s2, 12
	s_waitcnt lgkmcnt(0)
	v_mul_hi_u32 v3, s11, v1
	v_add_u32_e32 v3, v1, v3
	v_lshrrev_b32_e32 v3, s9, v3
	s_addc_u32 s3, s3, 0
	v_mul_lo_u32 v5, v3, s10
	s_add_u32 s6, s6, 8
	v_sub_u32_e32 v5, v1, v5
	s_addc_u32 s7, s7, 0
	s_add_i32 s8, s8, -1
	v_mov_b32_e32 v1, v3
	v_mad_u64_u32 v[10:11], s[10:11], v5, s13, v[8:9]
	v_mad_u64_u32 v[2:3], s[10:11], v5, s12, v[2:3]
	s_cmp_lg_u32 s8, 0
	v_mov_b32_e32 v3, v10
	s_cbranch_scc1 .LBB39_1129
; %bb.1130:
	v_mov_b32_e32 v10, v3
	s_cbranch_execnz .LBB39_1133
.LBB39_1131:
	s_load_dwordx4 s[8:11], s[34:35], 0x4
	s_load_dwordx2 s[2:3], s[34:35], 0xc4
	s_cmp_lt_u32 s33, 2
	s_waitcnt vmcnt(0) lgkmcnt(0)
	v_mul_hi_u32 v1, s9, v0
	v_add_u32_e32 v1, v0, v1
	v_lshrrev_b32_e32 v1, s10, v1
	v_mul_lo_u32 v2, v1, s8
	v_sub_u32_e32 v0, v0, v2
	v_mul_lo_u32 v10, v0, s3
	v_mul_lo_u32 v2, v0, s2
	s_cbranch_scc1 .LBB39_1133
; %bb.1132:
	s_load_dwordx4 s[8:11], s[34:35], 0x10
	s_load_dwordx2 s[2:3], s[34:35], 0xcc
	s_waitcnt lgkmcnt(0)
	v_mul_hi_u32 v0, s9, v1
	v_add_u32_e32 v0, v1, v0
	v_lshrrev_b32_e32 v0, s10, v0
	v_mul_lo_u32 v0, v0, s8
	v_sub_u32_e32 v0, v1, v0
	v_mad_u64_u32 v[2:3], s[6:7], v0, s2, v[2:3]
	v_mad_u64_u32 v[10:11], s[2:3], v0, s3, v[10:11]
.LBB39_1133:
	s_and_b64 vcc, exec, s[0:1]
	s_cbranch_vccnz .LBB39_1140
; %bb.1134:
	s_mov_b32 s6, 0
	s_cmp_lg_u32 s33, 0
	v_mov_b32_e32 v8, 0
	v_mov_b32_e32 v0, 0
	s_cbranch_scc0 .LBB39_1139
; %bb.1135:
	s_min_u32 s36, s74, 15
	s_add_i32 s36, s36, 1
	s_cmp_eq_u32 s74, 2
	s_cbranch_scc1 .LBB39_1141
; %bb.1136:
	s_add_u32 s24, s34, 0xc4
	s_addc_u32 s25, s35, 0
	s_and_b32 s6, s36, 28
	s_mov_b32 s7, 0
	v_mov_b32_e32 v0, 0
	s_mov_b64 s[26:27], s[34:35]
	v_mov_b32_e32 v3, v9
	v_mov_b32_e32 v8, 0
.LBB39_1137:                            ; =>This Inner Loop Header: Depth=1
	s_load_dwordx8 s[16:23], s[26:27], 0x4
	s_load_dwordx4 s[0:3], s[26:27], 0x24
	s_load_dwordx8 s[8:15], s[24:25], 0x0
	s_add_u32 s26, s26, 48
	s_addc_u32 s27, s27, 0
	s_waitcnt vmcnt(0) lgkmcnt(0)
	v_mul_hi_u32 v1, s17, v3
	v_add_u32_e32 v1, v3, v1
	v_lshrrev_b32_e32 v1, s18, v1
	v_mul_lo_u32 v5, v1, s16
	v_mul_hi_u32 v7, s20, v1
	v_sub_u32_e32 v3, v3, v5
	v_add_u32_e32 v5, v1, v7
	v_lshrrev_b32_e32 v5, s21, v5
	v_mul_lo_u32 v11, v5, s19
	v_mul_hi_u32 v13, s23, v5
	v_sub_u32_e32 v1, v1, v11
	v_add_u32_e32 v11, v5, v13
	v_mul_lo_u32 v7, v3, s9
	v_mul_lo_u32 v3, v3, s8
	;; [unrolled: 1-line block ×4, first 2 shown]
	v_lshrrev_b32_e32 v11, s0, v11
	v_add3_u32 v0, v3, v0, v1
	v_add3_u32 v1, v7, v8, v13
	v_mul_lo_u32 v3, v11, s22
	v_mul_hi_u32 v7, s2, v11
	v_sub_u32_e32 v3, v5, v3
	v_add_u32_e32 v5, v11, v7
	v_mul_lo_u32 v7, v3, s12
	v_mul_lo_u32 v8, v3, s13
	v_lshrrev_b32_e32 v3, s3, v5
	s_add_i32 s7, s7, 4
	v_mul_lo_u32 v5, v3, s1
	s_add_u32 s24, s24, 32
	v_sub_u32_e32 v5, v11, v5
	s_addc_u32 s25, s25, 0
	v_mul_lo_u32 v11, v5, s14
	v_mul_lo_u32 v5, v5, s15
	s_cmp_lg_u32 s6, s7
	v_add3_u32 v8, v8, v1, v5
	v_add3_u32 v0, v7, v0, v11
	s_cbranch_scc1 .LBB39_1137
; %bb.1138:
	v_mov_b32_e32 v1, v8
	s_and_b32 s7, s36, 3
	s_cmp_eq_u32 s7, 0
	s_cbranch_scc0 .LBB39_1142
.LBB39_1139:
	s_cbranch_execz .LBB39_1145
	s_branch .LBB39_1147
.LBB39_1140:
                                        ; implicit-def: $vgpr8
                                        ; implicit-def: $vgpr0
	s_branch .LBB39_1145
.LBB39_1141:
	s_mov_b32 s7, s6
	s_waitcnt vmcnt(0)
	v_pk_mov_b32 v[0:1], s[6:7], s[6:7] op_sel:[0,1]
                                        ; implicit-def: $vgpr8
	v_mov_b32_e32 v3, v9
	s_and_b32 s7, s36, 3
	s_cmp_eq_u32 s7, 0
	s_cbranch_scc1 .LBB39_1139
.LBB39_1142:
	s_lshl_b32 s0, s6, 3
	s_add_u32 s0, s0, s34
	s_addc_u32 s1, 0, s35
	s_add_u32 s0, s0, 0xc4
	s_addc_u32 s1, s1, 0
	s_mul_i32 s2, s6, 12
	s_add_u32 s2, s34, s2
	s_addc_u32 s3, 0, s35
.LBB39_1143:                            ; =>This Inner Loop Header: Depth=1
	s_load_dwordx2 s[8:9], s[2:3], 0x4
	s_load_dword s6, s[2:3], 0xc
	s_load_dwordx2 s[10:11], s[0:1], 0x0
	v_mov_b32_e32 v8, v1
	s_add_u32 s2, s2, 12
	s_waitcnt lgkmcnt(0)
	v_mul_hi_u32 v1, s9, v3
	v_add_u32_e32 v1, v3, v1
	v_lshrrev_b32_e32 v1, s6, v1
	s_addc_u32 s3, s3, 0
	v_mul_lo_u32 v5, v1, s8
	s_add_u32 s0, s0, 8
	v_sub_u32_e32 v5, v3, v5
	s_addc_u32 s1, s1, 0
	s_add_i32 s7, s7, -1
	v_mov_b32_e32 v3, v1
	v_mad_u64_u32 v[16:17], s[8:9], v5, s11, v[8:9]
	v_mad_u64_u32 v[0:1], s[8:9], v5, s10, v[0:1]
	s_cmp_lg_u32 s7, 0
	v_mov_b32_e32 v1, v16
	s_cbranch_scc1 .LBB39_1143
; %bb.1144:
	v_mov_b32_e32 v8, v1
	s_cbranch_execnz .LBB39_1147
.LBB39_1145:
	s_load_dwordx4 s[0:3], s[34:35], 0x4
	s_load_dwordx2 s[6:7], s[34:35], 0xc4
	s_cmp_lt_u32 s33, 2
	s_waitcnt lgkmcnt(0)
	v_mul_hi_u32 v0, s1, v9
	v_add_u32_e32 v0, v9, v0
	s_waitcnt vmcnt(0)
	v_lshrrev_b32_e32 v1, s2, v0
	v_mul_lo_u32 v0, v1, s0
	v_sub_u32_e32 v0, v9, v0
	v_mul_lo_u32 v8, v0, s7
	v_mul_lo_u32 v0, v0, s6
	s_cbranch_scc1 .LBB39_1147
; %bb.1146:
	s_load_dwordx4 s[0:3], s[34:35], 0x10
	s_load_dwordx2 s[6:7], s[34:35], 0xcc
	s_waitcnt lgkmcnt(0)
	v_mul_hi_u32 v3, s1, v1
	v_add_u32_e32 v3, v1, v3
	v_lshrrev_b32_e32 v3, s2, v3
	v_mul_lo_u32 v3, v3, s0
	v_sub_u32_e32 v3, v1, v3
	v_mad_u64_u32 v[0:1], s[0:1], v3, s6, v[0:1]
	v_mad_u64_u32 v[8:9], s[0:1], v3, s7, v[8:9]
.LBB39_1147:
	s_load_dword s0, s[4:5], 0x164
	s_load_dwordx4 s[8:11], s[34:35], 0x148
	s_waitcnt lgkmcnt(0)
	s_lshr_b32 s18, s0, 8
	s_waitcnt vmcnt(0)
	v_mov_b32_e32 v1, s11
	v_add_co_u32_e32 v14, vcc, s10, v14
	v_addc_co_u32_e32 v15, vcc, 0, v1, vcc
	v_mov_b32_e32 v1, 11
	v_cmp_lt_i16_sdwa s[0:1], s18, v1 src0_sel:BYTE_0 src1_sel:DWORD
	s_and_b64 vcc, exec, s[0:1]
	s_cbranch_vccnz .LBB39_1154
; %bb.1148:
	v_mov_b32_e32 v1, 25
	v_cmp_gt_i16_sdwa s[0:1], s18, v1 src0_sel:BYTE_0 src1_sel:DWORD
	s_mov_b64 s[6:7], 0
	s_and_b64 vcc, exec, s[0:1]
	s_cbranch_vccz .LBB39_1156
; %bb.1149:
	v_mov_b32_e32 v1, 28
	v_cmp_gt_i16_sdwa s[0:1], s18, v1 src0_sel:BYTE_0 src1_sel:DWORD
	s_and_b64 vcc, exec, s[0:1]
	s_cbranch_vccz .LBB39_1157
; %bb.1150:
	v_mov_b32_e32 v1, 43
	v_cmp_gt_i16_sdwa s[0:1], s18, v1 src0_sel:BYTE_0 src1_sel:DWORD
	;; [unrolled: 5-line block ×3, first 2 shown]
	s_and_b64 vcc, exec, s[0:1]
	s_cbranch_vccz .LBB39_1159
; %bb.1152:
	v_mov_b32_e32 v1, 46
	v_cmp_eq_u16_sdwa s[0:1], s18, v1 src0_sel:BYTE_0 src1_sel:DWORD
	s_mov_b64 s[2:3], 0
	s_and_b64 vcc, exec, s[0:1]
	s_cbranch_vccz .LBB39_1162
; %bb.1153:
	global_load_dword v1, v[14:15], off
	s_mov_b64 s[0:1], 0
	s_mov_b64 s[12:13], -1
	s_branch .LBB39_1163
.LBB39_1154:
	s_mov_b64 s[12:13], 0
                                        ; implicit-def: $vgpr1
	s_mov_b64 s[2:3], s[28:29]
	s_cbranch_execnz .LBB39_1225
.LBB39_1155:
	s_andn2_b64 vcc, exec, s[12:13]
	s_cbranch_vccz .LBB39_1270
	s_branch .LBB39_2043
.LBB39_1156:
	s_mov_b64 s[12:13], 0
	s_mov_b64 s[0:1], 0
                                        ; implicit-def: $vgpr1
	s_cbranch_execnz .LBB39_1190
	s_branch .LBB39_1221
.LBB39_1157:
	s_mov_b64 s[12:13], 0
	s_mov_b64 s[0:1], 0
                                        ; implicit-def: $vgpr1
	s_cbranch_execz .LBB39_1189
	s_branch .LBB39_1172
.LBB39_1158:
	s_mov_b64 s[12:13], 0
	s_mov_b64 s[0:1], 0
                                        ; implicit-def: $vgpr1
	s_cbranch_execnz .LBB39_1168
	s_branch .LBB39_1171
.LBB39_1159:
	s_mov_b64 s[2:3], -1
	s_mov_b64 s[12:13], 0
	s_mov_b64 s[0:1], 0
                                        ; implicit-def: $vgpr1
	s_branch .LBB39_1163
.LBB39_1160:
	s_or_saveexec_b64 s[14:15], s[14:15]
                                        ; implicit-def: $sgpr16
	s_xor_b64 exec, exec, s[14:15]
	s_cbranch_execz .LBB39_1003
.LBB39_1161:
	s_mov_b32 s16, 0x46000000
	v_add_f32_e64 v4, |v6|, s16
	v_and_b32_e32 v4, 0xff, v4
	v_cmp_ne_u32_e32 vcc, 0, v4
	s_andn2_b64 s[12:13], s[12:13], exec
	s_and_b64 s[18:19], vcc, exec
	s_mov_b32 s16, 0
	s_or_b64 s[12:13], s[12:13], s[18:19]
	s_or_b64 exec, exec, s[14:15]
	v_mov_b32_e32 v8, s16
	s_and_saveexec_b64 s[14:15], s[12:13]
	s_cbranch_execnz .LBB39_1004
	s_branch .LBB39_1005
.LBB39_1162:
	s_mov_b64 s[0:1], -1
                                        ; implicit-def: $vgpr1
	s_mov_b64 s[12:13], 0
.LBB39_1163:
	s_and_b64 vcc, exec, s[2:3]
	s_cbranch_vccz .LBB39_1166
; %bb.1164:
	s_waitcnt vmcnt(0)
	v_mov_b32_e32 v1, 44
	v_cmp_eq_u16_sdwa s[0:1], s18, v1 src0_sel:BYTE_0 src1_sel:DWORD
	s_and_b64 vcc, exec, s[0:1]
	s_cbranch_vccz .LBB39_1167
; %bb.1165:
	global_load_ubyte v1, v[14:15], off
	s_movk_i32 s2, 0xff
	v_mov_b32_e32 v3, 0x7f800001
	v_mov_b32_e32 v5, 0x400000
	;; [unrolled: 1-line block ×3, first 2 shown]
	s_mov_b64 s[0:1], 0
	s_mov_b64 s[12:13], -1
	s_waitcnt vmcnt(0)
	v_lshlrev_b32_e32 v9, 23, v1
	v_cmp_ne_u32_e32 vcc, s2, v1
	v_cndmask_b32_e32 v3, v3, v9, vcc
	v_cmp_ne_u32_e32 vcc, 0, v1
	v_cndmask_b32_e32 v1, v5, v3, vcc
	v_add_u32_e32 v3, 0x7fff, v1
	v_lshrrev_b32_e32 v3, 16, v3
	v_cmp_o_f32_e32 vcc, v1, v1
	v_cndmask_b32_e32 v1, v7, v3, vcc
.LBB39_1166:
	s_branch .LBB39_1171
.LBB39_1167:
	s_mov_b64 s[0:1], -1
                                        ; implicit-def: $vgpr1
	s_branch .LBB39_1171
.LBB39_1168:
	s_waitcnt vmcnt(0)
	v_mov_b32_e32 v1, 29
	v_cmp_eq_u16_sdwa s[0:1], s18, v1 src0_sel:BYTE_0 src1_sel:DWORD
	s_and_b64 vcc, exec, s[0:1]
	s_cbranch_vccz .LBB39_1170
; %bb.1169:
	global_load_dwordx2 v[16:17], v[14:15], off
	s_movk_i32 s2, 0x7fff
	s_mov_b64 s[0:1], 0
	s_mov_b64 s[12:13], -1
	s_waitcnt vmcnt(0)
	v_ffbh_u32_e32 v1, v17
	v_min_u32_e32 v1, 32, v1
	v_lshlrev_b64 v[16:17], v1, v[16:17]
	v_min_u32_e32 v3, 1, v16
	v_or_b32_e32 v3, v17, v3
	v_cvt_f32_u32_e32 v3, v3
	v_sub_u32_e32 v1, 32, v1
	v_ldexp_f32 v1, v3, v1
	v_bfe_u32 v3, v1, 16, 1
	v_add3_u32 v1, v1, v3, s2
	v_lshrrev_b32_e32 v1, 16, v1
	s_branch .LBB39_1171
.LBB39_1170:
	s_mov_b64 s[0:1], -1
                                        ; implicit-def: $vgpr1
.LBB39_1171:
	s_branch .LBB39_1189
.LBB39_1172:
	s_waitcnt vmcnt(0)
	v_mov_b32_e32 v1, 27
	v_cmp_lt_i16_sdwa s[2:3], s18, v1 src0_sel:BYTE_0 src1_sel:DWORD
	s_and_b64 vcc, exec, s[2:3]
	s_cbranch_vccnz .LBB39_1175
; %bb.1173:
	v_cmp_gt_i16_sdwa s[2:3], s18, v1 src0_sel:BYTE_0 src1_sel:DWORD
	s_and_b64 vcc, exec, s[2:3]
	s_cbranch_vccz .LBB39_1176
; %bb.1174:
	global_load_dword v1, v[14:15], off
	s_movk_i32 s2, 0x7fff
	s_waitcnt vmcnt(0)
	v_cvt_f32_u32_e32 v1, v1
	v_bfe_u32 v3, v1, 16, 1
	v_add3_u32 v1, v1, v3, s2
	v_lshrrev_b32_e32 v1, 16, v1
	s_mov_b64 s[2:3], 0
	s_branch .LBB39_1177
.LBB39_1175:
	s_mov_b64 s[2:3], -1
                                        ; implicit-def: $vgpr1
	s_branch .LBB39_1180
.LBB39_1176:
	s_mov_b64 s[2:3], -1
                                        ; implicit-def: $vgpr1
.LBB39_1177:
	s_andn2_b64 vcc, exec, s[2:3]
	s_cbranch_vccnz .LBB39_1179
; %bb.1178:
	global_load_ushort v1, v[14:15], off
	s_movk_i32 s2, 0x7fff
	s_waitcnt vmcnt(0)
	v_cvt_f32_u32_e32 v1, v1
	v_bfe_u32 v3, v1, 16, 1
	v_add3_u32 v1, v1, v3, s2
	v_lshrrev_b32_e32 v1, 16, v1
.LBB39_1179:
	s_mov_b64 s[2:3], 0
.LBB39_1180:
	s_andn2_b64 vcc, exec, s[2:3]
	s_cbranch_vccnz .LBB39_1188
; %bb.1181:
	global_load_ubyte v1, v[14:15], off
	s_movk_i32 s2, 0x7f
                                        ; implicit-def: $sgpr16
	s_waitcnt vmcnt(0)
	v_cmp_lt_i16_e32 vcc, s2, v1
	s_mov_b64 s[2:3], 0
	s_and_saveexec_b64 s[12:13], vcc
	s_xor_b64 s[12:13], exec, s[12:13]
	s_cbranch_execz .LBB39_1201
; %bb.1182:
	s_movk_i32 s2, 0x80
	v_cmp_eq_u16_e32 vcc, s2, v1
	s_mov_b64 s[2:3], -1
                                        ; implicit-def: $sgpr16
	s_and_saveexec_b64 s[14:15], vcc
; %bb.1183:
	s_mov_b32 s16, 0x7f800001
	s_xor_b64 s[2:3], exec, -1
; %bb.1184:
	s_or_b64 exec, exec, s[14:15]
	s_and_b64 s[2:3], s[2:3], exec
	s_or_saveexec_b64 s[12:13], s[12:13]
	v_mov_b32_e32 v3, s16
	s_xor_b64 exec, exec, s[12:13]
	s_cbranch_execnz .LBB39_1202
.LBB39_1185:
	s_or_b64 exec, exec, s[12:13]
	s_and_saveexec_b64 s[12:13], s[2:3]
	s_cbranch_execz .LBB39_1187
.LBB39_1186:
	v_lshlrev_b32_e32 v3, 24, v1
	v_and_b32_e32 v1, 0xffff, v1
	v_and_b32_e32 v5, 7, v1
	v_ffbh_u32_e32 v9, v5
	v_min_u32_e32 v9, 32, v9
	v_subrev_u32_e32 v11, 28, v9
	v_bfe_u32 v7, v1, 3, 4
	v_lshlrev_b32_e32 v1, v11, v1
	v_sub_u32_e32 v9, 29, v9
	v_and_b32_e32 v1, 7, v1
	v_cmp_eq_u32_e32 vcc, 0, v7
	v_cndmask_b32_e32 v7, v7, v9, vcc
	v_cndmask_b32_e32 v1, v5, v1, vcc
	v_mov_b32_e32 v5, 0x3b800000
	v_lshlrev_b32_e32 v1, 20, v1
	v_and_b32_e32 v3, 0x80000000, v3
	v_lshl_add_u32 v5, v7, 23, v5
	v_or3_b32 v3, v3, v5, v1
.LBB39_1187:
	s_or_b64 exec, exec, s[12:13]
	v_bfe_u32 v1, v3, 16, 1
	s_movk_i32 s2, 0x7fff
	v_add3_u32 v1, v3, v1, s2
	v_lshrrev_b32_e32 v1, 16, v1
	v_mov_b32_e32 v5, 0x7fc0
	v_cmp_o_f32_e32 vcc, v3, v3
	v_cndmask_b32_e32 v1, v5, v1, vcc
.LBB39_1188:
	s_mov_b64 s[12:13], -1
.LBB39_1189:
	s_branch .LBB39_1221
.LBB39_1190:
	s_waitcnt vmcnt(0)
	v_mov_b32_e32 v1, 22
	v_cmp_gt_i16_sdwa s[2:3], s18, v1 src0_sel:BYTE_0 src1_sel:DWORD
	s_and_b64 vcc, exec, s[2:3]
	s_cbranch_vccz .LBB39_1200
; %bb.1191:
	v_mov_b32_e32 v1, 24
	v_cmp_lt_i16_sdwa s[2:3], s18, v1 src0_sel:BYTE_0 src1_sel:DWORD
	s_and_b64 vcc, exec, s[2:3]
	s_cbranch_vccnz .LBB39_1203
; %bb.1192:
	v_cmp_gt_i16_sdwa s[2:3], s18, v1 src0_sel:BYTE_0 src1_sel:DWORD
	s_and_b64 vcc, exec, s[2:3]
	s_cbranch_vccz .LBB39_1204
; %bb.1193:
	global_load_ubyte v1, v[14:15], off
	s_movk_i32 s2, 0x7f
                                        ; implicit-def: $sgpr14
	s_waitcnt vmcnt(0)
	v_cmp_lt_i16_e32 vcc, s2, v1
	s_mov_b64 s[2:3], 0
	s_and_saveexec_b64 s[6:7], vcc
	s_xor_b64 s[6:7], exec, s[6:7]
	s_cbranch_execz .LBB39_1215
; %bb.1194:
	s_movk_i32 s2, 0x80
	v_cmp_eq_u16_e32 vcc, s2, v1
	s_mov_b64 s[2:3], -1
                                        ; implicit-def: $sgpr14
	s_and_saveexec_b64 s[12:13], vcc
; %bb.1195:
	s_mov_b32 s14, 0x7f800001
	s_xor_b64 s[2:3], exec, -1
; %bb.1196:
	s_or_b64 exec, exec, s[12:13]
	s_and_b64 s[2:3], s[2:3], exec
	s_or_saveexec_b64 s[6:7], s[6:7]
	v_mov_b32_e32 v3, s14
	s_xor_b64 exec, exec, s[6:7]
	s_cbranch_execnz .LBB39_1216
.LBB39_1197:
	s_or_b64 exec, exec, s[6:7]
	s_and_saveexec_b64 s[6:7], s[2:3]
	s_cbranch_execz .LBB39_1199
.LBB39_1198:
	v_lshlrev_b32_e32 v3, 24, v1
	v_and_b32_e32 v1, 0xffff, v1
	v_and_b32_e32 v5, 3, v1
	v_ffbh_u32_e32 v9, v5
	v_min_u32_e32 v9, 32, v9
	v_subrev_u32_e32 v11, 29, v9
	v_bfe_u32 v7, v1, 2, 5
	v_lshlrev_b32_e32 v1, v11, v1
	v_sub_u32_e32 v9, 30, v9
	v_and_b32_e32 v1, 3, v1
	v_cmp_eq_u32_e32 vcc, 0, v7
	v_cndmask_b32_e32 v7, v7, v9, vcc
	v_cndmask_b32_e32 v1, v5, v1, vcc
	v_mov_b32_e32 v5, 0x37800000
	v_lshlrev_b32_e32 v1, 21, v1
	v_and_b32_e32 v3, 0x80000000, v3
	v_lshl_add_u32 v5, v7, 23, v5
	v_or3_b32 v3, v3, v5, v1
.LBB39_1199:
	s_or_b64 exec, exec, s[6:7]
	v_bfe_u32 v1, v3, 16, 1
	s_movk_i32 s2, 0x7fff
	v_add3_u32 v1, v3, v1, s2
	v_lshrrev_b32_e32 v1, 16, v1
	v_mov_b32_e32 v5, 0x7fc0
	v_cmp_o_f32_e32 vcc, v3, v3
	v_cndmask_b32_e32 v1, v5, v1, vcc
	s_mov_b64 s[2:3], 0
	s_branch .LBB39_1205
.LBB39_1200:
                                        ; implicit-def: $vgpr1
	s_mov_b64 s[6:7], 0
	s_branch .LBB39_1211
.LBB39_1201:
	s_or_saveexec_b64 s[12:13], s[12:13]
	v_mov_b32_e32 v3, s16
	s_xor_b64 exec, exec, s[12:13]
	s_cbranch_execz .LBB39_1185
.LBB39_1202:
	v_cmp_ne_u16_e32 vcc, 0, v1
	s_andn2_b64 s[2:3], s[2:3], exec
	s_and_b64 s[14:15], vcc, exec
	v_mov_b32_e32 v3, 0
	s_or_b64 s[2:3], s[2:3], s[14:15]
	s_or_b64 exec, exec, s[12:13]
	s_and_saveexec_b64 s[12:13], s[2:3]
	s_cbranch_execnz .LBB39_1186
	s_branch .LBB39_1187
.LBB39_1203:
	s_mov_b64 s[2:3], -1
                                        ; implicit-def: $vgpr1
	s_branch .LBB39_1208
.LBB39_1204:
	s_mov_b64 s[2:3], -1
                                        ; implicit-def: $vgpr1
.LBB39_1205:
	s_and_b64 vcc, exec, s[2:3]
	s_cbranch_vccz .LBB39_1207
; %bb.1206:
	global_load_ubyte v1, v[14:15], off
	s_mov_b32 s2, 0x7f800000
	s_brev_b32 s3, 1
	s_movk_i32 s6, 0x7fff
	v_mov_b32_e32 v3, 0x7fc0
	s_waitcnt vmcnt(0)
	v_lshlrev_b32_e32 v1, 24, v1
	v_and_b32_e32 v5, 0x7f000000, v1
	v_ffbh_u32_e32 v7, v5
	v_min_u32_e32 v7, 32, v7
	v_sub_u32_e64 v7, v7, 4 clamp
	v_lshlrev_b32_e32 v11, v7, v5
	v_lshlrev_b32_e32 v7, 23, v7
	v_lshrrev_b32_e32 v11, 4, v11
	v_add_u32_e32 v9, 0x1000000, v5
	v_sub_u32_e32 v7, v11, v7
	v_ashrrev_i32_e32 v9, 8, v9
	v_add_u32_e32 v7, 0x3c000000, v7
	v_and_or_b32 v7, v9, s2, v7
	v_cmp_ne_u32_e32 vcc, 0, v5
	v_cndmask_b32_e32 v5, 0, v7, vcc
	v_and_or_b32 v1, v1, s3, v5
	v_bfe_u32 v5, v5, 16, 1
	v_add3_u32 v5, v1, v5, s6
	v_lshrrev_b32_e32 v5, 16, v5
	v_cmp_o_f32_e32 vcc, v1, v1
	v_cndmask_b32_e32 v1, v3, v5, vcc
.LBB39_1207:
	s_mov_b64 s[2:3], 0
.LBB39_1208:
	s_andn2_b64 vcc, exec, s[2:3]
	s_cbranch_vccnz .LBB39_1210
; %bb.1209:
	global_load_ubyte v1, v[14:15], off
	s_movk_i32 s2, 0x7f00
	s_brev_b32 s3, 16
	s_brev_b32 s6, 1
	s_movk_i32 s7, 0x7fff
	v_mov_b32_e32 v3, 0x7fc0
	s_waitcnt vmcnt(0)
	v_lshlrev_b16_e32 v5, 8, v1
	v_lshlrev_b32_e32 v1, 25, v1
	v_lshrrev_b32_e32 v7, 4, v1
	v_and_or_b32 v9, v5, s2, 0.5
	v_or_b32_e32 v7, 0x70000000, v7
	v_add_f32_e32 v9, -0.5, v9
	v_mul_f32_e32 v7, 0x7800000, v7
	v_cmp_gt_u32_e32 vcc, s3, v1
	v_bfe_i32 v5, v5, 0, 16
	v_cndmask_b32_e32 v1, v7, v9, vcc
	v_and_or_b32 v5, v5, s6, v1
	v_bfe_u32 v1, v1, 16, 1
	v_add3_u32 v1, v5, v1, s7
	v_lshrrev_b32_e32 v1, 16, v1
	v_cmp_o_f32_e32 vcc, v5, v5
	v_cndmask_b32_e32 v1, v3, v1, vcc
.LBB39_1210:
	s_mov_b64 s[12:13], -1
	s_mov_b64 s[6:7], 0
	s_cbranch_execnz .LBB39_1221
.LBB39_1211:
	v_mov_b32_e32 v1, 14
	v_cmp_gt_i16_sdwa s[2:3], s18, v1 src0_sel:BYTE_0 src1_sel:DWORD
	s_and_b64 vcc, exec, s[2:3]
	s_cbranch_vccz .LBB39_1214
; %bb.1212:
	v_mov_b32_e32 v1, 15
	v_cmp_eq_u16_sdwa s[0:1], s18, v1 src0_sel:BYTE_0 src1_sel:DWORD
	s_and_b64 vcc, exec, s[0:1]
	s_cbranch_vccz .LBB39_1217
; %bb.1213:
	global_load_ushort v1, v[14:15], off
	s_mov_b64 s[0:1], 0
	s_mov_b64 s[12:13], -1
	s_branch .LBB39_1218
.LBB39_1214:
	s_mov_b64 s[2:3], -1
                                        ; implicit-def: $vgpr1
	s_branch .LBB39_1219
.LBB39_1215:
	s_or_saveexec_b64 s[6:7], s[6:7]
	v_mov_b32_e32 v3, s14
	s_xor_b64 exec, exec, s[6:7]
	s_cbranch_execz .LBB39_1197
.LBB39_1216:
	v_cmp_ne_u16_e32 vcc, 0, v1
	s_andn2_b64 s[2:3], s[2:3], exec
	s_and_b64 s[12:13], vcc, exec
	v_mov_b32_e32 v3, 0
	s_or_b64 s[2:3], s[2:3], s[12:13]
	s_or_b64 exec, exec, s[6:7]
	s_and_saveexec_b64 s[6:7], s[2:3]
	s_cbranch_execnz .LBB39_1198
	s_branch .LBB39_1199
.LBB39_1217:
	s_mov_b64 s[0:1], -1
                                        ; implicit-def: $vgpr1
.LBB39_1218:
	s_mov_b64 s[2:3], 0
.LBB39_1219:
	s_and_b64 vcc, exec, s[2:3]
	s_cbranch_vccz .LBB39_1221
; %bb.1220:
	s_waitcnt vmcnt(0)
	v_mov_b32_e32 v1, 11
	v_cmp_ne_u16_sdwa s[0:1], s18, v1 src0_sel:BYTE_0 src1_sel:DWORD
	s_mov_b64 s[6:7], -1
                                        ; implicit-def: $vgpr1
.LBB39_1221:
	s_and_b64 vcc, exec, s[0:1]
	s_mov_b64 s[2:3], s[28:29]
	s_cbranch_vccnz .LBB39_1282
; %bb.1222:
	s_andn2_b64 vcc, exec, s[6:7]
	s_cbranch_vccnz .LBB39_1224
.LBB39_1223:
	global_load_ubyte v1, v[14:15], off
	s_mov_b64 s[12:13], -1
	s_waitcnt vmcnt(0)
	v_cmp_ne_u16_e32 vcc, 0, v1
	v_cndmask_b32_e64 v1, 0, 1.0, vcc
	v_lshrrev_b32_e32 v1, 16, v1
.LBB39_1224:
	s_branch .LBB39_1155
.LBB39_1225:
	s_waitcnt vmcnt(0)
	v_mov_b32_e32 v1, 5
	v_cmp_lt_i16_sdwa s[0:1], s18, v1 src0_sel:BYTE_0 src1_sel:DWORD
	s_and_b64 vcc, exec, s[0:1]
	s_cbranch_vccnz .LBB39_1230
; %bb.1226:
	v_mov_b32_e32 v1, 8
	v_cmp_lt_i16_sdwa s[0:1], s18, v1 src0_sel:BYTE_0 src1_sel:DWORD
	s_and_b64 vcc, exec, s[0:1]
	s_cbranch_vccnz .LBB39_1231
; %bb.1227:
	;; [unrolled: 5-line block ×3, first 2 shown]
	v_cmp_gt_i16_sdwa s[0:1], s18, v1 src0_sel:BYTE_0 src1_sel:DWORD
	s_and_b64 vcc, exec, s[0:1]
	s_cbranch_vccz .LBB39_1233
; %bb.1229:
	global_load_dwordx2 v[16:17], v[14:15], off
	s_movk_i32 s0, 0x7fff
	v_mov_b32_e32 v1, 0x7fc0
	s_waitcnt vmcnt(0)
	v_cvt_f32_f64_e32 v3, v[16:17]
	v_bfe_u32 v5, v3, 16, 1
	v_add3_u32 v5, v3, v5, s0
	v_lshrrev_b32_e32 v5, 16, v5
	v_cmp_o_f32_e32 vcc, v3, v3
	v_cndmask_b32_e32 v1, v1, v5, vcc
	s_mov_b64 s[0:1], 0
	s_branch .LBB39_1234
.LBB39_1230:
                                        ; implicit-def: $vgpr1
	s_branch .LBB39_1251
.LBB39_1231:
                                        ; implicit-def: $vgpr1
	s_branch .LBB39_1240
.LBB39_1232:
	s_mov_b64 s[0:1], -1
                                        ; implicit-def: $vgpr1
	s_branch .LBB39_1237
.LBB39_1233:
	s_mov_b64 s[0:1], -1
                                        ; implicit-def: $vgpr1
.LBB39_1234:
	s_andn2_b64 vcc, exec, s[0:1]
	s_cbranch_vccnz .LBB39_1236
; %bb.1235:
	global_load_dword v1, v[14:15], off
	s_movk_i32 s0, 0x7fff
	v_mov_b32_e32 v3, 0x7fc0
	s_waitcnt vmcnt(0)
	v_bfe_u32 v5, v1, 16, 1
	v_add3_u32 v5, v1, v5, s0
	v_lshrrev_b32_e32 v5, 16, v5
	v_cmp_o_f32_e32 vcc, v1, v1
	v_cndmask_b32_e32 v1, v3, v5, vcc
.LBB39_1236:
	s_mov_b64 s[0:1], 0
.LBB39_1237:
	s_andn2_b64 vcc, exec, s[0:1]
	s_cbranch_vccnz .LBB39_1239
; %bb.1238:
	global_load_dword v1, v[14:15], off
	s_movk_i32 s0, 0x7fff
	v_mov_b32_e32 v5, 0x7fc0
	s_waitcnt vmcnt(0)
	v_cvt_f32_f16_e32 v3, v1
	v_cmp_o_f16_e32 vcc, v1, v1
	v_bfe_u32 v7, v3, 16, 1
	v_add3_u32 v3, v3, v7, s0
	v_lshrrev_b32_e32 v3, 16, v3
	v_cndmask_b32_e32 v1, v5, v3, vcc
.LBB39_1239:
	s_cbranch_execnz .LBB39_1250
.LBB39_1240:
	v_mov_b32_e32 v1, 6
	v_cmp_lt_i16_sdwa s[0:1], s18, v1 src0_sel:BYTE_0 src1_sel:DWORD
	s_and_b64 vcc, exec, s[0:1]
	s_cbranch_vccnz .LBB39_1243
; %bb.1241:
	v_cmp_gt_i16_sdwa s[0:1], s18, v1 src0_sel:BYTE_0 src1_sel:DWORD
	s_and_b64 vcc, exec, s[0:1]
	s_cbranch_vccz .LBB39_1244
; %bb.1242:
	global_load_dwordx2 v[16:17], v[14:15], off
	s_movk_i32 s0, 0x7fff
	v_mov_b32_e32 v1, 0x7fc0
	s_waitcnt vmcnt(0)
	v_cvt_f32_f64_e32 v3, v[16:17]
	v_bfe_u32 v5, v3, 16, 1
	v_add3_u32 v5, v3, v5, s0
	v_lshrrev_b32_e32 v5, 16, v5
	v_cmp_o_f32_e32 vcc, v3, v3
	v_cndmask_b32_e32 v1, v1, v5, vcc
	s_mov_b64 s[0:1], 0
	s_branch .LBB39_1245
.LBB39_1243:
	s_mov_b64 s[0:1], -1
                                        ; implicit-def: $vgpr1
	s_branch .LBB39_1248
.LBB39_1244:
	s_mov_b64 s[0:1], -1
                                        ; implicit-def: $vgpr1
.LBB39_1245:
	s_andn2_b64 vcc, exec, s[0:1]
	s_cbranch_vccnz .LBB39_1247
; %bb.1246:
	global_load_dword v1, v[14:15], off
	s_movk_i32 s0, 0x7fff
	v_mov_b32_e32 v3, 0x7fc0
	s_waitcnt vmcnt(0)
	v_bfe_u32 v5, v1, 16, 1
	v_add3_u32 v5, v1, v5, s0
	v_lshrrev_b32_e32 v5, 16, v5
	v_cmp_o_f32_e32 vcc, v1, v1
	v_cndmask_b32_e32 v1, v3, v5, vcc
.LBB39_1247:
	s_mov_b64 s[0:1], 0
.LBB39_1248:
	s_andn2_b64 vcc, exec, s[0:1]
	s_cbranch_vccnz .LBB39_1250
; %bb.1249:
	global_load_ushort v1, v[14:15], off
	s_movk_i32 s0, 0x7fff
	v_mov_b32_e32 v5, 0x7fc0
	s_waitcnt vmcnt(0)
	v_cvt_f32_f16_e32 v3, v1
	v_cmp_o_f16_e32 vcc, v1, v1
	v_bfe_u32 v7, v3, 16, 1
	v_add3_u32 v3, v3, v7, s0
	v_lshrrev_b32_e32 v3, 16, v3
	v_cndmask_b32_e32 v1, v5, v3, vcc
.LBB39_1250:
	s_cbranch_execnz .LBB39_1269
.LBB39_1251:
	v_mov_b32_e32 v1, 2
	v_cmp_lt_i16_sdwa s[0:1], s18, v1 src0_sel:BYTE_0 src1_sel:DWORD
	s_and_b64 vcc, exec, s[0:1]
	s_cbranch_vccnz .LBB39_1255
; %bb.1252:
	v_mov_b32_e32 v1, 3
	v_cmp_lt_i16_sdwa s[0:1], s18, v1 src0_sel:BYTE_0 src1_sel:DWORD
	s_and_b64 vcc, exec, s[0:1]
	s_cbranch_vccnz .LBB39_1256
; %bb.1253:
	v_cmp_gt_i16_sdwa s[0:1], s18, v1 src0_sel:BYTE_0 src1_sel:DWORD
	s_and_b64 vcc, exec, s[0:1]
	s_cbranch_vccz .LBB39_1257
; %bb.1254:
	global_load_dwordx2 v[16:17], v[14:15], off
	s_movk_i32 s0, 0x7fff
	s_waitcnt vmcnt(0)
	v_xor_b32_e32 v3, v16, v17
	v_ffbh_i32_e32 v1, v17
	v_ashrrev_i32_e32 v3, 31, v3
	v_add_u32_e32 v1, -1, v1
	v_add_u32_e32 v3, 32, v3
	v_min_u32_e32 v1, v1, v3
	v_lshlrev_b64 v[16:17], v1, v[16:17]
	v_min_u32_e32 v3, 1, v16
	v_or_b32_e32 v3, v17, v3
	v_cvt_f32_i32_e32 v3, v3
	v_sub_u32_e32 v1, 32, v1
	v_ldexp_f32 v1, v3, v1
	v_bfe_u32 v3, v1, 16, 1
	v_add3_u32 v1, v1, v3, s0
	v_lshrrev_b32_e32 v1, 16, v1
	s_mov_b64 s[0:1], 0
	s_branch .LBB39_1258
.LBB39_1255:
                                        ; implicit-def: $vgpr1
	s_branch .LBB39_1264
.LBB39_1256:
	s_mov_b64 s[0:1], -1
                                        ; implicit-def: $vgpr1
	s_branch .LBB39_1261
.LBB39_1257:
	s_mov_b64 s[0:1], -1
                                        ; implicit-def: $vgpr1
.LBB39_1258:
	s_andn2_b64 vcc, exec, s[0:1]
	s_cbranch_vccnz .LBB39_1260
; %bb.1259:
	global_load_dword v1, v[14:15], off
	s_movk_i32 s0, 0x7fff
	s_waitcnt vmcnt(0)
	v_cvt_f32_i32_e32 v1, v1
	v_bfe_u32 v3, v1, 16, 1
	v_add3_u32 v1, v1, v3, s0
	v_lshrrev_b32_e32 v1, 16, v1
.LBB39_1260:
	s_mov_b64 s[0:1], 0
.LBB39_1261:
	s_andn2_b64 vcc, exec, s[0:1]
	s_cbranch_vccnz .LBB39_1263
; %bb.1262:
	global_load_sshort v1, v[14:15], off
	s_movk_i32 s0, 0x7fff
	s_waitcnt vmcnt(0)
	v_cvt_f32_i32_e32 v1, v1
	v_bfe_u32 v3, v1, 16, 1
	v_add3_u32 v1, v1, v3, s0
	v_lshrrev_b32_e32 v1, 16, v1
.LBB39_1263:
	s_cbranch_execnz .LBB39_1269
.LBB39_1264:
	v_mov_b32_e32 v1, 0
	v_cmp_gt_i16_sdwa s[0:1], s18, v1 src0_sel:BYTE_0 src1_sel:DWORD
	s_and_b64 vcc, exec, s[0:1]
	s_cbranch_vccz .LBB39_1266
; %bb.1265:
	global_load_sbyte v1, v[14:15], off
	s_movk_i32 s0, 0x7fff
	s_waitcnt vmcnt(0)
	v_cvt_f32_i32_e32 v1, v1
	v_bfe_u32 v3, v1, 16, 1
	v_add3_u32 v1, v1, v3, s0
	v_lshrrev_b32_e32 v1, 16, v1
	s_mov_b64 s[0:1], 0
	s_branch .LBB39_1267
.LBB39_1266:
	s_mov_b64 s[0:1], -1
                                        ; implicit-def: $vgpr1
.LBB39_1267:
	s_andn2_b64 vcc, exec, s[0:1]
	s_cbranch_vccnz .LBB39_1269
; %bb.1268:
	global_load_ubyte v1, v[14:15], off
	s_movk_i32 s0, 0x7fff
	s_waitcnt vmcnt(0)
	v_cvt_f32_ubyte0_e32 v1, v1
	v_bfe_u32 v3, v1, 16, 1
	v_add3_u32 v1, v1, v3, s0
	v_lshrrev_b32_e32 v1, 16, v1
.LBB39_1269:
.LBB39_1270:
	v_mov_b32_e32 v3, s11
	v_add_co_u32_e32 v12, vcc, s10, v12
	v_addc_co_u32_e32 v13, vcc, 0, v3, vcc
	v_mov_b32_e32 v3, 11
	v_cmp_lt_i16_sdwa s[0:1], s18, v3 src0_sel:BYTE_0 src1_sel:DWORD
	s_and_b64 vcc, exec, s[0:1]
	s_cbranch_vccnz .LBB39_1277
; %bb.1271:
	v_mov_b32_e32 v3, 25
	v_cmp_gt_i16_sdwa s[0:1], s18, v3 src0_sel:BYTE_0 src1_sel:DWORD
	s_mov_b64 s[6:7], 0
	s_and_b64 vcc, exec, s[0:1]
	s_cbranch_vccz .LBB39_1279
; %bb.1272:
	v_mov_b32_e32 v3, 28
	v_cmp_gt_i16_sdwa s[0:1], s18, v3 src0_sel:BYTE_0 src1_sel:DWORD
	s_and_b64 vcc, exec, s[0:1]
	s_cbranch_vccz .LBB39_1280
; %bb.1273:
	v_mov_b32_e32 v3, 43
	v_cmp_gt_i16_sdwa s[0:1], s18, v3 src0_sel:BYTE_0 src1_sel:DWORD
	;; [unrolled: 5-line block ×3, first 2 shown]
	s_and_b64 vcc, exec, s[0:1]
	s_cbranch_vccz .LBB39_1283
; %bb.1275:
	v_mov_b32_e32 v3, 46
	v_cmp_eq_u16_sdwa s[0:1], s18, v3 src0_sel:BYTE_0 src1_sel:DWORD
	s_mov_b64 s[14:15], 0
	s_and_b64 vcc, exec, s[0:1]
	s_cbranch_vccz .LBB39_1286
; %bb.1276:
	global_load_dword v3, v[12:13], off
	s_mov_b64 s[0:1], 0
	s_mov_b64 s[12:13], -1
	s_branch .LBB39_1287
.LBB39_1277:
	s_mov_b64 s[12:13], 0
                                        ; implicit-def: $vgpr3
	s_cbranch_execnz .LBB39_1352
.LBB39_1278:
	s_andn2_b64 vcc, exec, s[12:13]
	s_cbranch_vccnz .LBB39_2043
	s_branch .LBB39_1399
.LBB39_1279:
	s_mov_b64 s[12:13], 0
	s_mov_b64 s[0:1], 0
                                        ; implicit-def: $vgpr3
	s_cbranch_execnz .LBB39_1316
	s_branch .LBB39_1348
.LBB39_1280:
	s_mov_b64 s[14:15], -1
	s_mov_b64 s[12:13], 0
	s_mov_b64 s[0:1], 0
                                        ; implicit-def: $vgpr3
	s_branch .LBB39_1297
.LBB39_1281:
	s_mov_b64 s[14:15], -1
	s_mov_b64 s[12:13], 0
	s_mov_b64 s[0:1], 0
                                        ; implicit-def: $vgpr3
	s_branch .LBB39_1292
.LBB39_1282:
	s_or_b64 s[2:3], s[28:29], exec
	s_trap 2
                                        ; implicit-def: $vgpr1
	s_cbranch_execz .LBB39_1223
	s_branch .LBB39_1224
.LBB39_1283:
	s_mov_b64 s[14:15], -1
	s_mov_b64 s[12:13], 0
	s_mov_b64 s[0:1], 0
                                        ; implicit-def: $vgpr3
	s_branch .LBB39_1287
.LBB39_1284:
	s_or_saveexec_b64 s[16:17], s[16:17]
                                        ; implicit-def: $sgpr18
	s_xor_b64 exec, exec, s[16:17]
	s_cbranch_execz .LBB39_1015
.LBB39_1285:
	s_mov_b32 s18, 0x42800000
	v_add_f32_e64 v4, |v6|, s18
	v_and_b32_e32 v4, 0xff, v4
	v_cmp_ne_u32_e32 vcc, 0, v4
	s_andn2_b64 s[14:15], s[14:15], exec
	s_and_b64 s[20:21], vcc, exec
	s_mov_b32 s18, 0
	s_or_b64 s[14:15], s[14:15], s[20:21]
	s_or_b64 exec, exec, s[16:17]
	v_mov_b32_e32 v8, s18
	s_and_saveexec_b64 s[16:17], s[14:15]
	s_cbranch_execnz .LBB39_1016
	s_branch .LBB39_1017
.LBB39_1286:
	s_mov_b64 s[0:1], -1
                                        ; implicit-def: $vgpr3
	s_mov_b64 s[12:13], 0
.LBB39_1287:
	s_and_b64 vcc, exec, s[14:15]
	s_cbranch_vccz .LBB39_1291
; %bb.1288:
	s_waitcnt vmcnt(0)
	v_mov_b32_e32 v3, 44
	v_cmp_eq_u16_sdwa s[0:1], s18, v3 src0_sel:BYTE_0 src1_sel:DWORD
	s_and_b64 vcc, exec, s[0:1]
	s_cbranch_vccz .LBB39_1290
; %bb.1289:
	global_load_ubyte v3, v[12:13], off
	s_movk_i32 s12, 0xff
	v_mov_b32_e32 v5, 0x7f800001
	v_mov_b32_e32 v7, 0x400000
	v_mov_b32_e32 v9, 0x7fc0
	s_mov_b64 s[0:1], 0
	s_waitcnt vmcnt(0)
	v_lshlrev_b32_e32 v11, 23, v3
	v_cmp_ne_u32_e32 vcc, s12, v3
	v_cndmask_b32_e32 v5, v5, v11, vcc
	v_cmp_ne_u32_e32 vcc, 0, v3
	v_cndmask_b32_e32 v3, v7, v5, vcc
	v_add_u32_e32 v5, 0x7fff, v3
	v_lshrrev_b32_e32 v5, 16, v5
	v_cmp_o_f32_e32 vcc, v3, v3
	v_cndmask_b32_e32 v3, v9, v5, vcc
	s_mov_b64 s[12:13], -1
	s_branch .LBB39_1291
.LBB39_1290:
	s_mov_b64 s[0:1], -1
                                        ; implicit-def: $vgpr3
.LBB39_1291:
	s_mov_b64 s[14:15], 0
.LBB39_1292:
	s_and_b64 vcc, exec, s[14:15]
	s_cbranch_vccz .LBB39_1296
; %bb.1293:
	s_waitcnt vmcnt(0)
	v_mov_b32_e32 v3, 29
	v_cmp_eq_u16_sdwa s[0:1], s18, v3 src0_sel:BYTE_0 src1_sel:DWORD
	s_and_b64 vcc, exec, s[0:1]
	s_cbranch_vccz .LBB39_1295
; %bb.1294:
	global_load_dwordx2 v[14:15], v[12:13], off
	s_movk_i32 s12, 0x7fff
	s_mov_b64 s[0:1], 0
	s_mov_b64 s[14:15], 0
	s_waitcnt vmcnt(0)
	v_ffbh_u32_e32 v3, v15
	v_min_u32_e32 v3, 32, v3
	v_lshlrev_b64 v[14:15], v3, v[14:15]
	v_min_u32_e32 v5, 1, v14
	v_or_b32_e32 v5, v15, v5
	v_cvt_f32_u32_e32 v5, v5
	v_sub_u32_e32 v3, 32, v3
	v_ldexp_f32 v3, v5, v3
	v_bfe_u32 v5, v3, 16, 1
	v_add3_u32 v3, v3, v5, s12
	v_lshrrev_b32_e32 v3, 16, v3
	s_mov_b64 s[12:13], -1
	s_branch .LBB39_1297
.LBB39_1295:
	s_mov_b64 s[0:1], -1
                                        ; implicit-def: $vgpr3
.LBB39_1296:
	s_mov_b64 s[14:15], 0
.LBB39_1297:
	s_and_b64 vcc, exec, s[14:15]
	s_cbranch_vccz .LBB39_1315
; %bb.1298:
	s_waitcnt vmcnt(0)
	v_mov_b32_e32 v3, 27
	v_cmp_lt_i16_sdwa s[12:13], s18, v3 src0_sel:BYTE_0 src1_sel:DWORD
	s_and_b64 vcc, exec, s[12:13]
	s_cbranch_vccnz .LBB39_1301
; %bb.1299:
	v_cmp_gt_i16_sdwa s[12:13], s18, v3 src0_sel:BYTE_0 src1_sel:DWORD
	s_and_b64 vcc, exec, s[12:13]
	s_cbranch_vccz .LBB39_1302
; %bb.1300:
	global_load_dword v3, v[12:13], off
	s_movk_i32 s12, 0x7fff
	s_waitcnt vmcnt(0)
	v_cvt_f32_u32_e32 v3, v3
	v_bfe_u32 v5, v3, 16, 1
	v_add3_u32 v3, v3, v5, s12
	v_lshrrev_b32_e32 v3, 16, v3
	s_mov_b64 s[12:13], 0
	s_branch .LBB39_1303
.LBB39_1301:
	s_mov_b64 s[12:13], -1
                                        ; implicit-def: $vgpr3
	s_branch .LBB39_1306
.LBB39_1302:
	s_mov_b64 s[12:13], -1
                                        ; implicit-def: $vgpr3
.LBB39_1303:
	s_andn2_b64 vcc, exec, s[12:13]
	s_cbranch_vccnz .LBB39_1305
; %bb.1304:
	global_load_ushort v3, v[12:13], off
	s_movk_i32 s12, 0x7fff
	s_waitcnt vmcnt(0)
	v_cvt_f32_u32_e32 v3, v3
	v_bfe_u32 v5, v3, 16, 1
	v_add3_u32 v3, v3, v5, s12
	v_lshrrev_b32_e32 v3, 16, v3
.LBB39_1305:
	s_mov_b64 s[12:13], 0
.LBB39_1306:
	s_andn2_b64 vcc, exec, s[12:13]
	s_cbranch_vccnz .LBB39_1314
; %bb.1307:
	global_load_ubyte v3, v[12:13], off
	s_movk_i32 s12, 0x7f
                                        ; implicit-def: $sgpr19
	s_waitcnt vmcnt(0)
	v_cmp_lt_i16_e32 vcc, s12, v3
	s_mov_b64 s[12:13], 0
	s_and_saveexec_b64 s[14:15], vcc
	s_xor_b64 s[14:15], exec, s[14:15]
	s_cbranch_execz .LBB39_1327
; %bb.1308:
	s_movk_i32 s12, 0x80
	v_cmp_eq_u16_e32 vcc, s12, v3
	s_mov_b64 s[12:13], -1
                                        ; implicit-def: $sgpr19
	s_and_saveexec_b64 s[16:17], vcc
; %bb.1309:
	s_mov_b32 s19, 0x7f800001
	s_xor_b64 s[12:13], exec, -1
; %bb.1310:
	s_or_b64 exec, exec, s[16:17]
	s_and_b64 s[12:13], s[12:13], exec
	s_or_saveexec_b64 s[14:15], s[14:15]
	v_mov_b32_e32 v5, s19
	s_xor_b64 exec, exec, s[14:15]
	s_cbranch_execnz .LBB39_1328
.LBB39_1311:
	s_or_b64 exec, exec, s[14:15]
	s_and_saveexec_b64 s[14:15], s[12:13]
	s_cbranch_execz .LBB39_1313
.LBB39_1312:
	v_lshlrev_b32_e32 v5, 24, v3
	v_and_b32_e32 v3, 0xffff, v3
	v_and_b32_e32 v7, 7, v3
	v_ffbh_u32_e32 v11, v7
	v_min_u32_e32 v11, 32, v11
	v_subrev_u32_e32 v14, 28, v11
	v_bfe_u32 v9, v3, 3, 4
	v_lshlrev_b32_e32 v3, v14, v3
	v_sub_u32_e32 v11, 29, v11
	v_and_b32_e32 v3, 7, v3
	v_cmp_eq_u32_e32 vcc, 0, v9
	v_cndmask_b32_e32 v9, v9, v11, vcc
	v_cndmask_b32_e32 v3, v7, v3, vcc
	v_mov_b32_e32 v7, 0x3b800000
	v_lshlrev_b32_e32 v3, 20, v3
	v_and_b32_e32 v5, 0x80000000, v5
	v_lshl_add_u32 v7, v9, 23, v7
	v_or3_b32 v5, v5, v7, v3
.LBB39_1313:
	s_or_b64 exec, exec, s[14:15]
	v_bfe_u32 v3, v5, 16, 1
	s_movk_i32 s12, 0x7fff
	v_add3_u32 v3, v5, v3, s12
	v_lshrrev_b32_e32 v3, 16, v3
	v_mov_b32_e32 v7, 0x7fc0
	v_cmp_o_f32_e32 vcc, v5, v5
	v_cndmask_b32_e32 v3, v7, v3, vcc
.LBB39_1314:
	s_mov_b64 s[12:13], -1
.LBB39_1315:
	s_branch .LBB39_1348
.LBB39_1316:
	s_waitcnt vmcnt(0)
	v_mov_b32_e32 v3, 22
	v_cmp_gt_i16_sdwa s[6:7], s18, v3 src0_sel:BYTE_0 src1_sel:DWORD
	s_and_b64 vcc, exec, s[6:7]
	s_cbranch_vccz .LBB39_1326
; %bb.1317:
	v_mov_b32_e32 v3, 24
	v_cmp_lt_i16_sdwa s[6:7], s18, v3 src0_sel:BYTE_0 src1_sel:DWORD
	s_and_b64 vcc, exec, s[6:7]
	s_cbranch_vccnz .LBB39_1329
; %bb.1318:
	v_cmp_gt_i16_sdwa s[6:7], s18, v3 src0_sel:BYTE_0 src1_sel:DWORD
	s_and_b64 vcc, exec, s[6:7]
	s_cbranch_vccz .LBB39_1330
; %bb.1319:
	global_load_ubyte v3, v[12:13], off
	s_movk_i32 s6, 0x7f
                                        ; implicit-def: $sgpr16
	s_waitcnt vmcnt(0)
	v_cmp_lt_i16_e32 vcc, s6, v3
	s_mov_b64 s[6:7], 0
	s_and_saveexec_b64 s[12:13], vcc
	s_xor_b64 s[12:13], exec, s[12:13]
	s_cbranch_execz .LBB39_1342
; %bb.1320:
	s_movk_i32 s6, 0x80
	v_cmp_eq_u16_e32 vcc, s6, v3
	s_mov_b64 s[6:7], -1
                                        ; implicit-def: $sgpr16
	s_and_saveexec_b64 s[14:15], vcc
; %bb.1321:
	s_mov_b32 s16, 0x7f800001
	s_xor_b64 s[6:7], exec, -1
; %bb.1322:
	s_or_b64 exec, exec, s[14:15]
	s_and_b64 s[6:7], s[6:7], exec
	s_or_saveexec_b64 s[12:13], s[12:13]
	v_mov_b32_e32 v5, s16
	s_xor_b64 exec, exec, s[12:13]
	s_cbranch_execnz .LBB39_1343
.LBB39_1323:
	s_or_b64 exec, exec, s[12:13]
	s_and_saveexec_b64 s[12:13], s[6:7]
	s_cbranch_execz .LBB39_1325
.LBB39_1324:
	v_lshlrev_b32_e32 v5, 24, v3
	v_and_b32_e32 v3, 0xffff, v3
	v_and_b32_e32 v7, 3, v3
	v_ffbh_u32_e32 v11, v7
	v_min_u32_e32 v11, 32, v11
	v_subrev_u32_e32 v14, 29, v11
	v_bfe_u32 v9, v3, 2, 5
	v_lshlrev_b32_e32 v3, v14, v3
	v_sub_u32_e32 v11, 30, v11
	v_and_b32_e32 v3, 3, v3
	v_cmp_eq_u32_e32 vcc, 0, v9
	v_cndmask_b32_e32 v9, v9, v11, vcc
	v_cndmask_b32_e32 v3, v7, v3, vcc
	v_mov_b32_e32 v7, 0x37800000
	v_lshlrev_b32_e32 v3, 21, v3
	v_and_b32_e32 v5, 0x80000000, v5
	v_lshl_add_u32 v7, v9, 23, v7
	v_or3_b32 v5, v5, v7, v3
.LBB39_1325:
	s_or_b64 exec, exec, s[12:13]
	v_bfe_u32 v3, v5, 16, 1
	s_movk_i32 s6, 0x7fff
	v_add3_u32 v3, v5, v3, s6
	v_lshrrev_b32_e32 v3, 16, v3
	v_mov_b32_e32 v7, 0x7fc0
	v_cmp_o_f32_e32 vcc, v5, v5
	v_cndmask_b32_e32 v3, v7, v3, vcc
	s_mov_b64 s[6:7], 0
	s_branch .LBB39_1331
.LBB39_1326:
	s_mov_b64 s[6:7], -1
                                        ; implicit-def: $vgpr3
	s_branch .LBB39_1337
.LBB39_1327:
	s_or_saveexec_b64 s[14:15], s[14:15]
	v_mov_b32_e32 v5, s19
	s_xor_b64 exec, exec, s[14:15]
	s_cbranch_execz .LBB39_1311
.LBB39_1328:
	v_cmp_ne_u16_e32 vcc, 0, v3
	s_andn2_b64 s[12:13], s[12:13], exec
	s_and_b64 s[16:17], vcc, exec
	v_mov_b32_e32 v5, 0
	s_or_b64 s[12:13], s[12:13], s[16:17]
	s_or_b64 exec, exec, s[14:15]
	s_and_saveexec_b64 s[14:15], s[12:13]
	s_cbranch_execnz .LBB39_1312
	s_branch .LBB39_1313
.LBB39_1329:
	s_mov_b64 s[6:7], -1
                                        ; implicit-def: $vgpr3
	s_branch .LBB39_1334
.LBB39_1330:
	s_mov_b64 s[6:7], -1
                                        ; implicit-def: $vgpr3
.LBB39_1331:
	s_and_b64 vcc, exec, s[6:7]
	s_cbranch_vccz .LBB39_1333
; %bb.1332:
	global_load_ubyte v3, v[12:13], off
	s_mov_b32 s6, 0x7f800000
	s_brev_b32 s7, 1
	s_movk_i32 s12, 0x7fff
	v_mov_b32_e32 v5, 0x7fc0
	s_waitcnt vmcnt(0)
	v_lshlrev_b32_e32 v3, 24, v3
	v_and_b32_e32 v7, 0x7f000000, v3
	v_ffbh_u32_e32 v9, v7
	v_min_u32_e32 v9, 32, v9
	v_sub_u32_e64 v9, v9, 4 clamp
	v_lshlrev_b32_e32 v14, v9, v7
	v_lshlrev_b32_e32 v9, 23, v9
	v_lshrrev_b32_e32 v14, 4, v14
	v_add_u32_e32 v11, 0x1000000, v7
	v_sub_u32_e32 v9, v14, v9
	v_ashrrev_i32_e32 v11, 8, v11
	v_add_u32_e32 v9, 0x3c000000, v9
	v_and_or_b32 v9, v11, s6, v9
	v_cmp_ne_u32_e32 vcc, 0, v7
	v_cndmask_b32_e32 v7, 0, v9, vcc
	v_and_or_b32 v3, v3, s7, v7
	v_bfe_u32 v7, v7, 16, 1
	v_add3_u32 v7, v3, v7, s12
	v_lshrrev_b32_e32 v7, 16, v7
	v_cmp_o_f32_e32 vcc, v3, v3
	v_cndmask_b32_e32 v3, v5, v7, vcc
.LBB39_1333:
	s_mov_b64 s[6:7], 0
.LBB39_1334:
	s_andn2_b64 vcc, exec, s[6:7]
	s_cbranch_vccnz .LBB39_1336
; %bb.1335:
	global_load_ubyte v3, v[12:13], off
	s_movk_i32 s6, 0x7f00
	s_brev_b32 s7, 16
	s_brev_b32 s12, 1
	s_movk_i32 s13, 0x7fff
	v_mov_b32_e32 v5, 0x7fc0
	s_waitcnt vmcnt(0)
	v_lshlrev_b16_e32 v7, 8, v3
	v_lshlrev_b32_e32 v3, 25, v3
	v_lshrrev_b32_e32 v9, 4, v3
	v_and_or_b32 v11, v7, s6, 0.5
	v_or_b32_e32 v9, 0x70000000, v9
	v_add_f32_e32 v11, -0.5, v11
	v_mul_f32_e32 v9, 0x7800000, v9
	v_cmp_gt_u32_e32 vcc, s7, v3
	v_bfe_i32 v7, v7, 0, 16
	v_cndmask_b32_e32 v3, v9, v11, vcc
	v_and_or_b32 v7, v7, s12, v3
	v_bfe_u32 v3, v3, 16, 1
	v_add3_u32 v3, v7, v3, s13
	v_lshrrev_b32_e32 v3, 16, v3
	v_cmp_o_f32_e32 vcc, v7, v7
	v_cndmask_b32_e32 v3, v5, v3, vcc
.LBB39_1336:
	s_mov_b64 s[6:7], 0
	s_mov_b64 s[12:13], -1
.LBB39_1337:
	s_andn2_b64 vcc, exec, s[6:7]
	s_mov_b64 s[6:7], 0
	s_cbranch_vccnz .LBB39_1348
; %bb.1338:
	v_mov_b32_e32 v3, 14
	v_cmp_gt_i16_sdwa s[6:7], s18, v3 src0_sel:BYTE_0 src1_sel:DWORD
	s_and_b64 vcc, exec, s[6:7]
	s_cbranch_vccz .LBB39_1341
; %bb.1339:
	v_mov_b32_e32 v3, 15
	v_cmp_eq_u16_sdwa s[0:1], s18, v3 src0_sel:BYTE_0 src1_sel:DWORD
	s_and_b64 vcc, exec, s[0:1]
	s_cbranch_vccz .LBB39_1344
; %bb.1340:
	global_load_ushort v3, v[12:13], off
	s_mov_b64 s[0:1], 0
	s_mov_b64 s[12:13], -1
	s_branch .LBB39_1345
.LBB39_1341:
	s_mov_b64 s[14:15], -1
                                        ; implicit-def: $vgpr3
	s_branch .LBB39_1346
.LBB39_1342:
	s_or_saveexec_b64 s[12:13], s[12:13]
	v_mov_b32_e32 v5, s16
	s_xor_b64 exec, exec, s[12:13]
	s_cbranch_execz .LBB39_1323
.LBB39_1343:
	v_cmp_ne_u16_e32 vcc, 0, v3
	s_andn2_b64 s[6:7], s[6:7], exec
	s_and_b64 s[14:15], vcc, exec
	v_mov_b32_e32 v5, 0
	s_or_b64 s[6:7], s[6:7], s[14:15]
	s_or_b64 exec, exec, s[12:13]
	s_and_saveexec_b64 s[12:13], s[6:7]
	s_cbranch_execnz .LBB39_1324
	s_branch .LBB39_1325
.LBB39_1344:
	s_mov_b64 s[0:1], -1
                                        ; implicit-def: $vgpr3
.LBB39_1345:
	s_mov_b64 s[14:15], 0
.LBB39_1346:
	s_mov_b64 s[6:7], 0
	s_and_b64 vcc, exec, s[14:15]
	s_cbranch_vccz .LBB39_1348
; %bb.1347:
	s_waitcnt vmcnt(0)
	v_mov_b32_e32 v3, 11
	v_cmp_ne_u16_sdwa s[0:1], s18, v3 src0_sel:BYTE_0 src1_sel:DWORD
	s_mov_b64 s[6:7], -1
                                        ; implicit-def: $vgpr3
.LBB39_1348:
	s_and_b64 vcc, exec, s[0:1]
	s_cbranch_vccnz .LBB39_1411
; %bb.1349:
	s_andn2_b64 vcc, exec, s[6:7]
	s_cbranch_vccnz .LBB39_1351
.LBB39_1350:
	global_load_ubyte v3, v[12:13], off
	s_mov_b64 s[12:13], -1
	s_waitcnt vmcnt(0)
	v_cmp_ne_u16_e32 vcc, 0, v3
	v_cndmask_b32_e64 v3, 0, 1.0, vcc
	v_lshrrev_b32_e32 v3, 16, v3
.LBB39_1351:
	s_branch .LBB39_1278
.LBB39_1352:
	s_waitcnt vmcnt(0)
	v_mov_b32_e32 v3, 5
	v_cmp_lt_i16_sdwa s[0:1], s18, v3 src0_sel:BYTE_0 src1_sel:DWORD
	s_and_b64 vcc, exec, s[0:1]
	s_cbranch_vccnz .LBB39_1357
; %bb.1353:
	v_mov_b32_e32 v3, 8
	v_cmp_lt_i16_sdwa s[0:1], s18, v3 src0_sel:BYTE_0 src1_sel:DWORD
	s_and_b64 vcc, exec, s[0:1]
	s_cbranch_vccnz .LBB39_1358
; %bb.1354:
	;; [unrolled: 5-line block ×3, first 2 shown]
	v_cmp_gt_i16_sdwa s[0:1], s18, v3 src0_sel:BYTE_0 src1_sel:DWORD
	s_and_b64 vcc, exec, s[0:1]
	s_cbranch_vccz .LBB39_1360
; %bb.1356:
	global_load_dwordx2 v[14:15], v[12:13], off
	s_movk_i32 s0, 0x7fff
	v_mov_b32_e32 v3, 0x7fc0
	s_waitcnt vmcnt(0)
	v_cvt_f32_f64_e32 v5, v[14:15]
	v_bfe_u32 v7, v5, 16, 1
	v_add3_u32 v7, v5, v7, s0
	v_lshrrev_b32_e32 v7, 16, v7
	v_cmp_o_f32_e32 vcc, v5, v5
	v_cndmask_b32_e32 v3, v3, v7, vcc
	s_mov_b64 s[0:1], 0
	s_branch .LBB39_1361
.LBB39_1357:
                                        ; implicit-def: $vgpr3
	s_branch .LBB39_1379
.LBB39_1358:
	s_mov_b64 s[0:1], -1
                                        ; implicit-def: $vgpr3
	s_branch .LBB39_1367
.LBB39_1359:
	s_mov_b64 s[0:1], -1
                                        ; implicit-def: $vgpr3
	s_branch .LBB39_1364
.LBB39_1360:
	s_mov_b64 s[0:1], -1
                                        ; implicit-def: $vgpr3
.LBB39_1361:
	s_andn2_b64 vcc, exec, s[0:1]
	s_cbranch_vccnz .LBB39_1363
; %bb.1362:
	global_load_dword v3, v[12:13], off
	s_movk_i32 s0, 0x7fff
	v_mov_b32_e32 v5, 0x7fc0
	s_waitcnt vmcnt(0)
	v_bfe_u32 v7, v3, 16, 1
	v_add3_u32 v7, v3, v7, s0
	v_lshrrev_b32_e32 v7, 16, v7
	v_cmp_o_f32_e32 vcc, v3, v3
	v_cndmask_b32_e32 v3, v5, v7, vcc
.LBB39_1363:
	s_mov_b64 s[0:1], 0
.LBB39_1364:
	s_andn2_b64 vcc, exec, s[0:1]
	s_cbranch_vccnz .LBB39_1366
; %bb.1365:
	global_load_dword v3, v[12:13], off
	s_movk_i32 s0, 0x7fff
	v_mov_b32_e32 v7, 0x7fc0
	s_waitcnt vmcnt(0)
	v_cvt_f32_f16_e32 v5, v3
	v_cmp_o_f16_e32 vcc, v3, v3
	v_bfe_u32 v9, v5, 16, 1
	v_add3_u32 v5, v5, v9, s0
	v_lshrrev_b32_e32 v5, 16, v5
	v_cndmask_b32_e32 v3, v7, v5, vcc
.LBB39_1366:
	s_mov_b64 s[0:1], 0
.LBB39_1367:
	s_andn2_b64 vcc, exec, s[0:1]
	s_cbranch_vccnz .LBB39_1378
; %bb.1368:
	v_mov_b32_e32 v3, 6
	v_cmp_lt_i16_sdwa s[0:1], s18, v3 src0_sel:BYTE_0 src1_sel:DWORD
	s_and_b64 vcc, exec, s[0:1]
	s_cbranch_vccnz .LBB39_1371
; %bb.1369:
	v_cmp_gt_i16_sdwa s[0:1], s18, v3 src0_sel:BYTE_0 src1_sel:DWORD
	s_and_b64 vcc, exec, s[0:1]
	s_cbranch_vccz .LBB39_1372
; %bb.1370:
	global_load_dwordx2 v[14:15], v[12:13], off
	s_movk_i32 s0, 0x7fff
	v_mov_b32_e32 v3, 0x7fc0
	s_waitcnt vmcnt(0)
	v_cvt_f32_f64_e32 v5, v[14:15]
	v_bfe_u32 v7, v5, 16, 1
	v_add3_u32 v7, v5, v7, s0
	v_lshrrev_b32_e32 v7, 16, v7
	v_cmp_o_f32_e32 vcc, v5, v5
	v_cndmask_b32_e32 v3, v3, v7, vcc
	s_mov_b64 s[0:1], 0
	s_branch .LBB39_1373
.LBB39_1371:
	s_mov_b64 s[0:1], -1
                                        ; implicit-def: $vgpr3
	s_branch .LBB39_1376
.LBB39_1372:
	s_mov_b64 s[0:1], -1
                                        ; implicit-def: $vgpr3
.LBB39_1373:
	s_andn2_b64 vcc, exec, s[0:1]
	s_cbranch_vccnz .LBB39_1375
; %bb.1374:
	global_load_dword v3, v[12:13], off
	s_movk_i32 s0, 0x7fff
	v_mov_b32_e32 v5, 0x7fc0
	s_waitcnt vmcnt(0)
	v_bfe_u32 v7, v3, 16, 1
	v_add3_u32 v7, v3, v7, s0
	v_lshrrev_b32_e32 v7, 16, v7
	v_cmp_o_f32_e32 vcc, v3, v3
	v_cndmask_b32_e32 v3, v5, v7, vcc
.LBB39_1375:
	s_mov_b64 s[0:1], 0
.LBB39_1376:
	s_andn2_b64 vcc, exec, s[0:1]
	s_cbranch_vccnz .LBB39_1378
; %bb.1377:
	global_load_ushort v3, v[12:13], off
	s_movk_i32 s0, 0x7fff
	v_mov_b32_e32 v7, 0x7fc0
	s_waitcnt vmcnt(0)
	v_cvt_f32_f16_e32 v5, v3
	v_cmp_o_f16_e32 vcc, v3, v3
	v_bfe_u32 v9, v5, 16, 1
	v_add3_u32 v5, v5, v9, s0
	v_lshrrev_b32_e32 v5, 16, v5
	v_cndmask_b32_e32 v3, v7, v5, vcc
.LBB39_1378:
	s_cbranch_execnz .LBB39_1398
.LBB39_1379:
	v_mov_b32_e32 v3, 2
	v_cmp_lt_i16_sdwa s[0:1], s18, v3 src0_sel:BYTE_0 src1_sel:DWORD
	s_and_b64 vcc, exec, s[0:1]
	s_cbranch_vccnz .LBB39_1383
; %bb.1380:
	v_mov_b32_e32 v3, 3
	v_cmp_lt_i16_sdwa s[0:1], s18, v3 src0_sel:BYTE_0 src1_sel:DWORD
	s_and_b64 vcc, exec, s[0:1]
	s_cbranch_vccnz .LBB39_1384
; %bb.1381:
	v_cmp_gt_i16_sdwa s[0:1], s18, v3 src0_sel:BYTE_0 src1_sel:DWORD
	s_and_b64 vcc, exec, s[0:1]
	s_cbranch_vccz .LBB39_1385
; %bb.1382:
	global_load_dwordx2 v[14:15], v[12:13], off
	s_movk_i32 s0, 0x7fff
	s_waitcnt vmcnt(0)
	v_xor_b32_e32 v5, v14, v15
	v_ffbh_i32_e32 v3, v15
	v_ashrrev_i32_e32 v5, 31, v5
	v_add_u32_e32 v3, -1, v3
	v_add_u32_e32 v5, 32, v5
	v_min_u32_e32 v3, v3, v5
	v_lshlrev_b64 v[14:15], v3, v[14:15]
	v_min_u32_e32 v5, 1, v14
	v_or_b32_e32 v5, v15, v5
	v_cvt_f32_i32_e32 v5, v5
	v_sub_u32_e32 v3, 32, v3
	v_ldexp_f32 v3, v5, v3
	v_bfe_u32 v5, v3, 16, 1
	v_add3_u32 v3, v3, v5, s0
	v_lshrrev_b32_e32 v3, 16, v3
	s_mov_b64 s[0:1], 0
	s_branch .LBB39_1386
.LBB39_1383:
	s_mov_b64 s[0:1], -1
                                        ; implicit-def: $vgpr3
	s_branch .LBB39_1392
.LBB39_1384:
	s_mov_b64 s[0:1], -1
                                        ; implicit-def: $vgpr3
	s_branch .LBB39_1389
.LBB39_1385:
	s_mov_b64 s[0:1], -1
                                        ; implicit-def: $vgpr3
.LBB39_1386:
	s_andn2_b64 vcc, exec, s[0:1]
	s_cbranch_vccnz .LBB39_1388
; %bb.1387:
	global_load_dword v3, v[12:13], off
	s_movk_i32 s0, 0x7fff
	s_waitcnt vmcnt(0)
	v_cvt_f32_i32_e32 v3, v3
	v_bfe_u32 v5, v3, 16, 1
	v_add3_u32 v3, v3, v5, s0
	v_lshrrev_b32_e32 v3, 16, v3
.LBB39_1388:
	s_mov_b64 s[0:1], 0
.LBB39_1389:
	s_andn2_b64 vcc, exec, s[0:1]
	s_cbranch_vccnz .LBB39_1391
; %bb.1390:
	global_load_sshort v3, v[12:13], off
	s_movk_i32 s0, 0x7fff
	s_waitcnt vmcnt(0)
	v_cvt_f32_i32_e32 v3, v3
	v_bfe_u32 v5, v3, 16, 1
	v_add3_u32 v3, v3, v5, s0
	v_lshrrev_b32_e32 v3, 16, v3
.LBB39_1391:
	s_mov_b64 s[0:1], 0
.LBB39_1392:
	s_andn2_b64 vcc, exec, s[0:1]
	s_cbranch_vccnz .LBB39_1398
; %bb.1393:
	v_mov_b32_e32 v3, 0
	v_cmp_gt_i16_sdwa s[0:1], s18, v3 src0_sel:BYTE_0 src1_sel:DWORD
	s_and_b64 vcc, exec, s[0:1]
	s_cbranch_vccz .LBB39_1395
; %bb.1394:
	global_load_sbyte v3, v[12:13], off
	s_movk_i32 s0, 0x7fff
	s_waitcnt vmcnt(0)
	v_cvt_f32_i32_e32 v3, v3
	v_bfe_u32 v5, v3, 16, 1
	v_add3_u32 v3, v3, v5, s0
	v_lshrrev_b32_e32 v3, 16, v3
	s_mov_b64 s[0:1], 0
	s_branch .LBB39_1396
.LBB39_1395:
	s_mov_b64 s[0:1], -1
                                        ; implicit-def: $vgpr3
.LBB39_1396:
	s_andn2_b64 vcc, exec, s[0:1]
	s_cbranch_vccnz .LBB39_1398
; %bb.1397:
	global_load_ubyte v3, v[12:13], off
	s_movk_i32 s0, 0x7fff
	s_waitcnt vmcnt(0)
	v_cvt_f32_ubyte0_e32 v3, v3
	v_bfe_u32 v5, v3, 16, 1
	v_add3_u32 v3, v3, v5, s0
	v_lshrrev_b32_e32 v3, 16, v3
.LBB39_1398:
.LBB39_1399:
	v_mov_b32_e32 v5, s11
	v_add_co_u32_e32 v10, vcc, s10, v10
	v_addc_co_u32_e32 v11, vcc, 0, v5, vcc
	v_mov_b32_e32 v5, 11
	v_cmp_lt_i16_sdwa s[0:1], s18, v5 src0_sel:BYTE_0 src1_sel:DWORD
	s_and_b64 vcc, exec, s[0:1]
	s_cbranch_vccnz .LBB39_1406
; %bb.1400:
	v_mov_b32_e32 v5, 25
	v_cmp_gt_i16_sdwa s[0:1], s18, v5 src0_sel:BYTE_0 src1_sel:DWORD
	s_mov_b64 s[6:7], 0
	s_and_b64 vcc, exec, s[0:1]
	s_cbranch_vccz .LBB39_1408
; %bb.1401:
	v_mov_b32_e32 v5, 28
	v_cmp_gt_i16_sdwa s[0:1], s18, v5 src0_sel:BYTE_0 src1_sel:DWORD
	s_and_b64 vcc, exec, s[0:1]
	s_cbranch_vccz .LBB39_1409
; %bb.1402:
	v_mov_b32_e32 v5, 43
	v_cmp_gt_i16_sdwa s[0:1], s18, v5 src0_sel:BYTE_0 src1_sel:DWORD
	;; [unrolled: 5-line block ×3, first 2 shown]
	s_and_b64 vcc, exec, s[0:1]
	s_cbranch_vccz .LBB39_1412
; %bb.1404:
	v_mov_b32_e32 v5, 46
	v_cmp_eq_u16_sdwa s[0:1], s18, v5 src0_sel:BYTE_0 src1_sel:DWORD
	s_mov_b64 s[14:15], 0
	s_and_b64 vcc, exec, s[0:1]
	s_cbranch_vccz .LBB39_1413
; %bb.1405:
	global_load_dword v12, v[10:11], off
	s_mov_b64 s[0:1], 0
	s_mov_b64 s[12:13], -1
	s_branch .LBB39_1414
.LBB39_1406:
	s_mov_b64 s[12:13], 0
                                        ; implicit-def: $vgpr12
	s_cbranch_execnz .LBB39_1480
.LBB39_1407:
	s_andn2_b64 vcc, exec, s[12:13]
	s_cbranch_vccnz .LBB39_2043
	s_branch .LBB39_1528
.LBB39_1408:
	s_mov_b64 s[14:15], -1
	s_mov_b64 s[12:13], 0
	s_mov_b64 s[0:1], 0
                                        ; implicit-def: $vgpr12
	s_branch .LBB39_1443
.LBB39_1409:
	s_mov_b64 s[14:15], -1
	s_mov_b64 s[12:13], 0
	s_mov_b64 s[0:1], 0
                                        ; implicit-def: $vgpr12
	s_branch .LBB39_1424
.LBB39_1410:
	s_mov_b64 s[14:15], -1
	s_mov_b64 s[12:13], 0
	s_mov_b64 s[0:1], 0
                                        ; implicit-def: $vgpr12
	s_branch .LBB39_1419
.LBB39_1411:
	s_trap 2
	s_or_b64 s[2:3], s[2:3], exec
                                        ; implicit-def: $vgpr3
	s_cbranch_execz .LBB39_1350
	s_branch .LBB39_1351
.LBB39_1412:
	s_mov_b64 s[14:15], -1
	s_mov_b64 s[12:13], 0
	s_mov_b64 s[0:1], 0
                                        ; implicit-def: $vgpr12
	s_branch .LBB39_1414
.LBB39_1413:
	s_mov_b64 s[0:1], -1
                                        ; implicit-def: $vgpr12
	s_mov_b64 s[12:13], 0
.LBB39_1414:
	s_and_b64 vcc, exec, s[14:15]
	s_cbranch_vccz .LBB39_1418
; %bb.1415:
	v_mov_b32_e32 v5, 44
	v_cmp_eq_u16_sdwa s[0:1], s18, v5 src0_sel:BYTE_0 src1_sel:DWORD
	s_and_b64 vcc, exec, s[0:1]
	s_cbranch_vccz .LBB39_1417
; %bb.1416:
	global_load_ubyte v5, v[10:11], off
	s_movk_i32 s12, 0xff
	v_mov_b32_e32 v7, 0x7f800001
	v_mov_b32_e32 v9, 0x400000
	s_waitcnt vmcnt(1)
	v_mov_b32_e32 v12, 0x7fc0
	s_mov_b64 s[0:1], 0
	s_waitcnt vmcnt(0)
	v_lshlrev_b32_e32 v13, 23, v5
	v_cmp_ne_u32_e32 vcc, s12, v5
	v_cndmask_b32_e32 v7, v7, v13, vcc
	v_cmp_ne_u32_e32 vcc, 0, v5
	v_cndmask_b32_e32 v5, v9, v7, vcc
	v_add_u32_e32 v7, 0x7fff, v5
	v_lshrrev_b32_e32 v7, 16, v7
	v_cmp_o_f32_e32 vcc, v5, v5
	v_cndmask_b32_e32 v12, v12, v7, vcc
	s_mov_b64 s[12:13], -1
	s_branch .LBB39_1418
.LBB39_1417:
	s_mov_b64 s[0:1], -1
                                        ; implicit-def: $vgpr12
.LBB39_1418:
	s_mov_b64 s[14:15], 0
.LBB39_1419:
	s_and_b64 vcc, exec, s[14:15]
	s_cbranch_vccz .LBB39_1423
; %bb.1420:
	v_mov_b32_e32 v5, 29
	v_cmp_eq_u16_sdwa s[0:1], s18, v5 src0_sel:BYTE_0 src1_sel:DWORD
	s_and_b64 vcc, exec, s[0:1]
	s_cbranch_vccz .LBB39_1422
; %bb.1421:
	global_load_dwordx2 v[12:13], v[10:11], off
	s_movk_i32 s12, 0x7fff
	s_mov_b64 s[0:1], 0
	s_mov_b64 s[14:15], 0
	s_waitcnt vmcnt(0)
	v_ffbh_u32_e32 v5, v13
	v_min_u32_e32 v5, 32, v5
	v_lshlrev_b64 v[12:13], v5, v[12:13]
	v_min_u32_e32 v7, 1, v12
	v_or_b32_e32 v7, v13, v7
	v_cvt_f32_u32_e32 v7, v7
	v_sub_u32_e32 v5, 32, v5
	v_ldexp_f32 v5, v7, v5
	v_bfe_u32 v7, v5, 16, 1
	v_add3_u32 v5, v5, v7, s12
	v_lshrrev_b32_e32 v12, 16, v5
	s_mov_b64 s[12:13], -1
	s_branch .LBB39_1424
.LBB39_1422:
	s_mov_b64 s[0:1], -1
                                        ; implicit-def: $vgpr12
.LBB39_1423:
	s_mov_b64 s[14:15], 0
.LBB39_1424:
	s_and_b64 vcc, exec, s[14:15]
	s_cbranch_vccz .LBB39_1442
; %bb.1425:
	v_mov_b32_e32 v5, 27
	v_cmp_lt_i16_sdwa s[12:13], s18, v5 src0_sel:BYTE_0 src1_sel:DWORD
	s_and_b64 vcc, exec, s[12:13]
	s_cbranch_vccnz .LBB39_1428
; %bb.1426:
	v_cmp_gt_i16_sdwa s[12:13], s18, v5 src0_sel:BYTE_0 src1_sel:DWORD
	s_and_b64 vcc, exec, s[12:13]
	s_cbranch_vccz .LBB39_1429
; %bb.1427:
	global_load_dword v5, v[10:11], off
	s_movk_i32 s12, 0x7fff
	s_waitcnt vmcnt(0)
	v_cvt_f32_u32_e32 v5, v5
	v_bfe_u32 v7, v5, 16, 1
	v_add3_u32 v5, v5, v7, s12
	v_lshrrev_b32_e32 v12, 16, v5
	s_mov_b64 s[12:13], 0
	s_branch .LBB39_1430
.LBB39_1428:
	s_mov_b64 s[12:13], -1
                                        ; implicit-def: $vgpr12
	s_branch .LBB39_1433
.LBB39_1429:
	s_mov_b64 s[12:13], -1
                                        ; implicit-def: $vgpr12
.LBB39_1430:
	s_andn2_b64 vcc, exec, s[12:13]
	s_cbranch_vccnz .LBB39_1432
; %bb.1431:
	global_load_ushort v5, v[10:11], off
	s_movk_i32 s12, 0x7fff
	s_waitcnt vmcnt(0)
	v_cvt_f32_u32_e32 v5, v5
	v_bfe_u32 v7, v5, 16, 1
	v_add3_u32 v5, v5, v7, s12
	v_lshrrev_b32_e32 v12, 16, v5
.LBB39_1432:
	s_mov_b64 s[12:13], 0
.LBB39_1433:
	s_andn2_b64 vcc, exec, s[12:13]
	s_cbranch_vccnz .LBB39_1441
; %bb.1434:
	global_load_ubyte v5, v[10:11], off
	s_movk_i32 s12, 0x7f
                                        ; implicit-def: $sgpr19
	s_waitcnt vmcnt(0)
	v_cmp_lt_i16_e32 vcc, s12, v5
	s_mov_b64 s[12:13], 0
	s_and_saveexec_b64 s[14:15], vcc
	s_xor_b64 s[14:15], exec, s[14:15]
	s_cbranch_execz .LBB39_1455
; %bb.1435:
	s_movk_i32 s12, 0x80
	v_cmp_eq_u16_e32 vcc, s12, v5
	s_mov_b64 s[12:13], -1
                                        ; implicit-def: $sgpr19
	s_and_saveexec_b64 s[16:17], vcc
; %bb.1436:
	s_mov_b32 s19, 0x7f800001
	s_xor_b64 s[12:13], exec, -1
; %bb.1437:
	s_or_b64 exec, exec, s[16:17]
	s_and_b64 s[12:13], s[12:13], exec
	s_or_saveexec_b64 s[14:15], s[14:15]
	v_mov_b32_e32 v7, s19
	s_xor_b64 exec, exec, s[14:15]
	s_cbranch_execnz .LBB39_1456
.LBB39_1438:
	s_or_b64 exec, exec, s[14:15]
	s_and_saveexec_b64 s[14:15], s[12:13]
	s_cbranch_execz .LBB39_1440
.LBB39_1439:
	v_lshlrev_b32_e32 v7, 24, v5
	v_and_b32_e32 v5, 0xffff, v5
	v_and_b32_e32 v9, 7, v5
	v_ffbh_u32_e32 v13, v9
	v_min_u32_e32 v13, 32, v13
	v_subrev_u32_e32 v14, 28, v13
	v_bfe_u32 v12, v5, 3, 4
	v_lshlrev_b32_e32 v5, v14, v5
	v_sub_u32_e32 v13, 29, v13
	v_and_b32_e32 v5, 7, v5
	v_cmp_eq_u32_e32 vcc, 0, v12
	v_cndmask_b32_e32 v12, v12, v13, vcc
	v_cndmask_b32_e32 v5, v9, v5, vcc
	v_mov_b32_e32 v9, 0x3b800000
	v_lshlrev_b32_e32 v5, 20, v5
	v_and_b32_e32 v7, 0x80000000, v7
	v_lshl_add_u32 v9, v12, 23, v9
	v_or3_b32 v7, v7, v9, v5
.LBB39_1440:
	s_or_b64 exec, exec, s[14:15]
	v_bfe_u32 v5, v7, 16, 1
	s_movk_i32 s12, 0x7fff
	v_add3_u32 v5, v7, v5, s12
	v_lshrrev_b32_e32 v5, 16, v5
	v_mov_b32_e32 v9, 0x7fc0
	v_cmp_o_f32_e32 vcc, v7, v7
	v_cndmask_b32_e32 v12, v9, v5, vcc
.LBB39_1441:
	s_mov_b64 s[12:13], -1
.LBB39_1442:
	s_mov_b64 s[14:15], 0
.LBB39_1443:
	s_and_b64 vcc, exec, s[14:15]
	s_cbranch_vccz .LBB39_1476
; %bb.1444:
	v_mov_b32_e32 v5, 22
	v_cmp_gt_i16_sdwa s[6:7], s18, v5 src0_sel:BYTE_0 src1_sel:DWORD
	s_and_b64 vcc, exec, s[6:7]
	s_cbranch_vccz .LBB39_1454
; %bb.1445:
	v_mov_b32_e32 v5, 24
	v_cmp_lt_i16_sdwa s[6:7], s18, v5 src0_sel:BYTE_0 src1_sel:DWORD
	s_and_b64 vcc, exec, s[6:7]
	s_cbranch_vccnz .LBB39_1457
; %bb.1446:
	v_cmp_gt_i16_sdwa s[6:7], s18, v5 src0_sel:BYTE_0 src1_sel:DWORD
	s_and_b64 vcc, exec, s[6:7]
	s_cbranch_vccz .LBB39_1458
; %bb.1447:
	global_load_ubyte v5, v[10:11], off
	s_movk_i32 s6, 0x7f
                                        ; implicit-def: $sgpr16
	s_waitcnt vmcnt(0)
	v_cmp_lt_i16_e32 vcc, s6, v5
	s_mov_b64 s[6:7], 0
	s_and_saveexec_b64 s[12:13], vcc
	s_xor_b64 s[12:13], exec, s[12:13]
	s_cbranch_execz .LBB39_1470
; %bb.1448:
	s_movk_i32 s6, 0x80
	v_cmp_eq_u16_e32 vcc, s6, v5
	s_mov_b64 s[6:7], -1
                                        ; implicit-def: $sgpr16
	s_and_saveexec_b64 s[14:15], vcc
; %bb.1449:
	s_mov_b32 s16, 0x7f800001
	s_xor_b64 s[6:7], exec, -1
; %bb.1450:
	s_or_b64 exec, exec, s[14:15]
	s_and_b64 s[6:7], s[6:7], exec
	s_or_saveexec_b64 s[12:13], s[12:13]
	v_mov_b32_e32 v7, s16
	s_xor_b64 exec, exec, s[12:13]
	s_cbranch_execnz .LBB39_1471
.LBB39_1451:
	s_or_b64 exec, exec, s[12:13]
	s_and_saveexec_b64 s[12:13], s[6:7]
	s_cbranch_execz .LBB39_1453
.LBB39_1452:
	v_lshlrev_b32_e32 v7, 24, v5
	v_and_b32_e32 v5, 0xffff, v5
	v_and_b32_e32 v9, 3, v5
	v_ffbh_u32_e32 v13, v9
	v_min_u32_e32 v13, 32, v13
	v_subrev_u32_e32 v14, 29, v13
	v_bfe_u32 v12, v5, 2, 5
	v_lshlrev_b32_e32 v5, v14, v5
	v_sub_u32_e32 v13, 30, v13
	v_and_b32_e32 v5, 3, v5
	v_cmp_eq_u32_e32 vcc, 0, v12
	v_cndmask_b32_e32 v12, v12, v13, vcc
	v_cndmask_b32_e32 v5, v9, v5, vcc
	v_mov_b32_e32 v9, 0x37800000
	v_lshlrev_b32_e32 v5, 21, v5
	v_and_b32_e32 v7, 0x80000000, v7
	v_lshl_add_u32 v9, v12, 23, v9
	v_or3_b32 v7, v7, v9, v5
.LBB39_1453:
	s_or_b64 exec, exec, s[12:13]
	v_bfe_u32 v5, v7, 16, 1
	s_movk_i32 s6, 0x7fff
	v_add3_u32 v5, v7, v5, s6
	v_lshrrev_b32_e32 v5, 16, v5
	v_mov_b32_e32 v9, 0x7fc0
	v_cmp_o_f32_e32 vcc, v7, v7
	v_cndmask_b32_e32 v12, v9, v5, vcc
	s_mov_b64 s[6:7], 0
	s_branch .LBB39_1459
.LBB39_1454:
	s_mov_b64 s[6:7], -1
                                        ; implicit-def: $vgpr12
	s_branch .LBB39_1465
.LBB39_1455:
	s_or_saveexec_b64 s[14:15], s[14:15]
	v_mov_b32_e32 v7, s19
	s_xor_b64 exec, exec, s[14:15]
	s_cbranch_execz .LBB39_1438
.LBB39_1456:
	v_cmp_ne_u16_e32 vcc, 0, v5
	s_andn2_b64 s[12:13], s[12:13], exec
	s_and_b64 s[16:17], vcc, exec
	v_mov_b32_e32 v7, 0
	s_or_b64 s[12:13], s[12:13], s[16:17]
	s_or_b64 exec, exec, s[14:15]
	s_and_saveexec_b64 s[14:15], s[12:13]
	s_cbranch_execnz .LBB39_1439
	s_branch .LBB39_1440
.LBB39_1457:
	s_mov_b64 s[6:7], -1
                                        ; implicit-def: $vgpr12
	s_branch .LBB39_1462
.LBB39_1458:
	s_mov_b64 s[6:7], -1
                                        ; implicit-def: $vgpr12
.LBB39_1459:
	s_and_b64 vcc, exec, s[6:7]
	s_cbranch_vccz .LBB39_1461
; %bb.1460:
	global_load_ubyte v5, v[10:11], off
	s_mov_b32 s6, 0x7f800000
	s_brev_b32 s7, 1
	s_movk_i32 s12, 0x7fff
	v_mov_b32_e32 v7, 0x7fc0
	s_waitcnt vmcnt(0)
	v_lshlrev_b32_e32 v5, 24, v5
	v_and_b32_e32 v9, 0x7f000000, v5
	v_ffbh_u32_e32 v12, v9
	v_min_u32_e32 v12, 32, v12
	v_sub_u32_e64 v12, v12, 4 clamp
	v_lshlrev_b32_e32 v14, v12, v9
	v_lshlrev_b32_e32 v12, 23, v12
	v_lshrrev_b32_e32 v14, 4, v14
	v_add_u32_e32 v13, 0x1000000, v9
	v_sub_u32_e32 v12, v14, v12
	v_ashrrev_i32_e32 v13, 8, v13
	v_add_u32_e32 v12, 0x3c000000, v12
	v_and_or_b32 v12, v13, s6, v12
	v_cmp_ne_u32_e32 vcc, 0, v9
	v_cndmask_b32_e32 v9, 0, v12, vcc
	v_and_or_b32 v5, v5, s7, v9
	v_bfe_u32 v9, v9, 16, 1
	v_add3_u32 v9, v5, v9, s12
	v_lshrrev_b32_e32 v9, 16, v9
	v_cmp_o_f32_e32 vcc, v5, v5
	v_cndmask_b32_e32 v12, v7, v9, vcc
.LBB39_1461:
	s_mov_b64 s[6:7], 0
.LBB39_1462:
	s_andn2_b64 vcc, exec, s[6:7]
	s_cbranch_vccnz .LBB39_1464
; %bb.1463:
	global_load_ubyte v5, v[10:11], off
	s_movk_i32 s6, 0x7f00
	s_brev_b32 s7, 16
	s_brev_b32 s12, 1
	s_movk_i32 s13, 0x7fff
	v_mov_b32_e32 v7, 0x7fc0
	s_waitcnt vmcnt(0)
	v_lshlrev_b16_e32 v9, 8, v5
	v_lshlrev_b32_e32 v5, 25, v5
	v_lshrrev_b32_e32 v12, 4, v5
	v_and_or_b32 v13, v9, s6, 0.5
	v_or_b32_e32 v12, 0x70000000, v12
	v_add_f32_e32 v13, -0.5, v13
	v_mul_f32_e32 v12, 0x7800000, v12
	v_cmp_gt_u32_e32 vcc, s7, v5
	v_bfe_i32 v9, v9, 0, 16
	v_cndmask_b32_e32 v5, v12, v13, vcc
	v_and_or_b32 v9, v9, s12, v5
	v_bfe_u32 v5, v5, 16, 1
	v_add3_u32 v5, v9, v5, s13
	v_lshrrev_b32_e32 v5, 16, v5
	v_cmp_o_f32_e32 vcc, v9, v9
	v_cndmask_b32_e32 v12, v7, v5, vcc
.LBB39_1464:
	s_mov_b64 s[6:7], 0
	s_mov_b64 s[12:13], -1
.LBB39_1465:
	s_andn2_b64 vcc, exec, s[6:7]
	s_mov_b64 s[6:7], 0
	s_cbranch_vccnz .LBB39_1476
; %bb.1466:
	v_mov_b32_e32 v5, 14
	v_cmp_gt_i16_sdwa s[6:7], s18, v5 src0_sel:BYTE_0 src1_sel:DWORD
	s_and_b64 vcc, exec, s[6:7]
	s_cbranch_vccz .LBB39_1469
; %bb.1467:
	v_mov_b32_e32 v5, 15
	v_cmp_eq_u16_sdwa s[0:1], s18, v5 src0_sel:BYTE_0 src1_sel:DWORD
	s_and_b64 vcc, exec, s[0:1]
	s_cbranch_vccz .LBB39_1472
; %bb.1468:
	global_load_ushort v12, v[10:11], off
	s_mov_b64 s[0:1], 0
	s_mov_b64 s[12:13], -1
	s_branch .LBB39_1473
.LBB39_1469:
	s_mov_b64 s[14:15], -1
                                        ; implicit-def: $vgpr12
	s_branch .LBB39_1474
.LBB39_1470:
	s_or_saveexec_b64 s[12:13], s[12:13]
	v_mov_b32_e32 v7, s16
	s_xor_b64 exec, exec, s[12:13]
	s_cbranch_execz .LBB39_1451
.LBB39_1471:
	v_cmp_ne_u16_e32 vcc, 0, v5
	s_andn2_b64 s[6:7], s[6:7], exec
	s_and_b64 s[14:15], vcc, exec
	v_mov_b32_e32 v7, 0
	s_or_b64 s[6:7], s[6:7], s[14:15]
	s_or_b64 exec, exec, s[12:13]
	s_and_saveexec_b64 s[12:13], s[6:7]
	s_cbranch_execnz .LBB39_1452
	s_branch .LBB39_1453
.LBB39_1472:
	s_mov_b64 s[0:1], -1
                                        ; implicit-def: $vgpr12
.LBB39_1473:
	s_mov_b64 s[14:15], 0
.LBB39_1474:
	s_mov_b64 s[6:7], 0
	s_and_b64 vcc, exec, s[14:15]
	s_cbranch_vccz .LBB39_1476
; %bb.1475:
	v_mov_b32_e32 v5, 11
	v_cmp_ne_u16_sdwa s[0:1], s18, v5 src0_sel:BYTE_0 src1_sel:DWORD
	s_mov_b64 s[6:7], -1
                                        ; implicit-def: $vgpr12
.LBB39_1476:
	s_and_b64 vcc, exec, s[0:1]
	s_cbranch_vccnz .LBB39_1539
; %bb.1477:
	s_andn2_b64 vcc, exec, s[6:7]
	s_cbranch_vccnz .LBB39_1479
.LBB39_1478:
	global_load_ubyte v5, v[10:11], off
	s_mov_b64 s[12:13], -1
	s_waitcnt vmcnt(0)
	v_cmp_ne_u16_e32 vcc, 0, v5
	v_cndmask_b32_e64 v5, 0, 1.0, vcc
	v_lshrrev_b32_e32 v12, 16, v5
.LBB39_1479:
	s_branch .LBB39_1407
.LBB39_1480:
	v_mov_b32_e32 v5, 5
	v_cmp_lt_i16_sdwa s[0:1], s18, v5 src0_sel:BYTE_0 src1_sel:DWORD
	s_and_b64 vcc, exec, s[0:1]
	s_cbranch_vccnz .LBB39_1485
; %bb.1481:
	v_mov_b32_e32 v5, 8
	v_cmp_lt_i16_sdwa s[0:1], s18, v5 src0_sel:BYTE_0 src1_sel:DWORD
	s_and_b64 vcc, exec, s[0:1]
	s_cbranch_vccnz .LBB39_1486
; %bb.1482:
	;; [unrolled: 5-line block ×3, first 2 shown]
	v_cmp_gt_i16_sdwa s[0:1], s18, v5 src0_sel:BYTE_0 src1_sel:DWORD
	s_and_b64 vcc, exec, s[0:1]
	s_cbranch_vccz .LBB39_1488
; %bb.1484:
	global_load_dwordx2 v[12:13], v[10:11], off
	s_movk_i32 s0, 0x7fff
	v_mov_b32_e32 v5, 0x7fc0
	s_waitcnt vmcnt(0)
	v_cvt_f32_f64_e32 v7, v[12:13]
	v_bfe_u32 v9, v7, 16, 1
	v_add3_u32 v9, v7, v9, s0
	v_lshrrev_b32_e32 v9, 16, v9
	v_cmp_o_f32_e32 vcc, v7, v7
	v_cndmask_b32_e32 v12, v5, v9, vcc
	s_mov_b64 s[0:1], 0
	s_branch .LBB39_1489
.LBB39_1485:
	s_mov_b64 s[0:1], -1
                                        ; implicit-def: $vgpr12
	s_branch .LBB39_1507
.LBB39_1486:
	s_mov_b64 s[0:1], -1
                                        ; implicit-def: $vgpr12
	s_branch .LBB39_1495
.LBB39_1487:
	s_mov_b64 s[0:1], -1
                                        ; implicit-def: $vgpr12
	s_branch .LBB39_1492
.LBB39_1488:
	s_mov_b64 s[0:1], -1
                                        ; implicit-def: $vgpr12
.LBB39_1489:
	s_andn2_b64 vcc, exec, s[0:1]
	s_cbranch_vccnz .LBB39_1491
; %bb.1490:
	global_load_dword v5, v[10:11], off
	s_movk_i32 s0, 0x7fff
	v_mov_b32_e32 v7, 0x7fc0
	s_waitcnt vmcnt(0)
	v_bfe_u32 v9, v5, 16, 1
	v_add3_u32 v9, v5, v9, s0
	v_lshrrev_b32_e32 v9, 16, v9
	v_cmp_o_f32_e32 vcc, v5, v5
	v_cndmask_b32_e32 v12, v7, v9, vcc
.LBB39_1491:
	s_mov_b64 s[0:1], 0
.LBB39_1492:
	s_andn2_b64 vcc, exec, s[0:1]
	s_cbranch_vccnz .LBB39_1494
; %bb.1493:
	global_load_dword v5, v[10:11], off
	s_movk_i32 s0, 0x7fff
	v_mov_b32_e32 v9, 0x7fc0
	s_waitcnt vmcnt(0)
	v_cvt_f32_f16_e32 v7, v5
	v_cmp_o_f16_e32 vcc, v5, v5
	v_bfe_u32 v12, v7, 16, 1
	v_add3_u32 v7, v7, v12, s0
	v_lshrrev_b32_e32 v7, 16, v7
	v_cndmask_b32_e32 v12, v9, v7, vcc
.LBB39_1494:
	s_mov_b64 s[0:1], 0
.LBB39_1495:
	s_andn2_b64 vcc, exec, s[0:1]
	s_cbranch_vccnz .LBB39_1506
; %bb.1496:
	v_mov_b32_e32 v5, 6
	v_cmp_lt_i16_sdwa s[0:1], s18, v5 src0_sel:BYTE_0 src1_sel:DWORD
	s_and_b64 vcc, exec, s[0:1]
	s_cbranch_vccnz .LBB39_1499
; %bb.1497:
	v_cmp_gt_i16_sdwa s[0:1], s18, v5 src0_sel:BYTE_0 src1_sel:DWORD
	s_and_b64 vcc, exec, s[0:1]
	s_cbranch_vccz .LBB39_1500
; %bb.1498:
	global_load_dwordx2 v[12:13], v[10:11], off
	s_movk_i32 s0, 0x7fff
	v_mov_b32_e32 v5, 0x7fc0
	s_waitcnt vmcnt(0)
	v_cvt_f32_f64_e32 v7, v[12:13]
	v_bfe_u32 v9, v7, 16, 1
	v_add3_u32 v9, v7, v9, s0
	v_lshrrev_b32_e32 v9, 16, v9
	v_cmp_o_f32_e32 vcc, v7, v7
	v_cndmask_b32_e32 v12, v5, v9, vcc
	s_mov_b64 s[0:1], 0
	s_branch .LBB39_1501
.LBB39_1499:
	s_mov_b64 s[0:1], -1
                                        ; implicit-def: $vgpr12
	s_branch .LBB39_1504
.LBB39_1500:
	s_mov_b64 s[0:1], -1
                                        ; implicit-def: $vgpr12
.LBB39_1501:
	s_andn2_b64 vcc, exec, s[0:1]
	s_cbranch_vccnz .LBB39_1503
; %bb.1502:
	global_load_dword v5, v[10:11], off
	s_movk_i32 s0, 0x7fff
	v_mov_b32_e32 v7, 0x7fc0
	s_waitcnt vmcnt(0)
	v_bfe_u32 v9, v5, 16, 1
	v_add3_u32 v9, v5, v9, s0
	v_lshrrev_b32_e32 v9, 16, v9
	v_cmp_o_f32_e32 vcc, v5, v5
	v_cndmask_b32_e32 v12, v7, v9, vcc
.LBB39_1503:
	s_mov_b64 s[0:1], 0
.LBB39_1504:
	s_andn2_b64 vcc, exec, s[0:1]
	s_cbranch_vccnz .LBB39_1506
; %bb.1505:
	global_load_ushort v5, v[10:11], off
	s_movk_i32 s0, 0x7fff
	v_mov_b32_e32 v9, 0x7fc0
	s_waitcnt vmcnt(0)
	v_cvt_f32_f16_e32 v7, v5
	v_cmp_o_f16_e32 vcc, v5, v5
	v_bfe_u32 v12, v7, 16, 1
	v_add3_u32 v7, v7, v12, s0
	v_lshrrev_b32_e32 v7, 16, v7
	v_cndmask_b32_e32 v12, v9, v7, vcc
.LBB39_1506:
	s_mov_b64 s[0:1], 0
.LBB39_1507:
	s_andn2_b64 vcc, exec, s[0:1]
	s_cbranch_vccnz .LBB39_1527
; %bb.1508:
	v_mov_b32_e32 v5, 2
	v_cmp_lt_i16_sdwa s[0:1], s18, v5 src0_sel:BYTE_0 src1_sel:DWORD
	s_and_b64 vcc, exec, s[0:1]
	s_cbranch_vccnz .LBB39_1512
; %bb.1509:
	v_mov_b32_e32 v5, 3
	v_cmp_lt_i16_sdwa s[0:1], s18, v5 src0_sel:BYTE_0 src1_sel:DWORD
	s_and_b64 vcc, exec, s[0:1]
	s_cbranch_vccnz .LBB39_1513
; %bb.1510:
	v_cmp_gt_i16_sdwa s[0:1], s18, v5 src0_sel:BYTE_0 src1_sel:DWORD
	s_and_b64 vcc, exec, s[0:1]
	s_cbranch_vccz .LBB39_1514
; %bb.1511:
	global_load_dwordx2 v[12:13], v[10:11], off
	s_movk_i32 s0, 0x7fff
	s_waitcnt vmcnt(0)
	v_xor_b32_e32 v7, v12, v13
	v_ffbh_i32_e32 v5, v13
	v_ashrrev_i32_e32 v7, 31, v7
	v_add_u32_e32 v5, -1, v5
	v_add_u32_e32 v7, 32, v7
	v_min_u32_e32 v5, v5, v7
	v_lshlrev_b64 v[12:13], v5, v[12:13]
	v_min_u32_e32 v7, 1, v12
	v_or_b32_e32 v7, v13, v7
	v_cvt_f32_i32_e32 v7, v7
	v_sub_u32_e32 v5, 32, v5
	v_ldexp_f32 v5, v7, v5
	v_bfe_u32 v7, v5, 16, 1
	v_add3_u32 v5, v5, v7, s0
	v_lshrrev_b32_e32 v12, 16, v5
	s_mov_b64 s[0:1], 0
	s_branch .LBB39_1515
.LBB39_1512:
	s_mov_b64 s[0:1], -1
                                        ; implicit-def: $vgpr12
	s_branch .LBB39_1521
.LBB39_1513:
	s_mov_b64 s[0:1], -1
                                        ; implicit-def: $vgpr12
	s_branch .LBB39_1518
.LBB39_1514:
	s_mov_b64 s[0:1], -1
                                        ; implicit-def: $vgpr12
.LBB39_1515:
	s_andn2_b64 vcc, exec, s[0:1]
	s_cbranch_vccnz .LBB39_1517
; %bb.1516:
	global_load_dword v5, v[10:11], off
	s_movk_i32 s0, 0x7fff
	s_waitcnt vmcnt(0)
	v_cvt_f32_i32_e32 v5, v5
	v_bfe_u32 v7, v5, 16, 1
	v_add3_u32 v5, v5, v7, s0
	v_lshrrev_b32_e32 v12, 16, v5
.LBB39_1517:
	s_mov_b64 s[0:1], 0
.LBB39_1518:
	s_andn2_b64 vcc, exec, s[0:1]
	s_cbranch_vccnz .LBB39_1520
; %bb.1519:
	global_load_sshort v5, v[10:11], off
	s_movk_i32 s0, 0x7fff
	s_waitcnt vmcnt(0)
	v_cvt_f32_i32_e32 v5, v5
	v_bfe_u32 v7, v5, 16, 1
	v_add3_u32 v5, v5, v7, s0
	v_lshrrev_b32_e32 v12, 16, v5
.LBB39_1520:
	s_mov_b64 s[0:1], 0
.LBB39_1521:
	s_andn2_b64 vcc, exec, s[0:1]
	s_cbranch_vccnz .LBB39_1527
; %bb.1522:
	v_mov_b32_e32 v5, 0
	v_cmp_gt_i16_sdwa s[0:1], s18, v5 src0_sel:BYTE_0 src1_sel:DWORD
	s_and_b64 vcc, exec, s[0:1]
	s_cbranch_vccz .LBB39_1524
; %bb.1523:
	global_load_sbyte v5, v[10:11], off
	s_movk_i32 s0, 0x7fff
	s_waitcnt vmcnt(0)
	v_cvt_f32_i32_e32 v5, v5
	v_bfe_u32 v7, v5, 16, 1
	v_add3_u32 v5, v5, v7, s0
	v_lshrrev_b32_e32 v12, 16, v5
	s_mov_b64 s[0:1], 0
	s_branch .LBB39_1525
.LBB39_1524:
	s_mov_b64 s[0:1], -1
                                        ; implicit-def: $vgpr12
.LBB39_1525:
	s_andn2_b64 vcc, exec, s[0:1]
	s_cbranch_vccnz .LBB39_1527
; %bb.1526:
	global_load_ubyte v5, v[10:11], off
	s_movk_i32 s0, 0x7fff
	s_waitcnt vmcnt(0)
	v_cvt_f32_ubyte0_e32 v5, v5
	v_bfe_u32 v7, v5, 16, 1
	v_add3_u32 v5, v5, v7, s0
	v_lshrrev_b32_e32 v12, 16, v5
.LBB39_1527:
.LBB39_1528:
	v_mov_b32_e32 v5, s11
	v_add_co_u32_e32 v8, vcc, s10, v8
	v_addc_co_u32_e32 v9, vcc, 0, v5, vcc
	v_mov_b32_e32 v5, 11
	v_cmp_lt_i16_sdwa s[0:1], s18, v5 src0_sel:BYTE_0 src1_sel:DWORD
	s_and_b64 vcc, exec, s[0:1]
	s_cbranch_vccnz .LBB39_1535
; %bb.1529:
	v_mov_b32_e32 v5, 25
	v_cmp_gt_i16_sdwa s[0:1], s18, v5 src0_sel:BYTE_0 src1_sel:DWORD
	s_mov_b64 s[6:7], 0
	s_and_b64 vcc, exec, s[0:1]
	s_cbranch_vccz .LBB39_1536
; %bb.1530:
	v_mov_b32_e32 v5, 28
	v_cmp_gt_i16_sdwa s[0:1], s18, v5 src0_sel:BYTE_0 src1_sel:DWORD
	s_and_b64 vcc, exec, s[0:1]
	s_cbranch_vccz .LBB39_1537
; %bb.1531:
	v_mov_b32_e32 v5, 43
	v_cmp_gt_i16_sdwa s[0:1], s18, v5 src0_sel:BYTE_0 src1_sel:DWORD
	;; [unrolled: 5-line block ×3, first 2 shown]
	s_and_b64 vcc, exec, s[0:1]
	s_cbranch_vccz .LBB39_1540
; %bb.1533:
	v_mov_b32_e32 v5, 46
	v_cmp_eq_u16_sdwa s[0:1], s18, v5 src0_sel:BYTE_0 src1_sel:DWORD
	s_mov_b64 s[12:13], 0
	s_and_b64 vcc, exec, s[0:1]
	s_cbranch_vccz .LBB39_1541
; %bb.1534:
	global_load_dword v10, v[8:9], off
	s_mov_b64 s[0:1], 0
	s_mov_b64 s[10:11], -1
	s_branch .LBB39_1542
.LBB39_1535:
	s_mov_b64 s[0:1], -1
	s_mov_b64 s[10:11], 0
                                        ; implicit-def: $vgpr10
	s_branch .LBB39_1608
.LBB39_1536:
	s_mov_b64 s[12:13], -1
	s_mov_b64 s[10:11], 0
	s_mov_b64 s[0:1], 0
                                        ; implicit-def: $vgpr10
	s_branch .LBB39_1571
.LBB39_1537:
	s_mov_b64 s[12:13], -1
	s_mov_b64 s[10:11], 0
	s_mov_b64 s[0:1], 0
                                        ; implicit-def: $vgpr10
	s_branch .LBB39_1552
.LBB39_1538:
	s_mov_b64 s[12:13], -1
	s_mov_b64 s[10:11], 0
	s_mov_b64 s[0:1], 0
                                        ; implicit-def: $vgpr10
	s_branch .LBB39_1547
.LBB39_1539:
	s_trap 2
	s_or_b64 s[2:3], s[2:3], exec
                                        ; implicit-def: $vgpr12
	s_cbranch_execz .LBB39_1478
	s_branch .LBB39_1479
.LBB39_1540:
	s_mov_b64 s[12:13], -1
	s_mov_b64 s[10:11], 0
	s_mov_b64 s[0:1], 0
                                        ; implicit-def: $vgpr10
	s_branch .LBB39_1542
.LBB39_1541:
	s_mov_b64 s[0:1], -1
                                        ; implicit-def: $vgpr10
	s_mov_b64 s[10:11], 0
.LBB39_1542:
	s_and_b64 vcc, exec, s[12:13]
	s_cbranch_vccz .LBB39_1546
; %bb.1543:
	v_mov_b32_e32 v5, 44
	v_cmp_eq_u16_sdwa s[0:1], s18, v5 src0_sel:BYTE_0 src1_sel:DWORD
	s_and_b64 vcc, exec, s[0:1]
	s_cbranch_vccz .LBB39_1545
; %bb.1544:
	global_load_ubyte v5, v[8:9], off
	s_movk_i32 s10, 0xff
	v_mov_b32_e32 v7, 0x7f800001
	s_waitcnt vmcnt(1)
	v_mov_b32_e32 v10, 0x400000
	v_mov_b32_e32 v11, 0x7fc0
	s_mov_b64 s[0:1], 0
	s_waitcnt vmcnt(0)
	v_lshlrev_b32_e32 v13, 23, v5
	v_cmp_ne_u32_e32 vcc, s10, v5
	v_cndmask_b32_e32 v7, v7, v13, vcc
	v_cmp_ne_u32_e32 vcc, 0, v5
	v_cndmask_b32_e32 v5, v10, v7, vcc
	v_add_u32_e32 v7, 0x7fff, v5
	v_lshrrev_b32_e32 v7, 16, v7
	v_cmp_o_f32_e32 vcc, v5, v5
	v_cndmask_b32_e32 v10, v11, v7, vcc
	s_mov_b64 s[10:11], -1
	s_branch .LBB39_1546
.LBB39_1545:
	s_mov_b64 s[0:1], -1
                                        ; implicit-def: $vgpr10
.LBB39_1546:
	s_mov_b64 s[12:13], 0
.LBB39_1547:
	s_and_b64 vcc, exec, s[12:13]
	s_cbranch_vccz .LBB39_1551
; %bb.1548:
	v_mov_b32_e32 v5, 29
	v_cmp_eq_u16_sdwa s[0:1], s18, v5 src0_sel:BYTE_0 src1_sel:DWORD
	s_and_b64 vcc, exec, s[0:1]
	s_cbranch_vccz .LBB39_1550
; %bb.1549:
	global_load_dwordx2 v[10:11], v[8:9], off
	s_movk_i32 s10, 0x7fff
	s_mov_b64 s[0:1], 0
	s_mov_b64 s[12:13], 0
	s_waitcnt vmcnt(0)
	v_ffbh_u32_e32 v5, v11
	v_min_u32_e32 v5, 32, v5
	v_lshlrev_b64 v[10:11], v5, v[10:11]
	v_min_u32_e32 v7, 1, v10
	v_or_b32_e32 v7, v11, v7
	v_cvt_f32_u32_e32 v7, v7
	v_sub_u32_e32 v5, 32, v5
	v_ldexp_f32 v5, v7, v5
	v_bfe_u32 v7, v5, 16, 1
	v_add3_u32 v5, v5, v7, s10
	v_lshrrev_b32_e32 v10, 16, v5
	s_mov_b64 s[10:11], -1
	s_branch .LBB39_1552
.LBB39_1550:
	s_mov_b64 s[0:1], -1
                                        ; implicit-def: $vgpr10
.LBB39_1551:
	s_mov_b64 s[12:13], 0
.LBB39_1552:
	s_and_b64 vcc, exec, s[12:13]
	s_cbranch_vccz .LBB39_1570
; %bb.1553:
	v_mov_b32_e32 v5, 27
	v_cmp_lt_i16_sdwa s[10:11], s18, v5 src0_sel:BYTE_0 src1_sel:DWORD
	s_and_b64 vcc, exec, s[10:11]
	s_cbranch_vccnz .LBB39_1556
; %bb.1554:
	v_cmp_gt_i16_sdwa s[10:11], s18, v5 src0_sel:BYTE_0 src1_sel:DWORD
	s_and_b64 vcc, exec, s[10:11]
	s_cbranch_vccz .LBB39_1557
; %bb.1555:
	global_load_dword v5, v[8:9], off
	s_movk_i32 s10, 0x7fff
	s_waitcnt vmcnt(0)
	v_cvt_f32_u32_e32 v5, v5
	v_bfe_u32 v7, v5, 16, 1
	v_add3_u32 v5, v5, v7, s10
	v_lshrrev_b32_e32 v10, 16, v5
	s_mov_b64 s[10:11], 0
	s_branch .LBB39_1558
.LBB39_1556:
	s_mov_b64 s[10:11], -1
                                        ; implicit-def: $vgpr10
	s_branch .LBB39_1561
.LBB39_1557:
	s_mov_b64 s[10:11], -1
                                        ; implicit-def: $vgpr10
.LBB39_1558:
	s_andn2_b64 vcc, exec, s[10:11]
	s_cbranch_vccnz .LBB39_1560
; %bb.1559:
	global_load_ushort v5, v[8:9], off
	s_movk_i32 s10, 0x7fff
	s_waitcnt vmcnt(0)
	v_cvt_f32_u32_e32 v5, v5
	v_bfe_u32 v7, v5, 16, 1
	v_add3_u32 v5, v5, v7, s10
	v_lshrrev_b32_e32 v10, 16, v5
.LBB39_1560:
	s_mov_b64 s[10:11], 0
.LBB39_1561:
	s_andn2_b64 vcc, exec, s[10:11]
	s_cbranch_vccnz .LBB39_1569
; %bb.1562:
	global_load_ubyte v5, v[8:9], off
	s_movk_i32 s10, 0x7f
                                        ; implicit-def: $sgpr16
	s_waitcnt vmcnt(0)
	v_cmp_lt_i16_e32 vcc, s10, v5
	s_mov_b64 s[10:11], 0
	s_and_saveexec_b64 s[12:13], vcc
	s_xor_b64 s[12:13], exec, s[12:13]
	s_cbranch_execz .LBB39_1583
; %bb.1563:
	s_movk_i32 s10, 0x80
	v_cmp_eq_u16_e32 vcc, s10, v5
	s_mov_b64 s[10:11], -1
                                        ; implicit-def: $sgpr16
	s_and_saveexec_b64 s[14:15], vcc
; %bb.1564:
	s_mov_b32 s16, 0x7f800001
	s_xor_b64 s[10:11], exec, -1
; %bb.1565:
	s_or_b64 exec, exec, s[14:15]
	s_and_b64 s[10:11], s[10:11], exec
	s_or_saveexec_b64 s[12:13], s[12:13]
	v_mov_b32_e32 v7, s16
	s_xor_b64 exec, exec, s[12:13]
	s_cbranch_execnz .LBB39_1584
.LBB39_1566:
	s_or_b64 exec, exec, s[12:13]
	s_and_saveexec_b64 s[12:13], s[10:11]
	s_cbranch_execz .LBB39_1568
.LBB39_1567:
	v_lshlrev_b32_e32 v7, 24, v5
	v_and_b32_e32 v5, 0xffff, v5
	v_and_b32_e32 v10, 7, v5
	v_ffbh_u32_e32 v13, v10
	v_min_u32_e32 v13, 32, v13
	v_subrev_u32_e32 v14, 28, v13
	v_bfe_u32 v11, v5, 3, 4
	v_lshlrev_b32_e32 v5, v14, v5
	v_sub_u32_e32 v13, 29, v13
	v_and_b32_e32 v5, 7, v5
	v_cmp_eq_u32_e32 vcc, 0, v11
	v_cndmask_b32_e32 v11, v11, v13, vcc
	v_cndmask_b32_e32 v5, v10, v5, vcc
	v_mov_b32_e32 v10, 0x3b800000
	v_lshlrev_b32_e32 v5, 20, v5
	v_and_b32_e32 v7, 0x80000000, v7
	v_lshl_add_u32 v10, v11, 23, v10
	v_or3_b32 v7, v7, v10, v5
.LBB39_1568:
	s_or_b64 exec, exec, s[12:13]
	v_bfe_u32 v5, v7, 16, 1
	s_movk_i32 s10, 0x7fff
	v_add3_u32 v5, v7, v5, s10
	v_lshrrev_b32_e32 v5, 16, v5
	v_mov_b32_e32 v10, 0x7fc0
	v_cmp_o_f32_e32 vcc, v7, v7
	v_cndmask_b32_e32 v10, v10, v5, vcc
.LBB39_1569:
	s_mov_b64 s[10:11], -1
.LBB39_1570:
	s_mov_b64 s[12:13], 0
.LBB39_1571:
	s_and_b64 vcc, exec, s[12:13]
	s_cbranch_vccz .LBB39_1604
; %bb.1572:
	v_mov_b32_e32 v5, 22
	v_cmp_gt_i16_sdwa s[6:7], s18, v5 src0_sel:BYTE_0 src1_sel:DWORD
	s_and_b64 vcc, exec, s[6:7]
	s_cbranch_vccz .LBB39_1582
; %bb.1573:
	v_mov_b32_e32 v5, 24
	v_cmp_lt_i16_sdwa s[6:7], s18, v5 src0_sel:BYTE_0 src1_sel:DWORD
	s_and_b64 vcc, exec, s[6:7]
	s_cbranch_vccnz .LBB39_1585
; %bb.1574:
	v_cmp_gt_i16_sdwa s[6:7], s18, v5 src0_sel:BYTE_0 src1_sel:DWORD
	s_and_b64 vcc, exec, s[6:7]
	s_cbranch_vccz .LBB39_1586
; %bb.1575:
	global_load_ubyte v5, v[8:9], off
	s_movk_i32 s6, 0x7f
                                        ; implicit-def: $sgpr14
	s_waitcnt vmcnt(0)
	v_cmp_lt_i16_e32 vcc, s6, v5
	s_mov_b64 s[6:7], 0
	s_and_saveexec_b64 s[10:11], vcc
	s_xor_b64 s[10:11], exec, s[10:11]
	s_cbranch_execz .LBB39_1598
; %bb.1576:
	s_movk_i32 s6, 0x80
	v_cmp_eq_u16_e32 vcc, s6, v5
	s_mov_b64 s[6:7], -1
                                        ; implicit-def: $sgpr14
	s_and_saveexec_b64 s[12:13], vcc
; %bb.1577:
	s_mov_b32 s14, 0x7f800001
	s_xor_b64 s[6:7], exec, -1
; %bb.1578:
	s_or_b64 exec, exec, s[12:13]
	s_and_b64 s[6:7], s[6:7], exec
	s_or_saveexec_b64 s[10:11], s[10:11]
	v_mov_b32_e32 v7, s14
	s_xor_b64 exec, exec, s[10:11]
	s_cbranch_execnz .LBB39_1599
.LBB39_1579:
	s_or_b64 exec, exec, s[10:11]
	s_and_saveexec_b64 s[10:11], s[6:7]
	s_cbranch_execz .LBB39_1581
.LBB39_1580:
	v_lshlrev_b32_e32 v7, 24, v5
	v_and_b32_e32 v5, 0xffff, v5
	v_and_b32_e32 v10, 3, v5
	v_ffbh_u32_e32 v13, v10
	v_min_u32_e32 v13, 32, v13
	v_subrev_u32_e32 v14, 29, v13
	v_bfe_u32 v11, v5, 2, 5
	v_lshlrev_b32_e32 v5, v14, v5
	v_sub_u32_e32 v13, 30, v13
	v_and_b32_e32 v5, 3, v5
	v_cmp_eq_u32_e32 vcc, 0, v11
	v_cndmask_b32_e32 v11, v11, v13, vcc
	v_cndmask_b32_e32 v5, v10, v5, vcc
	v_mov_b32_e32 v10, 0x37800000
	v_lshlrev_b32_e32 v5, 21, v5
	v_and_b32_e32 v7, 0x80000000, v7
	v_lshl_add_u32 v10, v11, 23, v10
	v_or3_b32 v7, v7, v10, v5
.LBB39_1581:
	s_or_b64 exec, exec, s[10:11]
	v_bfe_u32 v5, v7, 16, 1
	s_movk_i32 s6, 0x7fff
	v_add3_u32 v5, v7, v5, s6
	v_lshrrev_b32_e32 v5, 16, v5
	v_mov_b32_e32 v10, 0x7fc0
	v_cmp_o_f32_e32 vcc, v7, v7
	v_cndmask_b32_e32 v10, v10, v5, vcc
	s_mov_b64 s[6:7], 0
	s_branch .LBB39_1587
.LBB39_1582:
	s_mov_b64 s[6:7], -1
                                        ; implicit-def: $vgpr10
	s_branch .LBB39_1593
.LBB39_1583:
	s_or_saveexec_b64 s[12:13], s[12:13]
	v_mov_b32_e32 v7, s16
	s_xor_b64 exec, exec, s[12:13]
	s_cbranch_execz .LBB39_1566
.LBB39_1584:
	v_cmp_ne_u16_e32 vcc, 0, v5
	s_andn2_b64 s[10:11], s[10:11], exec
	s_and_b64 s[14:15], vcc, exec
	v_mov_b32_e32 v7, 0
	s_or_b64 s[10:11], s[10:11], s[14:15]
	s_or_b64 exec, exec, s[12:13]
	s_and_saveexec_b64 s[12:13], s[10:11]
	s_cbranch_execnz .LBB39_1567
	s_branch .LBB39_1568
.LBB39_1585:
	s_mov_b64 s[6:7], -1
                                        ; implicit-def: $vgpr10
	s_branch .LBB39_1590
.LBB39_1586:
	s_mov_b64 s[6:7], -1
                                        ; implicit-def: $vgpr10
.LBB39_1587:
	s_and_b64 vcc, exec, s[6:7]
	s_cbranch_vccz .LBB39_1589
; %bb.1588:
	global_load_ubyte v5, v[8:9], off
	s_mov_b32 s6, 0x7f800000
	s_brev_b32 s7, 1
	s_movk_i32 s10, 0x7fff
	v_mov_b32_e32 v7, 0x7fc0
	s_waitcnt vmcnt(0)
	v_lshlrev_b32_e32 v5, 24, v5
	v_and_b32_e32 v10, 0x7f000000, v5
	v_ffbh_u32_e32 v11, v10
	v_min_u32_e32 v11, 32, v11
	v_sub_u32_e64 v11, v11, 4 clamp
	v_lshlrev_b32_e32 v14, v11, v10
	v_lshlrev_b32_e32 v11, 23, v11
	v_lshrrev_b32_e32 v14, 4, v14
	v_add_u32_e32 v13, 0x1000000, v10
	v_sub_u32_e32 v11, v14, v11
	v_ashrrev_i32_e32 v13, 8, v13
	v_add_u32_e32 v11, 0x3c000000, v11
	v_and_or_b32 v11, v13, s6, v11
	v_cmp_ne_u32_e32 vcc, 0, v10
	v_cndmask_b32_e32 v10, 0, v11, vcc
	v_and_or_b32 v5, v5, s7, v10
	v_bfe_u32 v10, v10, 16, 1
	v_add3_u32 v10, v5, v10, s10
	v_lshrrev_b32_e32 v10, 16, v10
	v_cmp_o_f32_e32 vcc, v5, v5
	v_cndmask_b32_e32 v10, v7, v10, vcc
.LBB39_1589:
	s_mov_b64 s[6:7], 0
.LBB39_1590:
	s_andn2_b64 vcc, exec, s[6:7]
	s_cbranch_vccnz .LBB39_1592
; %bb.1591:
	global_load_ubyte v5, v[8:9], off
	s_movk_i32 s6, 0x7f00
	s_brev_b32 s7, 16
	s_brev_b32 s10, 1
	s_movk_i32 s11, 0x7fff
	v_mov_b32_e32 v7, 0x7fc0
	s_waitcnt vmcnt(0)
	v_lshlrev_b16_e32 v10, 8, v5
	v_lshlrev_b32_e32 v5, 25, v5
	v_lshrrev_b32_e32 v11, 4, v5
	v_and_or_b32 v13, v10, s6, 0.5
	v_or_b32_e32 v11, 0x70000000, v11
	v_add_f32_e32 v13, -0.5, v13
	v_mul_f32_e32 v11, 0x7800000, v11
	v_cmp_gt_u32_e32 vcc, s7, v5
	v_bfe_i32 v10, v10, 0, 16
	v_cndmask_b32_e32 v5, v11, v13, vcc
	v_and_or_b32 v10, v10, s10, v5
	v_bfe_u32 v5, v5, 16, 1
	v_add3_u32 v5, v10, v5, s11
	v_lshrrev_b32_e32 v5, 16, v5
	v_cmp_o_f32_e32 vcc, v10, v10
	v_cndmask_b32_e32 v10, v7, v5, vcc
.LBB39_1592:
	s_mov_b64 s[6:7], 0
	s_mov_b64 s[10:11], -1
.LBB39_1593:
	s_andn2_b64 vcc, exec, s[6:7]
	s_mov_b64 s[6:7], 0
	s_cbranch_vccnz .LBB39_1604
; %bb.1594:
	v_mov_b32_e32 v5, 14
	v_cmp_gt_i16_sdwa s[6:7], s18, v5 src0_sel:BYTE_0 src1_sel:DWORD
	s_and_b64 vcc, exec, s[6:7]
	s_cbranch_vccz .LBB39_1597
; %bb.1595:
	v_mov_b32_e32 v5, 15
	v_cmp_eq_u16_sdwa s[0:1], s18, v5 src0_sel:BYTE_0 src1_sel:DWORD
	s_and_b64 vcc, exec, s[0:1]
	s_cbranch_vccz .LBB39_1600
; %bb.1596:
	global_load_ushort v10, v[8:9], off
	s_mov_b64 s[0:1], 0
	s_mov_b64 s[10:11], -1
	s_branch .LBB39_1601
.LBB39_1597:
	s_mov_b64 s[12:13], -1
                                        ; implicit-def: $vgpr10
	s_branch .LBB39_1602
.LBB39_1598:
	s_or_saveexec_b64 s[10:11], s[10:11]
	v_mov_b32_e32 v7, s14
	s_xor_b64 exec, exec, s[10:11]
	s_cbranch_execz .LBB39_1579
.LBB39_1599:
	v_cmp_ne_u16_e32 vcc, 0, v5
	s_andn2_b64 s[6:7], s[6:7], exec
	s_and_b64 s[12:13], vcc, exec
	v_mov_b32_e32 v7, 0
	s_or_b64 s[6:7], s[6:7], s[12:13]
	s_or_b64 exec, exec, s[10:11]
	s_and_saveexec_b64 s[10:11], s[6:7]
	s_cbranch_execnz .LBB39_1580
	s_branch .LBB39_1581
.LBB39_1600:
	s_mov_b64 s[0:1], -1
                                        ; implicit-def: $vgpr10
.LBB39_1601:
	s_mov_b64 s[12:13], 0
.LBB39_1602:
	s_mov_b64 s[6:7], 0
	s_and_b64 vcc, exec, s[12:13]
	s_cbranch_vccz .LBB39_1604
; %bb.1603:
	v_mov_b32_e32 v5, 11
	v_cmp_ne_u16_sdwa s[0:1], s18, v5 src0_sel:BYTE_0 src1_sel:DWORD
	s_mov_b64 s[6:7], -1
                                        ; implicit-def: $vgpr10
.LBB39_1604:
	s_and_b64 vcc, exec, s[0:1]
	s_cbranch_vccnz .LBB39_1668
; %bb.1605:
	s_andn2_b64 vcc, exec, s[6:7]
	s_cbranch_vccnz .LBB39_1607
.LBB39_1606:
	global_load_ubyte v5, v[8:9], off
	s_mov_b64 s[10:11], -1
	s_waitcnt vmcnt(0)
	v_cmp_ne_u16_e32 vcc, 0, v5
	v_cndmask_b32_e64 v5, 0, 1.0, vcc
	v_lshrrev_b32_e32 v10, 16, v5
.LBB39_1607:
	s_mov_b64 s[0:1], 0
.LBB39_1608:
	s_and_b64 vcc, exec, s[0:1]
	s_cbranch_vccz .LBB39_1657
; %bb.1609:
	v_mov_b32_e32 v5, 5
	v_cmp_lt_i16_sdwa s[0:1], s18, v5 src0_sel:BYTE_0 src1_sel:DWORD
	s_and_b64 vcc, exec, s[0:1]
	s_cbranch_vccnz .LBB39_1614
; %bb.1610:
	v_mov_b32_e32 v5, 8
	v_cmp_lt_i16_sdwa s[0:1], s18, v5 src0_sel:BYTE_0 src1_sel:DWORD
	s_and_b64 vcc, exec, s[0:1]
	s_cbranch_vccnz .LBB39_1615
	;; [unrolled: 5-line block ×3, first 2 shown]
; %bb.1612:
	v_cmp_gt_i16_sdwa s[0:1], s18, v5 src0_sel:BYTE_0 src1_sel:DWORD
	s_and_b64 vcc, exec, s[0:1]
	s_cbranch_vccz .LBB39_1617
; %bb.1613:
	global_load_dwordx2 v[10:11], v[8:9], off
	s_movk_i32 s0, 0x7fff
	v_mov_b32_e32 v5, 0x7fc0
	s_waitcnt vmcnt(0)
	v_cvt_f32_f64_e32 v7, v[10:11]
	v_bfe_u32 v10, v7, 16, 1
	v_add3_u32 v10, v7, v10, s0
	v_lshrrev_b32_e32 v10, 16, v10
	v_cmp_o_f32_e32 vcc, v7, v7
	v_cndmask_b32_e32 v10, v5, v10, vcc
	s_mov_b64 s[0:1], 0
	s_branch .LBB39_1618
.LBB39_1614:
	s_mov_b64 s[0:1], -1
                                        ; implicit-def: $vgpr10
	s_branch .LBB39_1636
.LBB39_1615:
	s_mov_b64 s[0:1], -1
                                        ; implicit-def: $vgpr10
	s_branch .LBB39_1624
.LBB39_1616:
	s_mov_b64 s[0:1], -1
                                        ; implicit-def: $vgpr10
	s_branch .LBB39_1621
.LBB39_1617:
	s_mov_b64 s[0:1], -1
                                        ; implicit-def: $vgpr10
.LBB39_1618:
	s_andn2_b64 vcc, exec, s[0:1]
	s_cbranch_vccnz .LBB39_1620
; %bb.1619:
	global_load_dword v5, v[8:9], off
	s_movk_i32 s0, 0x7fff
	v_mov_b32_e32 v7, 0x7fc0
	s_waitcnt vmcnt(0)
	v_bfe_u32 v10, v5, 16, 1
	v_add3_u32 v10, v5, v10, s0
	v_lshrrev_b32_e32 v10, 16, v10
	v_cmp_o_f32_e32 vcc, v5, v5
	v_cndmask_b32_e32 v10, v7, v10, vcc
.LBB39_1620:
	s_mov_b64 s[0:1], 0
.LBB39_1621:
	s_andn2_b64 vcc, exec, s[0:1]
	s_cbranch_vccnz .LBB39_1623
; %bb.1622:
	global_load_dword v5, v[8:9], off
	s_movk_i32 s0, 0x7fff
	s_waitcnt vmcnt(1)
	v_mov_b32_e32 v10, 0x7fc0
	s_waitcnt vmcnt(0)
	v_cvt_f32_f16_e32 v7, v5
	v_cmp_o_f16_e32 vcc, v5, v5
	v_bfe_u32 v11, v7, 16, 1
	v_add3_u32 v7, v7, v11, s0
	v_lshrrev_b32_e32 v7, 16, v7
	v_cndmask_b32_e32 v10, v10, v7, vcc
.LBB39_1623:
	s_mov_b64 s[0:1], 0
.LBB39_1624:
	s_andn2_b64 vcc, exec, s[0:1]
	s_cbranch_vccnz .LBB39_1635
; %bb.1625:
	v_mov_b32_e32 v5, 6
	v_cmp_lt_i16_sdwa s[0:1], s18, v5 src0_sel:BYTE_0 src1_sel:DWORD
	s_and_b64 vcc, exec, s[0:1]
	s_cbranch_vccnz .LBB39_1628
; %bb.1626:
	v_cmp_gt_i16_sdwa s[0:1], s18, v5 src0_sel:BYTE_0 src1_sel:DWORD
	s_and_b64 vcc, exec, s[0:1]
	s_cbranch_vccz .LBB39_1629
; %bb.1627:
	global_load_dwordx2 v[10:11], v[8:9], off
	s_movk_i32 s0, 0x7fff
	v_mov_b32_e32 v5, 0x7fc0
	s_waitcnt vmcnt(0)
	v_cvt_f32_f64_e32 v7, v[10:11]
	v_bfe_u32 v10, v7, 16, 1
	v_add3_u32 v10, v7, v10, s0
	v_lshrrev_b32_e32 v10, 16, v10
	v_cmp_o_f32_e32 vcc, v7, v7
	v_cndmask_b32_e32 v10, v5, v10, vcc
	s_mov_b64 s[0:1], 0
	s_branch .LBB39_1630
.LBB39_1628:
	s_mov_b64 s[0:1], -1
                                        ; implicit-def: $vgpr10
	s_branch .LBB39_1633
.LBB39_1629:
	s_mov_b64 s[0:1], -1
                                        ; implicit-def: $vgpr10
.LBB39_1630:
	s_andn2_b64 vcc, exec, s[0:1]
	s_cbranch_vccnz .LBB39_1632
; %bb.1631:
	global_load_dword v5, v[8:9], off
	s_movk_i32 s0, 0x7fff
	v_mov_b32_e32 v7, 0x7fc0
	s_waitcnt vmcnt(0)
	v_bfe_u32 v10, v5, 16, 1
	v_add3_u32 v10, v5, v10, s0
	v_lshrrev_b32_e32 v10, 16, v10
	v_cmp_o_f32_e32 vcc, v5, v5
	v_cndmask_b32_e32 v10, v7, v10, vcc
.LBB39_1632:
	s_mov_b64 s[0:1], 0
.LBB39_1633:
	s_andn2_b64 vcc, exec, s[0:1]
	s_cbranch_vccnz .LBB39_1635
; %bb.1634:
	global_load_ushort v5, v[8:9], off
	s_movk_i32 s0, 0x7fff
	s_waitcnt vmcnt(1)
	v_mov_b32_e32 v10, 0x7fc0
	s_waitcnt vmcnt(0)
	v_cvt_f32_f16_e32 v7, v5
	v_cmp_o_f16_e32 vcc, v5, v5
	v_bfe_u32 v11, v7, 16, 1
	v_add3_u32 v7, v7, v11, s0
	v_lshrrev_b32_e32 v7, 16, v7
	v_cndmask_b32_e32 v10, v10, v7, vcc
.LBB39_1635:
	s_mov_b64 s[0:1], 0
.LBB39_1636:
	s_andn2_b64 vcc, exec, s[0:1]
	s_cbranch_vccnz .LBB39_1656
; %bb.1637:
	v_mov_b32_e32 v5, 2
	v_cmp_lt_i16_sdwa s[0:1], s18, v5 src0_sel:BYTE_0 src1_sel:DWORD
	s_and_b64 vcc, exec, s[0:1]
	s_cbranch_vccnz .LBB39_1641
; %bb.1638:
	v_mov_b32_e32 v5, 3
	v_cmp_lt_i16_sdwa s[0:1], s18, v5 src0_sel:BYTE_0 src1_sel:DWORD
	s_and_b64 vcc, exec, s[0:1]
	s_cbranch_vccnz .LBB39_1642
; %bb.1639:
	v_cmp_gt_i16_sdwa s[0:1], s18, v5 src0_sel:BYTE_0 src1_sel:DWORD
	s_and_b64 vcc, exec, s[0:1]
	s_cbranch_vccz .LBB39_1643
; %bb.1640:
	global_load_dwordx2 v[10:11], v[8:9], off
	s_movk_i32 s0, 0x7fff
	s_waitcnt vmcnt(0)
	v_xor_b32_e32 v7, v10, v11
	v_ffbh_i32_e32 v5, v11
	v_ashrrev_i32_e32 v7, 31, v7
	v_add_u32_e32 v5, -1, v5
	v_add_u32_e32 v7, 32, v7
	v_min_u32_e32 v5, v5, v7
	v_lshlrev_b64 v[10:11], v5, v[10:11]
	v_min_u32_e32 v7, 1, v10
	v_or_b32_e32 v7, v11, v7
	v_cvt_f32_i32_e32 v7, v7
	v_sub_u32_e32 v5, 32, v5
	v_ldexp_f32 v5, v7, v5
	v_bfe_u32 v7, v5, 16, 1
	v_add3_u32 v5, v5, v7, s0
	v_lshrrev_b32_e32 v10, 16, v5
	s_mov_b64 s[0:1], 0
	s_branch .LBB39_1644
.LBB39_1641:
	s_mov_b64 s[0:1], -1
                                        ; implicit-def: $vgpr10
	s_branch .LBB39_1650
.LBB39_1642:
	s_mov_b64 s[0:1], -1
                                        ; implicit-def: $vgpr10
	s_branch .LBB39_1647
.LBB39_1643:
	s_mov_b64 s[0:1], -1
                                        ; implicit-def: $vgpr10
.LBB39_1644:
	s_andn2_b64 vcc, exec, s[0:1]
	s_cbranch_vccnz .LBB39_1646
; %bb.1645:
	global_load_dword v5, v[8:9], off
	s_movk_i32 s0, 0x7fff
	s_waitcnt vmcnt(0)
	v_cvt_f32_i32_e32 v5, v5
	v_bfe_u32 v7, v5, 16, 1
	v_add3_u32 v5, v5, v7, s0
	v_lshrrev_b32_e32 v10, 16, v5
.LBB39_1646:
	s_mov_b64 s[0:1], 0
.LBB39_1647:
	s_andn2_b64 vcc, exec, s[0:1]
	s_cbranch_vccnz .LBB39_1649
; %bb.1648:
	global_load_sshort v5, v[8:9], off
	s_movk_i32 s0, 0x7fff
	s_waitcnt vmcnt(0)
	v_cvt_f32_i32_e32 v5, v5
	v_bfe_u32 v7, v5, 16, 1
	v_add3_u32 v5, v5, v7, s0
	v_lshrrev_b32_e32 v10, 16, v5
.LBB39_1649:
	s_mov_b64 s[0:1], 0
.LBB39_1650:
	s_andn2_b64 vcc, exec, s[0:1]
	s_cbranch_vccnz .LBB39_1656
; %bb.1651:
	v_mov_b32_e32 v5, 0
	v_cmp_gt_i16_sdwa s[0:1], s18, v5 src0_sel:BYTE_0 src1_sel:DWORD
	s_and_b64 vcc, exec, s[0:1]
	s_cbranch_vccz .LBB39_1653
; %bb.1652:
	global_load_sbyte v5, v[8:9], off
	s_movk_i32 s0, 0x7fff
	s_waitcnt vmcnt(0)
	v_cvt_f32_i32_e32 v5, v5
	v_bfe_u32 v7, v5, 16, 1
	v_add3_u32 v5, v5, v7, s0
	v_lshrrev_b32_e32 v10, 16, v5
	s_mov_b64 s[0:1], 0
	s_branch .LBB39_1654
.LBB39_1653:
	s_mov_b64 s[0:1], -1
                                        ; implicit-def: $vgpr10
.LBB39_1654:
	s_andn2_b64 vcc, exec, s[0:1]
	s_cbranch_vccnz .LBB39_1656
; %bb.1655:
	global_load_ubyte v5, v[8:9], off
	s_movk_i32 s0, 0x7fff
	s_waitcnt vmcnt(0)
	v_cvt_f32_ubyte0_e32 v5, v5
	v_bfe_u32 v7, v5, 16, 1
	v_add3_u32 v5, v5, v7, s0
	v_lshrrev_b32_e32 v10, 16, v5
.LBB39_1656:
	s_mov_b64 s[10:11], -1
.LBB39_1657:
	s_andn2_b64 vcc, exec, s[10:11]
	s_cbranch_vccnz .LBB39_2043
; %bb.1658:
	s_load_dword s0, s[4:5], 0x160
	s_load_dword s1, s[34:35], 0x15c
	v_mov_b32_e32 v5, 0xffff8000
	v_mov_b32_e32 v7, s9
	v_add_co_u32_e32 v6, vcc, s8, v6
	s_waitcnt lgkmcnt(0)
	s_lshr_b32 s0, s0, 16
	s_and_b32 s16, s1, 0xff
	s_waitcnt vmcnt(0)
	v_and_b32_e32 v8, 0x7fff, v1
	v_and_b32_e32 v1, s0, v5
	v_addc_co_u32_e32 v7, vcc, 0, v7, vcc
	v_cmp_lt_i16_e64 s[4:5], s16, 11
	v_or_b32_e32 v5, v8, v1
	s_and_b64 vcc, exec, s[4:5]
	s_cbranch_vccnz .LBB39_1665
; %bb.1659:
	v_cmp_gt_i16_e64 s[0:1], s16, 25
	s_mov_b64 s[12:13], -1
	s_mov_b64 s[6:7], 0
	s_and_b64 vcc, exec, s[0:1]
	s_mov_b64 s[10:11], 0
	s_mov_b64 s[0:1], 0
	s_cbranch_vccz .LBB39_1697
; %bb.1660:
	v_cmp_gt_i16_e64 s[0:1], s16, 28
	s_and_b64 vcc, exec, s[0:1]
	s_cbranch_vccz .LBB39_1666
; %bb.1661:
	v_cmp_gt_i16_e64 s[0:1], s16, 43
	s_and_b64 vcc, exec, s[0:1]
	;; [unrolled: 4-line block ×3, first 2 shown]
	s_cbranch_vccz .LBB39_1669
; %bb.1663:
	v_cmp_eq_u16_e64 s[10:11], s16, 46
	s_mov_b64 s[0:1], -1
	s_mov_b64 s[12:13], 0
	s_and_b64 vcc, exec, s[10:11]
	s_mov_b64 s[10:11], 0
	s_cbranch_vccz .LBB39_1670
; %bb.1664:
	v_and_b32_e32 v9, 0xffff, v5
	global_store_dword v[6:7], v9, off
	s_mov_b64 s[0:1], 0
	s_mov_b64 s[10:11], -1
	s_branch .LBB39_1670
.LBB39_1665:
	s_mov_b64 s[0:1], -1
	s_mov_b64 s[10:11], 0
	s_branch .LBB39_1741
.LBB39_1666:
	s_mov_b64 s[0:1], 0
	s_branch .LBB39_1680
.LBB39_1667:
	s_mov_b64 s[0:1], 0
	s_branch .LBB39_1676
.LBB39_1668:
	s_trap 2
	s_or_b64 s[2:3], s[2:3], exec
                                        ; implicit-def: $vgpr10
	s_cbranch_execz .LBB39_1606
	s_branch .LBB39_1607
.LBB39_1669:
	s_mov_b64 s[0:1], 0
.LBB39_1670:
	s_and_b64 vcc, exec, s[12:13]
	s_cbranch_vccz .LBB39_1675
; %bb.1671:
	v_cmp_eq_u16_e64 s[12:13], s16, 44
	s_mov_b64 s[0:1], -1
	s_and_b64 vcc, exec, s[12:13]
	s_cbranch_vccz .LBB39_1675
; %bb.1672:
	v_and_b32_e32 v11, 0xffff, v5
	v_bfe_u32 v9, v11, 7, 8
	s_movk_i32 s0, 0xff
	v_cmp_ne_u32_e32 vcc, s0, v9
	v_mov_b32_e32 v13, 0xff
	s_and_saveexec_b64 s[10:11], vcc
; %bb.1673:
	v_lshlrev_b32_e32 v14, 16, v11
	s_mov_b32 s0, 0x3f0000
	v_lshrrev_b32_e32 v13, 7, v11
	v_and_b32_e32 v11, 64, v11
	v_and_or_b32 v9, v14, s0, v9
	v_cmp_ne_u32_e32 vcc, 0, v11
	v_cmp_ne_u32_e64 s[0:1], 0, v9
	s_and_b64 s[0:1], vcc, s[0:1]
	v_cndmask_b32_e64 v9, 0, 1, s[0:1]
	v_add_u32_e32 v13, v13, v9
; %bb.1674:
	s_or_b64 exec, exec, s[10:11]
	s_mov_b64 s[0:1], 0
	s_mov_b64 s[10:11], -1
	global_store_byte v[6:7], v13, off
.LBB39_1675:
	s_mov_b64 s[12:13], 0
.LBB39_1676:
	s_and_b64 vcc, exec, s[12:13]
	s_cbranch_vccz .LBB39_1679
; %bb.1677:
	v_cmp_eq_u16_e64 s[12:13], s16, 29
	s_mov_b64 s[0:1], -1
	s_and_b64 vcc, exec, s[12:13]
	s_cbranch_vccz .LBB39_1679
; %bb.1678:
	v_lshlrev_b32_e32 v9, 16, v5
	v_trunc_f32_e32 v9, v9
	v_mul_f32_e32 v11, 0x2f800000, v9
	v_floor_f32_e32 v11, v11
	v_fmac_f32_e32 v9, 0xcf800000, v11
	v_cvt_u32_f32_e32 v15, v11
	v_cvt_u32_f32_e32 v14, v9
	s_mov_b64 s[0:1], 0
	s_mov_b64 s[10:11], -1
	s_mov_b64 s[12:13], 0
	global_store_dwordx2 v[6:7], v[14:15], off
	s_branch .LBB39_1680
.LBB39_1679:
	s_mov_b64 s[12:13], 0
.LBB39_1680:
	s_and_b64 vcc, exec, s[12:13]
	s_cbranch_vccz .LBB39_1696
; %bb.1681:
	v_cmp_lt_i16_e64 s[12:13], s16, 27
	s_mov_b64 s[10:11], -1
	s_and_b64 vcc, exec, s[12:13]
	s_cbranch_vccnz .LBB39_1687
; %bb.1682:
	v_cmp_gt_i16_e64 s[12:13], s16, 27
	s_and_b64 vcc, exec, s[12:13]
	s_cbranch_vccz .LBB39_1684
; %bb.1683:
	v_lshlrev_b32_e32 v9, 16, v5
	v_cvt_u32_f32_e32 v9, v9
	s_mov_b64 s[10:11], 0
	global_store_dword v[6:7], v9, off
.LBB39_1684:
	s_andn2_b64 vcc, exec, s[10:11]
	s_cbranch_vccnz .LBB39_1686
; %bb.1685:
	v_lshlrev_b32_e32 v9, 16, v5
	v_cvt_u32_f32_e32 v9, v9
	global_store_short v[6:7], v9, off
.LBB39_1686:
	s_mov_b64 s[10:11], 0
.LBB39_1687:
	s_andn2_b64 vcc, exec, s[10:11]
	s_cbranch_vccnz .LBB39_1695
; %bb.1688:
	v_lshlrev_b32_e32 v13, 16, v5
	v_and_b32_e32 v11, 0x7fffffff, v13
	s_mov_b32 s10, 0x43800000
	v_cmp_gt_u32_e32 vcc, s10, v11
	v_mov_b32_e32 v14, 0x80
	s_and_saveexec_b64 s[10:11], vcc
	s_cbranch_execz .LBB39_1694
; %bb.1689:
	s_mov_b32 s12, 0x3bffffff
	v_and_b32_e32 v9, 0xffff, v5
	v_cmp_lt_u32_e32 vcc, s12, v11
	s_mov_b64 s[12:13], 0
                                        ; implicit-def: $vgpr11
	s_and_saveexec_b64 s[14:15], vcc
	s_xor_b64 s[14:15], exec, s[14:15]
	s_cbranch_execz .LBB39_1790
; %bb.1690:
	v_bfe_u32 v11, v9, 4, 1
	s_mov_b32 s17, 0x487ffff
	v_add3_u32 v11, v13, v11, s17
	s_mov_b64 s[12:13], exec
	v_lshrrev_b32_e32 v11, 20, v11
                                        ; implicit-def: $vgpr13
	s_or_saveexec_b64 s[14:15], s[14:15]
                                        ; implicit-def: $sgpr17
	s_xor_b64 exec, exec, s[14:15]
	s_cbranch_execnz .LBB39_1791
.LBB39_1691:
	s_or_b64 exec, exec, s[14:15]
	v_mov_b32_e32 v14, s17
	s_and_saveexec_b64 s[14:15], s[12:13]
.LBB39_1692:
	v_lshrrev_b32_e32 v9, 8, v9
	s_movk_i32 s12, 0x80
	v_and_or_b32 v14, v9, s12, v11
.LBB39_1693:
	s_or_b64 exec, exec, s[14:15]
.LBB39_1694:
	s_or_b64 exec, exec, s[10:11]
	global_store_byte v[6:7], v14, off
.LBB39_1695:
	s_mov_b64 s[10:11], -1
.LBB39_1696:
	s_mov_b64 s[12:13], 0
.LBB39_1697:
	s_and_b64 vcc, exec, s[12:13]
	s_cbranch_vccz .LBB39_1737
; %bb.1698:
	v_cmp_gt_i16_e64 s[12:13], s16, 22
	s_mov_b64 s[6:7], -1
	s_and_b64 vcc, exec, s[12:13]
	s_cbranch_vccz .LBB39_1730
; %bb.1699:
	v_cmp_lt_i16_e64 s[10:11], s16, 24
	s_and_b64 vcc, exec, s[10:11]
	s_cbranch_vccnz .LBB39_1719
; %bb.1700:
	v_cmp_gt_i16_e64 s[10:11], s16, 24
	s_and_b64 vcc, exec, s[10:11]
	s_cbranch_vccz .LBB39_1708
; %bb.1701:
	v_lshlrev_b32_e32 v13, 16, v5
	v_and_b32_e32 v11, 0x7fffffff, v13
	s_mov_b32 s6, 0x47800000
	v_cmp_gt_u32_e32 vcc, s6, v11
	v_mov_b32_e32 v14, 0x80
	s_and_saveexec_b64 s[6:7], vcc
	s_cbranch_execz .LBB39_1707
; %bb.1702:
	s_mov_b32 s10, 0x37ffffff
	v_and_b32_e32 v9, 0xffff, v5
	v_cmp_lt_u32_e32 vcc, s10, v11
	s_mov_b64 s[10:11], 0
                                        ; implicit-def: $vgpr11
	s_and_saveexec_b64 s[12:13], vcc
	s_xor_b64 s[12:13], exec, s[12:13]
	s_cbranch_execz .LBB39_1794
; %bb.1703:
	v_bfe_u32 v11, v9, 5, 1
	s_mov_b32 s14, 0x88fffff
	v_add3_u32 v11, v13, v11, s14
	s_mov_b64 s[10:11], exec
	v_lshrrev_b32_e32 v11, 21, v11
                                        ; implicit-def: $vgpr13
	s_or_saveexec_b64 s[12:13], s[12:13]
                                        ; implicit-def: $sgpr14
	s_xor_b64 exec, exec, s[12:13]
	s_cbranch_execnz .LBB39_1795
.LBB39_1704:
	s_or_b64 exec, exec, s[12:13]
	v_mov_b32_e32 v14, s14
	s_and_saveexec_b64 s[12:13], s[10:11]
.LBB39_1705:
	v_lshrrev_b32_e32 v9, 8, v9
	s_movk_i32 s10, 0x80
	v_and_or_b32 v14, v9, s10, v11
.LBB39_1706:
	s_or_b64 exec, exec, s[12:13]
.LBB39_1707:
	s_or_b64 exec, exec, s[6:7]
	s_mov_b64 s[6:7], 0
	global_store_byte v[6:7], v14, off
.LBB39_1708:
	s_and_b64 vcc, exec, s[6:7]
	s_cbranch_vccz .LBB39_1718
; %bb.1709:
	v_lshlrev_b32_e32 v13, 16, v5
	v_and_b32_e32 v14, 0x7fffffff, v13
	s_mov_b32 s6, 0x43f00000
	v_and_b32_e32 v9, 0xffff, v5
	v_cmp_gt_u32_e32 vcc, s6, v14
                                        ; implicit-def: $vgpr11
	s_and_saveexec_b64 s[6:7], vcc
	s_xor_b64 s[6:7], exec, s[6:7]
	s_cbranch_execz .LBB39_1715
; %bb.1710:
	s_mov_b32 s10, 0x3c7fffff
	v_cmp_lt_u32_e32 vcc, s10, v14
                                        ; implicit-def: $vgpr11
	s_and_saveexec_b64 s[10:11], vcc
	s_xor_b64 s[10:11], exec, s[10:11]
; %bb.1711:
	v_bfe_u32 v11, v9, 4, 1
	s_mov_b32 s12, 0x407ffff
	v_add3_u32 v11, v13, v11, s12
	v_lshrrev_b32_e32 v13, 20, v11
	v_and_b32_e32 v11, 0xff00000, v11
	s_mov_b32 s12, 0x7f00000
	v_mov_b32_e32 v14, 0x7e
	v_cmp_ne_u32_e32 vcc, s12, v11
	v_cndmask_b32_e32 v11, v14, v13, vcc
                                        ; implicit-def: $vgpr13
; %bb.1712:
	s_andn2_saveexec_b64 s[10:11], s[10:11]
; %bb.1713:
	s_mov_b32 s12, 0x46800000
	v_add_f32_e64 v11, |v13|, s12
; %bb.1714:
	s_or_b64 exec, exec, s[10:11]
                                        ; implicit-def: $vgpr14
.LBB39_1715:
	s_andn2_saveexec_b64 s[6:7], s[6:7]
; %bb.1716:
	s_mov_b32 s10, 0x7f800000
	v_mov_b32_e32 v11, 0x7e
	v_mov_b32_e32 v13, 0x7f
	v_cmp_lt_u32_e32 vcc, s10, v14
	v_cndmask_b32_e32 v11, v11, v13, vcc
; %bb.1717:
	s_or_b64 exec, exec, s[6:7]
	v_lshrrev_b32_e32 v9, 8, v9
	s_movk_i32 s6, 0x80
	v_and_or_b32 v9, v9, s6, v11
	global_store_byte v[6:7], v9, off
.LBB39_1718:
	s_mov_b64 s[6:7], 0
.LBB39_1719:
	s_andn2_b64 vcc, exec, s[6:7]
	s_cbranch_vccnz .LBB39_1729
; %bb.1720:
	v_lshlrev_b32_e32 v13, 16, v5
	v_and_b32_e32 v14, 0x7fffffff, v13
	s_mov_b32 s6, 0x47800000
	v_and_b32_e32 v9, 0xffff, v5
	v_cmp_gt_u32_e32 vcc, s6, v14
                                        ; implicit-def: $vgpr11
	s_and_saveexec_b64 s[6:7], vcc
	s_xor_b64 s[6:7], exec, s[6:7]
	s_cbranch_execz .LBB39_1726
; %bb.1721:
	s_mov_b32 s10, 0x387fffff
	v_cmp_lt_u32_e32 vcc, s10, v14
                                        ; implicit-def: $vgpr11
	s_and_saveexec_b64 s[10:11], vcc
	s_xor_b64 s[10:11], exec, s[10:11]
; %bb.1722:
	v_bfe_u32 v11, v9, 5, 1
	s_mov_b32 s12, 0x80fffff
	v_add3_u32 v11, v13, v11, s12
	v_lshrrev_b32_e32 v11, 21, v11
                                        ; implicit-def: $vgpr13
; %bb.1723:
	s_andn2_saveexec_b64 s[10:11], s[10:11]
; %bb.1724:
	s_mov_b32 s12, 0x43000000
	v_add_f32_e64 v11, |v13|, s12
; %bb.1725:
	s_or_b64 exec, exec, s[10:11]
                                        ; implicit-def: $vgpr14
.LBB39_1726:
	s_andn2_saveexec_b64 s[6:7], s[6:7]
; %bb.1727:
	s_mov_b32 s10, 0x7f800000
	v_mov_b32_e32 v11, 0x7c
	v_mov_b32_e32 v13, 0x7f
	v_cmp_lt_u32_e32 vcc, s10, v14
	v_cndmask_b32_e32 v11, v11, v13, vcc
; %bb.1728:
	s_or_b64 exec, exec, s[6:7]
	v_lshrrev_b32_e32 v9, 8, v9
	s_movk_i32 s6, 0x80
	v_and_or_b32 v9, v9, s6, v11
	global_store_byte v[6:7], v9, off
.LBB39_1729:
	s_mov_b64 s[6:7], 0
	s_mov_b64 s[10:11], -1
.LBB39_1730:
	s_andn2_b64 vcc, exec, s[6:7]
	s_mov_b64 s[6:7], 0
	s_cbranch_vccnz .LBB39_1737
; %bb.1731:
	v_cmp_gt_i16_e64 s[6:7], s16, 14
	s_mov_b64 s[12:13], -1
	s_and_b64 vcc, exec, s[6:7]
	s_cbranch_vccz .LBB39_1735
; %bb.1732:
	v_cmp_eq_u16_e64 s[6:7], s16, 15
	s_mov_b64 s[0:1], -1
	s_and_b64 vcc, exec, s[6:7]
	s_cbranch_vccz .LBB39_1734
; %bb.1733:
	global_store_short v[6:7], v5, off
	s_mov_b64 s[0:1], 0
	s_mov_b64 s[10:11], -1
.LBB39_1734:
	s_mov_b64 s[12:13], 0
.LBB39_1735:
	s_mov_b64 s[6:7], 0
	s_and_b64 vcc, exec, s[12:13]
	s_cbranch_vccz .LBB39_1737
; %bb.1736:
	v_cmp_ne_u16_e64 s[0:1], s16, 11
	s_mov_b64 s[6:7], -1
.LBB39_1737:
	s_and_b64 vcc, exec, s[0:1]
	s_cbranch_vccnz .LBB39_1793
; %bb.1738:
	s_andn2_b64 vcc, exec, s[6:7]
	s_cbranch_vccnz .LBB39_1740
.LBB39_1739:
	v_cmp_ne_u16_e32 vcc, 0, v8
	v_cndmask_b32_e64 v8, 0, 1, vcc
	s_mov_b64 s[10:11], -1
	global_store_byte v[6:7], v8, off
.LBB39_1740:
	s_mov_b64 s[0:1], 0
.LBB39_1741:
	s_and_b64 vcc, exec, s[0:1]
	s_cbranch_vccz .LBB39_1780
; %bb.1742:
	v_cmp_lt_i16_e64 s[6:7], s16, 5
	s_mov_b64 s[0:1], -1
	s_and_b64 vcc, exec, s[6:7]
	s_cbranch_vccnz .LBB39_1763
; %bb.1743:
	v_cmp_lt_i16_e64 s[6:7], s16, 8
	s_and_b64 vcc, exec, s[6:7]
	s_cbranch_vccnz .LBB39_1753
; %bb.1744:
	v_cmp_lt_i16_e64 s[6:7], s16, 9
	s_and_b64 vcc, exec, s[6:7]
	s_cbranch_vccnz .LBB39_1750
; %bb.1745:
	v_cmp_gt_i16_e64 s[6:7], s16, 9
	s_and_b64 vcc, exec, s[6:7]
	s_cbranch_vccz .LBB39_1747
; %bb.1746:
	v_lshlrev_b32_e32 v8, 16, v5
	v_mov_b32_e32 v16, 0
	v_cvt_f64_f32_e32 v[14:15], v8
	v_mov_b32_e32 v17, v16
	global_store_dwordx4 v[6:7], v[14:17], off
	s_mov_b64 s[0:1], 0
.LBB39_1747:
	s_andn2_b64 vcc, exec, s[0:1]
	s_cbranch_vccnz .LBB39_1749
; %bb.1748:
	v_lshlrev_b32_e32 v8, 16, v5
	v_mov_b32_e32 v9, 0
	global_store_dwordx2 v[6:7], v[8:9], off
.LBB39_1749:
	s_mov_b64 s[0:1], 0
.LBB39_1750:
	s_andn2_b64 vcc, exec, s[0:1]
	s_cbranch_vccnz .LBB39_1752
; %bb.1751:
	v_lshlrev_b32_e32 v8, 16, v5
	v_cvt_f16_f32_e32 v8, v8
	global_store_dword v[6:7], v8, off
.LBB39_1752:
	s_mov_b64 s[0:1], 0
.LBB39_1753:
	s_andn2_b64 vcc, exec, s[0:1]
	s_cbranch_vccnz .LBB39_1762
; %bb.1754:
	v_cmp_lt_i16_e64 s[6:7], s16, 6
	s_mov_b64 s[0:1], -1
	s_and_b64 vcc, exec, s[6:7]
	s_cbranch_vccnz .LBB39_1760
; %bb.1755:
	v_cmp_gt_i16_e64 s[6:7], s16, 6
	s_and_b64 vcc, exec, s[6:7]
	s_cbranch_vccz .LBB39_1757
; %bb.1756:
	v_lshlrev_b32_e32 v8, 16, v5
	v_cvt_f64_f32_e32 v[8:9], v8
	global_store_dwordx2 v[6:7], v[8:9], off
	s_mov_b64 s[0:1], 0
.LBB39_1757:
	s_andn2_b64 vcc, exec, s[0:1]
	s_cbranch_vccnz .LBB39_1759
; %bb.1758:
	v_lshlrev_b32_e32 v8, 16, v5
	global_store_dword v[6:7], v8, off
.LBB39_1759:
	s_mov_b64 s[0:1], 0
.LBB39_1760:
	s_andn2_b64 vcc, exec, s[0:1]
	s_cbranch_vccnz .LBB39_1762
; %bb.1761:
	v_lshlrev_b32_e32 v8, 16, v5
	v_cvt_f16_f32_e32 v8, v8
	global_store_short v[6:7], v8, off
.LBB39_1762:
	s_mov_b64 s[0:1], 0
.LBB39_1763:
	s_andn2_b64 vcc, exec, s[0:1]
	s_cbranch_vccnz .LBB39_1779
; %bb.1764:
	v_cmp_lt_i16_e64 s[6:7], s16, 2
	s_mov_b64 s[0:1], -1
	s_and_b64 vcc, exec, s[6:7]
	s_cbranch_vccnz .LBB39_1774
; %bb.1765:
	v_cmp_lt_i16_e64 s[6:7], s16, 3
	s_and_b64 vcc, exec, s[6:7]
	s_cbranch_vccnz .LBB39_1771
; %bb.1766:
	v_cmp_gt_i16_e64 s[6:7], s16, 3
	s_and_b64 vcc, exec, s[6:7]
	s_cbranch_vccz .LBB39_1768
; %bb.1767:
	v_lshlrev_b32_e32 v8, 16, v5
	v_trunc_f32_e32 v8, v8
	s_mov_b32 s0, 0x2f800000
	v_mul_f32_e64 v9, |v8|, s0
	v_floor_f32_e32 v9, v9
	s_mov_b32 s0, 0xcf800000
	v_cvt_u32_f32_e32 v11, v9
	v_fma_f32 v9, v9, s0, |v8|
	v_cvt_u32_f32_e32 v9, v9
	v_ashrrev_i32_e32 v13, 31, v8
	v_xor_b32_e32 v11, v11, v13
	s_mov_b64 s[0:1], 0
	v_xor_b32_e32 v8, v9, v13
	v_sub_co_u32_e32 v8, vcc, v8, v13
	v_subb_co_u32_e32 v9, vcc, v11, v13, vcc
	global_store_dwordx2 v[6:7], v[8:9], off
.LBB39_1768:
	s_andn2_b64 vcc, exec, s[0:1]
	s_cbranch_vccnz .LBB39_1770
; %bb.1769:
	v_lshlrev_b32_e32 v8, 16, v5
	v_cvt_i32_f32_e32 v8, v8
	global_store_dword v[6:7], v8, off
.LBB39_1770:
	s_mov_b64 s[0:1], 0
.LBB39_1771:
	s_andn2_b64 vcc, exec, s[0:1]
	s_cbranch_vccnz .LBB39_1773
; %bb.1772:
	v_lshlrev_b32_e32 v8, 16, v5
	v_cvt_i32_f32_e32 v8, v8
	global_store_short v[6:7], v8, off
.LBB39_1773:
	s_mov_b64 s[0:1], 0
.LBB39_1774:
	s_andn2_b64 vcc, exec, s[0:1]
	s_cbranch_vccnz .LBB39_1779
; %bb.1775:
	v_cmp_gt_i16_e64 s[6:7], s16, 0
	s_mov_b64 s[0:1], -1
	s_and_b64 vcc, exec, s[6:7]
	v_lshlrev_b32_e32 v5, 16, v5
	s_cbranch_vccz .LBB39_1777
; %bb.1776:
	v_cvt_i32_f32_e32 v8, v5
	s_mov_b64 s[0:1], 0
	global_store_byte v[6:7], v8, off
.LBB39_1777:
	s_andn2_b64 vcc, exec, s[0:1]
	s_cbranch_vccnz .LBB39_1779
; %bb.1778:
	v_trunc_f32_e32 v5, v5
	s_mov_b32 s0, 0x2f800000
	v_mul_f32_e64 v8, |v5|, s0
	v_floor_f32_e32 v8, v8
	s_mov_b32 s0, 0xcf800000
	v_fma_f32 v8, v8, s0, |v5|
	v_cvt_u32_f32_e32 v8, v8
	v_ashrrev_i32_e32 v5, 31, v5
	v_xor_b32_e32 v8, v8, v5
	v_sub_u32_e32 v5, v8, v5
	global_store_byte v[6:7], v5, off
.LBB39_1779:
	s_mov_b64 s[10:11], -1
.LBB39_1780:
	s_andn2_b64 vcc, exec, s[10:11]
	s_cbranch_vccnz .LBB39_2043
; %bb.1781:
	v_mov_b32_e32 v5, s9
	v_add_co_u32_e32 v4, vcc, s8, v4
	v_and_b32_e32 v6, 0x7fff, v3
	v_addc_co_u32_e32 v5, vcc, 0, v5, vcc
	v_or_b32_e32 v3, v6, v1
	s_and_b64 vcc, exec, s[4:5]
	s_cbranch_vccnz .LBB39_1788
; %bb.1782:
	v_cmp_gt_i16_e64 s[0:1], s16, 25
	s_mov_b64 s[12:13], -1
	s_mov_b64 s[6:7], 0
	s_and_b64 vcc, exec, s[0:1]
	s_mov_b64 s[10:11], 0
	s_mov_b64 s[0:1], 0
	s_cbranch_vccz .LBB39_1824
; %bb.1783:
	v_cmp_gt_i16_e64 s[0:1], s16, 28
	s_and_b64 vcc, exec, s[0:1]
	s_cbranch_vccz .LBB39_1789
; %bb.1784:
	v_cmp_gt_i16_e64 s[0:1], s16, 43
	s_and_b64 vcc, exec, s[0:1]
	;; [unrolled: 4-line block ×3, first 2 shown]
	s_cbranch_vccz .LBB39_1796
; %bb.1786:
	v_cmp_eq_u16_e64 s[10:11], s16, 46
	s_mov_b64 s[0:1], -1
	s_mov_b64 s[12:13], 0
	s_and_b64 vcc, exec, s[10:11]
	s_mov_b64 s[10:11], 0
	s_cbranch_vccz .LBB39_1797
; %bb.1787:
	v_and_b32_e32 v7, 0xffff, v3
	global_store_dword v[4:5], v7, off
	s_mov_b64 s[0:1], 0
	s_mov_b64 s[10:11], -1
	s_branch .LBB39_1797
.LBB39_1788:
	s_mov_b64 s[0:1], -1
	s_mov_b64 s[10:11], 0
	s_branch .LBB39_1868
.LBB39_1789:
	s_mov_b64 s[0:1], 0
	s_branch .LBB39_1807
.LBB39_1790:
	s_or_saveexec_b64 s[14:15], s[14:15]
                                        ; implicit-def: $sgpr17
	s_xor_b64 exec, exec, s[14:15]
	s_cbranch_execz .LBB39_1691
.LBB39_1791:
	s_mov_b32 s17, 0x46000000
	v_add_f32_e64 v11, |v13|, s17
	v_and_b32_e32 v11, 0xff, v11
	v_cmp_ne_u32_e32 vcc, 0, v11
	s_andn2_b64 s[12:13], s[12:13], exec
	s_and_b64 s[18:19], vcc, exec
	s_mov_b32 s17, 0
	s_or_b64 s[12:13], s[12:13], s[18:19]
	s_or_b64 exec, exec, s[14:15]
	v_mov_b32_e32 v14, s17
	s_and_saveexec_b64 s[14:15], s[12:13]
	s_cbranch_execnz .LBB39_1692
	s_branch .LBB39_1693
.LBB39_1792:
	s_mov_b64 s[0:1], 0
	s_branch .LBB39_1803
.LBB39_1793:
	s_trap 2
	s_or_b64 s[2:3], s[2:3], exec
	s_cbranch_execz .LBB39_1739
	s_branch .LBB39_1740
.LBB39_1794:
	s_or_saveexec_b64 s[12:13], s[12:13]
                                        ; implicit-def: $sgpr14
	s_xor_b64 exec, exec, s[12:13]
	s_cbranch_execz .LBB39_1704
.LBB39_1795:
	s_mov_b32 s14, 0x42800000
	v_add_f32_e64 v11, |v13|, s14
	v_and_b32_e32 v11, 0xff, v11
	v_cmp_ne_u32_e32 vcc, 0, v11
	s_andn2_b64 s[10:11], s[10:11], exec
	s_and_b64 s[18:19], vcc, exec
	s_mov_b32 s14, 0
	s_or_b64 s[10:11], s[10:11], s[18:19]
	s_or_b64 exec, exec, s[12:13]
	v_mov_b32_e32 v14, s14
	s_and_saveexec_b64 s[12:13], s[10:11]
	s_cbranch_execnz .LBB39_1705
	s_branch .LBB39_1706
.LBB39_1796:
	s_mov_b64 s[0:1], 0
.LBB39_1797:
	s_and_b64 vcc, exec, s[12:13]
	s_cbranch_vccz .LBB39_1802
; %bb.1798:
	v_cmp_eq_u16_e64 s[12:13], s16, 44
	s_mov_b64 s[0:1], -1
	s_and_b64 vcc, exec, s[12:13]
	s_cbranch_vccz .LBB39_1802
; %bb.1799:
	v_and_b32_e32 v8, 0xffff, v3
	v_bfe_u32 v7, v8, 7, 8
	s_movk_i32 s0, 0xff
	v_cmp_ne_u32_e32 vcc, s0, v7
	v_mov_b32_e32 v9, 0xff
	s_and_saveexec_b64 s[10:11], vcc
; %bb.1800:
	v_lshlrev_b32_e32 v11, 16, v8
	s_mov_b32 s0, 0x3f0000
	v_lshrrev_b32_e32 v9, 7, v8
	v_and_b32_e32 v8, 64, v8
	v_and_or_b32 v7, v11, s0, v7
	v_cmp_ne_u32_e32 vcc, 0, v8
	v_cmp_ne_u32_e64 s[0:1], 0, v7
	s_and_b64 s[0:1], vcc, s[0:1]
	v_cndmask_b32_e64 v7, 0, 1, s[0:1]
	v_add_u32_e32 v9, v9, v7
; %bb.1801:
	s_or_b64 exec, exec, s[10:11]
	s_mov_b64 s[0:1], 0
	s_mov_b64 s[10:11], -1
	global_store_byte v[4:5], v9, off
.LBB39_1802:
	s_mov_b64 s[12:13], 0
.LBB39_1803:
	s_and_b64 vcc, exec, s[12:13]
	s_cbranch_vccz .LBB39_1806
; %bb.1804:
	v_cmp_eq_u16_e64 s[12:13], s16, 29
	s_mov_b64 s[0:1], -1
	s_and_b64 vcc, exec, s[12:13]
	s_cbranch_vccz .LBB39_1806
; %bb.1805:
	v_lshlrev_b32_e32 v7, 16, v3
	v_trunc_f32_e32 v7, v7
	v_mul_f32_e32 v8, 0x2f800000, v7
	v_floor_f32_e32 v8, v8
	v_fmac_f32_e32 v7, 0xcf800000, v8
	v_cvt_u32_f32_e32 v9, v8
	v_cvt_u32_f32_e32 v8, v7
	s_mov_b64 s[0:1], 0
	s_mov_b64 s[10:11], -1
	s_mov_b64 s[12:13], 0
	global_store_dwordx2 v[4:5], v[8:9], off
	s_branch .LBB39_1807
.LBB39_1806:
	s_mov_b64 s[12:13], 0
.LBB39_1807:
	s_and_b64 vcc, exec, s[12:13]
	s_cbranch_vccz .LBB39_1823
; %bb.1808:
	v_cmp_lt_i16_e64 s[12:13], s16, 27
	s_mov_b64 s[10:11], -1
	s_and_b64 vcc, exec, s[12:13]
	s_cbranch_vccnz .LBB39_1814
; %bb.1809:
	v_cmp_gt_i16_e64 s[12:13], s16, 27
	s_and_b64 vcc, exec, s[12:13]
	s_cbranch_vccz .LBB39_1811
; %bb.1810:
	v_lshlrev_b32_e32 v7, 16, v3
	v_cvt_u32_f32_e32 v7, v7
	s_mov_b64 s[10:11], 0
	global_store_dword v[4:5], v7, off
.LBB39_1811:
	s_andn2_b64 vcc, exec, s[10:11]
	s_cbranch_vccnz .LBB39_1813
; %bb.1812:
	v_lshlrev_b32_e32 v7, 16, v3
	v_cvt_u32_f32_e32 v7, v7
	global_store_short v[4:5], v7, off
.LBB39_1813:
	s_mov_b64 s[10:11], 0
.LBB39_1814:
	s_andn2_b64 vcc, exec, s[10:11]
	s_cbranch_vccnz .LBB39_1822
; %bb.1815:
	v_lshlrev_b32_e32 v9, 16, v3
	v_and_b32_e32 v8, 0x7fffffff, v9
	s_mov_b32 s10, 0x43800000
	v_cmp_gt_u32_e32 vcc, s10, v8
	v_mov_b32_e32 v11, 0x80
	s_and_saveexec_b64 s[10:11], vcc
	s_cbranch_execz .LBB39_1821
; %bb.1816:
	s_mov_b32 s12, 0x3bffffff
	v_and_b32_e32 v7, 0xffff, v3
	v_cmp_lt_u32_e32 vcc, s12, v8
	s_mov_b64 s[12:13], 0
                                        ; implicit-def: $vgpr8
	s_and_saveexec_b64 s[14:15], vcc
	s_xor_b64 s[14:15], exec, s[14:15]
	s_cbranch_execz .LBB39_1917
; %bb.1817:
	v_bfe_u32 v8, v7, 4, 1
	s_mov_b32 s17, 0x487ffff
	v_add3_u32 v8, v9, v8, s17
	s_mov_b64 s[12:13], exec
	v_lshrrev_b32_e32 v8, 20, v8
                                        ; implicit-def: $vgpr9
	s_or_saveexec_b64 s[14:15], s[14:15]
                                        ; implicit-def: $sgpr17
	s_xor_b64 exec, exec, s[14:15]
	s_cbranch_execnz .LBB39_1918
.LBB39_1818:
	s_or_b64 exec, exec, s[14:15]
	v_mov_b32_e32 v11, s17
	s_and_saveexec_b64 s[14:15], s[12:13]
.LBB39_1819:
	v_lshrrev_b32_e32 v7, 8, v7
	s_movk_i32 s12, 0x80
	v_and_or_b32 v11, v7, s12, v8
.LBB39_1820:
	s_or_b64 exec, exec, s[14:15]
.LBB39_1821:
	s_or_b64 exec, exec, s[10:11]
	global_store_byte v[4:5], v11, off
.LBB39_1822:
	s_mov_b64 s[10:11], -1
.LBB39_1823:
	s_mov_b64 s[12:13], 0
.LBB39_1824:
	s_and_b64 vcc, exec, s[12:13]
	s_cbranch_vccz .LBB39_1864
; %bb.1825:
	v_cmp_gt_i16_e64 s[12:13], s16, 22
	s_mov_b64 s[6:7], -1
	s_and_b64 vcc, exec, s[12:13]
	s_cbranch_vccz .LBB39_1857
; %bb.1826:
	v_cmp_lt_i16_e64 s[10:11], s16, 24
	s_and_b64 vcc, exec, s[10:11]
	s_cbranch_vccnz .LBB39_1846
; %bb.1827:
	v_cmp_gt_i16_e64 s[10:11], s16, 24
	s_and_b64 vcc, exec, s[10:11]
	s_cbranch_vccz .LBB39_1835
; %bb.1828:
	v_lshlrev_b32_e32 v9, 16, v3
	v_and_b32_e32 v8, 0x7fffffff, v9
	s_mov_b32 s6, 0x47800000
	v_cmp_gt_u32_e32 vcc, s6, v8
	v_mov_b32_e32 v11, 0x80
	s_and_saveexec_b64 s[6:7], vcc
	s_cbranch_execz .LBB39_1834
; %bb.1829:
	s_mov_b32 s10, 0x37ffffff
	v_and_b32_e32 v7, 0xffff, v3
	v_cmp_lt_u32_e32 vcc, s10, v8
	s_mov_b64 s[10:11], 0
                                        ; implicit-def: $vgpr8
	s_and_saveexec_b64 s[12:13], vcc
	s_xor_b64 s[12:13], exec, s[12:13]
	s_cbranch_execz .LBB39_1921
; %bb.1830:
	v_bfe_u32 v8, v7, 5, 1
	s_mov_b32 s14, 0x88fffff
	v_add3_u32 v8, v9, v8, s14
	s_mov_b64 s[10:11], exec
	v_lshrrev_b32_e32 v8, 21, v8
                                        ; implicit-def: $vgpr9
	s_or_saveexec_b64 s[12:13], s[12:13]
                                        ; implicit-def: $sgpr14
	s_xor_b64 exec, exec, s[12:13]
	s_cbranch_execnz .LBB39_1922
.LBB39_1831:
	s_or_b64 exec, exec, s[12:13]
	v_mov_b32_e32 v11, s14
	s_and_saveexec_b64 s[12:13], s[10:11]
.LBB39_1832:
	v_lshrrev_b32_e32 v7, 8, v7
	s_movk_i32 s10, 0x80
	v_and_or_b32 v11, v7, s10, v8
.LBB39_1833:
	s_or_b64 exec, exec, s[12:13]
.LBB39_1834:
	s_or_b64 exec, exec, s[6:7]
	s_mov_b64 s[6:7], 0
	global_store_byte v[4:5], v11, off
.LBB39_1835:
	s_and_b64 vcc, exec, s[6:7]
	s_cbranch_vccz .LBB39_1845
; %bb.1836:
	v_lshlrev_b32_e32 v9, 16, v3
	v_and_b32_e32 v11, 0x7fffffff, v9
	s_mov_b32 s6, 0x43f00000
	v_and_b32_e32 v7, 0xffff, v3
	v_cmp_gt_u32_e32 vcc, s6, v11
                                        ; implicit-def: $vgpr8
	s_and_saveexec_b64 s[6:7], vcc
	s_xor_b64 s[6:7], exec, s[6:7]
	s_cbranch_execz .LBB39_1842
; %bb.1837:
	s_mov_b32 s10, 0x3c7fffff
	v_cmp_lt_u32_e32 vcc, s10, v11
                                        ; implicit-def: $vgpr8
	s_and_saveexec_b64 s[10:11], vcc
	s_xor_b64 s[10:11], exec, s[10:11]
; %bb.1838:
	v_bfe_u32 v8, v7, 4, 1
	s_mov_b32 s12, 0x407ffff
	v_add3_u32 v8, v9, v8, s12
	v_lshrrev_b32_e32 v9, 20, v8
	v_and_b32_e32 v8, 0xff00000, v8
	s_mov_b32 s12, 0x7f00000
	v_mov_b32_e32 v11, 0x7e
	v_cmp_ne_u32_e32 vcc, s12, v8
	v_cndmask_b32_e32 v8, v11, v9, vcc
                                        ; implicit-def: $vgpr9
; %bb.1839:
	s_andn2_saveexec_b64 s[10:11], s[10:11]
; %bb.1840:
	s_mov_b32 s12, 0x46800000
	v_add_f32_e64 v8, |v9|, s12
; %bb.1841:
	s_or_b64 exec, exec, s[10:11]
                                        ; implicit-def: $vgpr11
.LBB39_1842:
	s_andn2_saveexec_b64 s[6:7], s[6:7]
; %bb.1843:
	s_mov_b32 s10, 0x7f800000
	v_mov_b32_e32 v8, 0x7e
	v_mov_b32_e32 v9, 0x7f
	v_cmp_lt_u32_e32 vcc, s10, v11
	v_cndmask_b32_e32 v8, v8, v9, vcc
; %bb.1844:
	s_or_b64 exec, exec, s[6:7]
	v_lshrrev_b32_e32 v7, 8, v7
	s_movk_i32 s6, 0x80
	v_and_or_b32 v7, v7, s6, v8
	global_store_byte v[4:5], v7, off
.LBB39_1845:
	s_mov_b64 s[6:7], 0
.LBB39_1846:
	s_andn2_b64 vcc, exec, s[6:7]
	s_cbranch_vccnz .LBB39_1856
; %bb.1847:
	v_lshlrev_b32_e32 v9, 16, v3
	v_and_b32_e32 v11, 0x7fffffff, v9
	s_mov_b32 s6, 0x47800000
	v_and_b32_e32 v7, 0xffff, v3
	v_cmp_gt_u32_e32 vcc, s6, v11
                                        ; implicit-def: $vgpr8
	s_and_saveexec_b64 s[6:7], vcc
	s_xor_b64 s[6:7], exec, s[6:7]
	s_cbranch_execz .LBB39_1853
; %bb.1848:
	s_mov_b32 s10, 0x387fffff
	v_cmp_lt_u32_e32 vcc, s10, v11
                                        ; implicit-def: $vgpr8
	s_and_saveexec_b64 s[10:11], vcc
	s_xor_b64 s[10:11], exec, s[10:11]
; %bb.1849:
	v_bfe_u32 v8, v7, 5, 1
	s_mov_b32 s12, 0x80fffff
	v_add3_u32 v8, v9, v8, s12
	v_lshrrev_b32_e32 v8, 21, v8
                                        ; implicit-def: $vgpr9
; %bb.1850:
	s_andn2_saveexec_b64 s[10:11], s[10:11]
; %bb.1851:
	s_mov_b32 s12, 0x43000000
	v_add_f32_e64 v8, |v9|, s12
; %bb.1852:
	s_or_b64 exec, exec, s[10:11]
                                        ; implicit-def: $vgpr11
.LBB39_1853:
	s_andn2_saveexec_b64 s[6:7], s[6:7]
; %bb.1854:
	s_mov_b32 s10, 0x7f800000
	v_mov_b32_e32 v8, 0x7c
	v_mov_b32_e32 v9, 0x7f
	v_cmp_lt_u32_e32 vcc, s10, v11
	v_cndmask_b32_e32 v8, v8, v9, vcc
; %bb.1855:
	s_or_b64 exec, exec, s[6:7]
	v_lshrrev_b32_e32 v7, 8, v7
	s_movk_i32 s6, 0x80
	v_and_or_b32 v7, v7, s6, v8
	global_store_byte v[4:5], v7, off
.LBB39_1856:
	s_mov_b64 s[6:7], 0
	s_mov_b64 s[10:11], -1
.LBB39_1857:
	s_andn2_b64 vcc, exec, s[6:7]
	s_mov_b64 s[6:7], 0
	s_cbranch_vccnz .LBB39_1864
; %bb.1858:
	v_cmp_gt_i16_e64 s[6:7], s16, 14
	s_mov_b64 s[12:13], -1
	s_and_b64 vcc, exec, s[6:7]
	s_cbranch_vccz .LBB39_1862
; %bb.1859:
	v_cmp_eq_u16_e64 s[6:7], s16, 15
	s_mov_b64 s[0:1], -1
	s_and_b64 vcc, exec, s[6:7]
	s_cbranch_vccz .LBB39_1861
; %bb.1860:
	global_store_short v[4:5], v3, off
	s_mov_b64 s[0:1], 0
	s_mov_b64 s[10:11], -1
.LBB39_1861:
	s_mov_b64 s[12:13], 0
.LBB39_1862:
	s_mov_b64 s[6:7], 0
	s_and_b64 vcc, exec, s[12:13]
	s_cbranch_vccz .LBB39_1864
; %bb.1863:
	v_cmp_ne_u16_e64 s[0:1], s16, 11
	s_mov_b64 s[6:7], -1
.LBB39_1864:
	s_and_b64 vcc, exec, s[0:1]
	s_cbranch_vccnz .LBB39_1920
; %bb.1865:
	s_andn2_b64 vcc, exec, s[6:7]
	s_cbranch_vccnz .LBB39_1867
.LBB39_1866:
	v_cmp_ne_u16_e32 vcc, 0, v6
	v_cndmask_b32_e64 v6, 0, 1, vcc
	s_mov_b64 s[10:11], -1
	global_store_byte v[4:5], v6, off
.LBB39_1867:
	s_mov_b64 s[0:1], 0
.LBB39_1868:
	s_and_b64 vcc, exec, s[0:1]
	s_cbranch_vccz .LBB39_1907
; %bb.1869:
	v_cmp_lt_i16_e64 s[6:7], s16, 5
	s_mov_b64 s[0:1], -1
	s_and_b64 vcc, exec, s[6:7]
	s_cbranch_vccnz .LBB39_1890
; %bb.1870:
	v_cmp_lt_i16_e64 s[6:7], s16, 8
	s_and_b64 vcc, exec, s[6:7]
	s_cbranch_vccnz .LBB39_1880
; %bb.1871:
	v_cmp_lt_i16_e64 s[6:7], s16, 9
	s_and_b64 vcc, exec, s[6:7]
	s_cbranch_vccnz .LBB39_1877
; %bb.1872:
	v_cmp_gt_i16_e64 s[6:7], s16, 9
	s_and_b64 vcc, exec, s[6:7]
	s_cbranch_vccz .LBB39_1874
; %bb.1873:
	v_lshlrev_b32_e32 v6, 16, v3
	v_mov_b32_e32 v8, 0
	v_cvt_f64_f32_e32 v[6:7], v6
	v_mov_b32_e32 v9, v8
	global_store_dwordx4 v[4:5], v[6:9], off
	s_mov_b64 s[0:1], 0
.LBB39_1874:
	s_andn2_b64 vcc, exec, s[0:1]
	s_cbranch_vccnz .LBB39_1876
; %bb.1875:
	v_lshlrev_b32_e32 v6, 16, v3
	v_mov_b32_e32 v7, 0
	global_store_dwordx2 v[4:5], v[6:7], off
.LBB39_1876:
	s_mov_b64 s[0:1], 0
.LBB39_1877:
	s_andn2_b64 vcc, exec, s[0:1]
	s_cbranch_vccnz .LBB39_1879
; %bb.1878:
	v_lshlrev_b32_e32 v6, 16, v3
	v_cvt_f16_f32_e32 v6, v6
	global_store_dword v[4:5], v6, off
.LBB39_1879:
	s_mov_b64 s[0:1], 0
.LBB39_1880:
	s_andn2_b64 vcc, exec, s[0:1]
	s_cbranch_vccnz .LBB39_1889
; %bb.1881:
	v_cmp_lt_i16_e64 s[6:7], s16, 6
	s_mov_b64 s[0:1], -1
	s_and_b64 vcc, exec, s[6:7]
	s_cbranch_vccnz .LBB39_1887
; %bb.1882:
	v_cmp_gt_i16_e64 s[6:7], s16, 6
	s_and_b64 vcc, exec, s[6:7]
	s_cbranch_vccz .LBB39_1884
; %bb.1883:
	v_lshlrev_b32_e32 v6, 16, v3
	v_cvt_f64_f32_e32 v[6:7], v6
	global_store_dwordx2 v[4:5], v[6:7], off
	s_mov_b64 s[0:1], 0
.LBB39_1884:
	s_andn2_b64 vcc, exec, s[0:1]
	s_cbranch_vccnz .LBB39_1886
; %bb.1885:
	v_lshlrev_b32_e32 v6, 16, v3
	global_store_dword v[4:5], v6, off
.LBB39_1886:
	s_mov_b64 s[0:1], 0
.LBB39_1887:
	s_andn2_b64 vcc, exec, s[0:1]
	s_cbranch_vccnz .LBB39_1889
; %bb.1888:
	v_lshlrev_b32_e32 v6, 16, v3
	v_cvt_f16_f32_e32 v6, v6
	global_store_short v[4:5], v6, off
.LBB39_1889:
	s_mov_b64 s[0:1], 0
.LBB39_1890:
	s_andn2_b64 vcc, exec, s[0:1]
	s_cbranch_vccnz .LBB39_1906
; %bb.1891:
	v_cmp_lt_i16_e64 s[6:7], s16, 2
	s_mov_b64 s[0:1], -1
	s_and_b64 vcc, exec, s[6:7]
	s_cbranch_vccnz .LBB39_1901
; %bb.1892:
	v_cmp_lt_i16_e64 s[6:7], s16, 3
	s_and_b64 vcc, exec, s[6:7]
	s_cbranch_vccnz .LBB39_1898
; %bb.1893:
	v_cmp_gt_i16_e64 s[6:7], s16, 3
	s_and_b64 vcc, exec, s[6:7]
	s_cbranch_vccz .LBB39_1895
; %bb.1894:
	v_lshlrev_b32_e32 v6, 16, v3
	v_trunc_f32_e32 v6, v6
	s_mov_b32 s0, 0x2f800000
	v_mul_f32_e64 v7, |v6|, s0
	v_floor_f32_e32 v7, v7
	s_mov_b32 s0, 0xcf800000
	v_cvt_u32_f32_e32 v8, v7
	v_fma_f32 v7, v7, s0, |v6|
	v_cvt_u32_f32_e32 v7, v7
	v_ashrrev_i32_e32 v9, 31, v6
	v_xor_b32_e32 v8, v8, v9
	s_mov_b64 s[0:1], 0
	v_xor_b32_e32 v6, v7, v9
	v_sub_co_u32_e32 v6, vcc, v6, v9
	v_subb_co_u32_e32 v7, vcc, v8, v9, vcc
	global_store_dwordx2 v[4:5], v[6:7], off
.LBB39_1895:
	s_andn2_b64 vcc, exec, s[0:1]
	s_cbranch_vccnz .LBB39_1897
; %bb.1896:
	v_lshlrev_b32_e32 v6, 16, v3
	v_cvt_i32_f32_e32 v6, v6
	global_store_dword v[4:5], v6, off
.LBB39_1897:
	s_mov_b64 s[0:1], 0
.LBB39_1898:
	s_andn2_b64 vcc, exec, s[0:1]
	s_cbranch_vccnz .LBB39_1900
; %bb.1899:
	v_lshlrev_b32_e32 v6, 16, v3
	v_cvt_i32_f32_e32 v6, v6
	global_store_short v[4:5], v6, off
.LBB39_1900:
	s_mov_b64 s[0:1], 0
.LBB39_1901:
	s_andn2_b64 vcc, exec, s[0:1]
	s_cbranch_vccnz .LBB39_1906
; %bb.1902:
	v_cmp_gt_i16_e64 s[6:7], s16, 0
	s_mov_b64 s[0:1], -1
	s_and_b64 vcc, exec, s[6:7]
	v_lshlrev_b32_e32 v3, 16, v3
	s_cbranch_vccz .LBB39_1904
; %bb.1903:
	v_cvt_i32_f32_e32 v6, v3
	s_mov_b64 s[0:1], 0
	global_store_byte v[4:5], v6, off
.LBB39_1904:
	s_andn2_b64 vcc, exec, s[0:1]
	s_cbranch_vccnz .LBB39_1906
; %bb.1905:
	v_trunc_f32_e32 v3, v3
	s_mov_b32 s0, 0x2f800000
	v_mul_f32_e64 v6, |v3|, s0
	v_floor_f32_e32 v6, v6
	s_mov_b32 s0, 0xcf800000
	v_fma_f32 v6, v6, s0, |v3|
	v_cvt_u32_f32_e32 v6, v6
	v_ashrrev_i32_e32 v3, 31, v3
	v_xor_b32_e32 v6, v6, v3
	v_sub_u32_e32 v3, v6, v3
	global_store_byte v[4:5], v3, off
.LBB39_1906:
	s_mov_b64 s[10:11], -1
.LBB39_1907:
	s_andn2_b64 vcc, exec, s[10:11]
	s_cbranch_vccnz .LBB39_2043
; %bb.1908:
	v_mov_b32_e32 v3, s9
	v_add_co_u32_e32 v2, vcc, s8, v2
	v_and_b32_e32 v5, 0x7fff, v12
	v_addc_co_u32_e32 v3, vcc, 0, v3, vcc
	v_or_b32_e32 v4, v5, v1
	s_and_b64 vcc, exec, s[4:5]
	s_cbranch_vccnz .LBB39_1915
; %bb.1909:
	v_cmp_gt_i16_e64 s[0:1], s16, 25
	s_mov_b64 s[12:13], -1
	s_mov_b64 s[6:7], 0
	s_and_b64 vcc, exec, s[0:1]
	s_mov_b64 s[10:11], 0
	s_mov_b64 s[0:1], 0
	s_cbranch_vccz .LBB39_1951
; %bb.1910:
	v_cmp_gt_i16_e64 s[0:1], s16, 28
	s_and_b64 vcc, exec, s[0:1]
	s_cbranch_vccz .LBB39_1916
; %bb.1911:
	v_cmp_gt_i16_e64 s[0:1], s16, 43
	s_and_b64 vcc, exec, s[0:1]
	;; [unrolled: 4-line block ×3, first 2 shown]
	s_cbranch_vccz .LBB39_1923
; %bb.1913:
	v_cmp_eq_u16_e64 s[10:11], s16, 46
	s_mov_b64 s[0:1], -1
	s_mov_b64 s[12:13], 0
	s_and_b64 vcc, exec, s[10:11]
	s_mov_b64 s[10:11], 0
	s_cbranch_vccz .LBB39_1924
; %bb.1914:
	v_and_b32_e32 v6, 0xffff, v4
	global_store_dword v[2:3], v6, off
	s_mov_b64 s[0:1], 0
	s_mov_b64 s[10:11], -1
	s_branch .LBB39_1924
.LBB39_1915:
	s_mov_b64 s[0:1], -1
	s_mov_b64 s[10:11], 0
	s_branch .LBB39_1995
.LBB39_1916:
	s_mov_b64 s[0:1], 0
	s_branch .LBB39_1934
.LBB39_1917:
	s_or_saveexec_b64 s[14:15], s[14:15]
                                        ; implicit-def: $sgpr17
	s_xor_b64 exec, exec, s[14:15]
	s_cbranch_execz .LBB39_1818
.LBB39_1918:
	s_mov_b32 s17, 0x46000000
	v_add_f32_e64 v8, |v9|, s17
	v_and_b32_e32 v8, 0xff, v8
	v_cmp_ne_u32_e32 vcc, 0, v8
	s_andn2_b64 s[12:13], s[12:13], exec
	s_and_b64 s[18:19], vcc, exec
	s_mov_b32 s17, 0
	s_or_b64 s[12:13], s[12:13], s[18:19]
	s_or_b64 exec, exec, s[14:15]
	v_mov_b32_e32 v11, s17
	s_and_saveexec_b64 s[14:15], s[12:13]
	s_cbranch_execnz .LBB39_1819
	s_branch .LBB39_1820
.LBB39_1919:
	s_mov_b64 s[0:1], 0
	s_branch .LBB39_1930
.LBB39_1920:
	s_trap 2
	s_or_b64 s[2:3], s[2:3], exec
	s_cbranch_execz .LBB39_1866
	s_branch .LBB39_1867
.LBB39_1921:
	s_or_saveexec_b64 s[12:13], s[12:13]
                                        ; implicit-def: $sgpr14
	s_xor_b64 exec, exec, s[12:13]
	s_cbranch_execz .LBB39_1831
.LBB39_1922:
	s_mov_b32 s14, 0x42800000
	v_add_f32_e64 v8, |v9|, s14
	v_and_b32_e32 v8, 0xff, v8
	v_cmp_ne_u32_e32 vcc, 0, v8
	s_andn2_b64 s[10:11], s[10:11], exec
	s_and_b64 s[18:19], vcc, exec
	s_mov_b32 s14, 0
	s_or_b64 s[10:11], s[10:11], s[18:19]
	s_or_b64 exec, exec, s[12:13]
	v_mov_b32_e32 v11, s14
	s_and_saveexec_b64 s[12:13], s[10:11]
	s_cbranch_execnz .LBB39_1832
	s_branch .LBB39_1833
.LBB39_1923:
	s_mov_b64 s[0:1], 0
.LBB39_1924:
	s_and_b64 vcc, exec, s[12:13]
	s_cbranch_vccz .LBB39_1929
; %bb.1925:
	v_cmp_eq_u16_e64 s[12:13], s16, 44
	s_mov_b64 s[0:1], -1
	s_and_b64 vcc, exec, s[12:13]
	s_cbranch_vccz .LBB39_1929
; %bb.1926:
	v_and_b32_e32 v7, 0xffff, v4
	v_bfe_u32 v6, v7, 7, 8
	s_movk_i32 s0, 0xff
	v_cmp_ne_u32_e32 vcc, s0, v6
	v_mov_b32_e32 v8, 0xff
	s_and_saveexec_b64 s[10:11], vcc
; %bb.1927:
	v_lshlrev_b32_e32 v9, 16, v7
	s_mov_b32 s0, 0x3f0000
	v_lshrrev_b32_e32 v8, 7, v7
	v_and_b32_e32 v7, 64, v7
	v_and_or_b32 v6, v9, s0, v6
	v_cmp_ne_u32_e32 vcc, 0, v7
	v_cmp_ne_u32_e64 s[0:1], 0, v6
	s_and_b64 s[0:1], vcc, s[0:1]
	v_cndmask_b32_e64 v6, 0, 1, s[0:1]
	v_add_u32_e32 v8, v8, v6
; %bb.1928:
	s_or_b64 exec, exec, s[10:11]
	s_mov_b64 s[0:1], 0
	s_mov_b64 s[10:11], -1
	global_store_byte v[2:3], v8, off
.LBB39_1929:
	s_mov_b64 s[12:13], 0
.LBB39_1930:
	s_and_b64 vcc, exec, s[12:13]
	s_cbranch_vccz .LBB39_1933
; %bb.1931:
	v_cmp_eq_u16_e64 s[12:13], s16, 29
	s_mov_b64 s[0:1], -1
	s_and_b64 vcc, exec, s[12:13]
	s_cbranch_vccz .LBB39_1933
; %bb.1932:
	v_lshlrev_b32_e32 v6, 16, v4
	v_trunc_f32_e32 v6, v6
	v_mul_f32_e32 v7, 0x2f800000, v6
	v_floor_f32_e32 v8, v7
	v_fmac_f32_e32 v6, 0xcf800000, v8
	v_cvt_u32_f32_e32 v7, v8
	v_cvt_u32_f32_e32 v6, v6
	s_mov_b64 s[0:1], 0
	s_mov_b64 s[10:11], -1
	s_mov_b64 s[12:13], 0
	global_store_dwordx2 v[2:3], v[6:7], off
	s_branch .LBB39_1934
.LBB39_1933:
	s_mov_b64 s[12:13], 0
.LBB39_1934:
	s_and_b64 vcc, exec, s[12:13]
	s_cbranch_vccz .LBB39_1950
; %bb.1935:
	v_cmp_lt_i16_e64 s[12:13], s16, 27
	s_mov_b64 s[10:11], -1
	s_and_b64 vcc, exec, s[12:13]
	s_cbranch_vccnz .LBB39_1941
; %bb.1936:
	v_cmp_gt_i16_e64 s[12:13], s16, 27
	s_and_b64 vcc, exec, s[12:13]
	s_cbranch_vccz .LBB39_1938
; %bb.1937:
	v_lshlrev_b32_e32 v6, 16, v4
	v_cvt_u32_f32_e32 v6, v6
	s_mov_b64 s[10:11], 0
	global_store_dword v[2:3], v6, off
.LBB39_1938:
	s_andn2_b64 vcc, exec, s[10:11]
	s_cbranch_vccnz .LBB39_1940
; %bb.1939:
	v_lshlrev_b32_e32 v6, 16, v4
	v_cvt_u32_f32_e32 v6, v6
	global_store_short v[2:3], v6, off
.LBB39_1940:
	s_mov_b64 s[10:11], 0
.LBB39_1941:
	s_andn2_b64 vcc, exec, s[10:11]
	s_cbranch_vccnz .LBB39_1949
; %bb.1942:
	v_lshlrev_b32_e32 v8, 16, v4
	v_and_b32_e32 v7, 0x7fffffff, v8
	s_mov_b32 s10, 0x43800000
	v_cmp_gt_u32_e32 vcc, s10, v7
	v_mov_b32_e32 v9, 0x80
	s_and_saveexec_b64 s[10:11], vcc
	s_cbranch_execz .LBB39_1948
; %bb.1943:
	s_mov_b32 s12, 0x3bffffff
	v_and_b32_e32 v6, 0xffff, v4
	v_cmp_lt_u32_e32 vcc, s12, v7
	s_mov_b64 s[12:13], 0
                                        ; implicit-def: $vgpr7
	s_and_saveexec_b64 s[14:15], vcc
	s_xor_b64 s[14:15], exec, s[14:15]
	s_cbranch_execz .LBB39_2090
; %bb.1944:
	v_bfe_u32 v7, v6, 4, 1
	s_mov_b32 s17, 0x487ffff
	v_add3_u32 v7, v8, v7, s17
	s_mov_b64 s[12:13], exec
	v_lshrrev_b32_e32 v7, 20, v7
                                        ; implicit-def: $vgpr8
	s_or_saveexec_b64 s[14:15], s[14:15]
                                        ; implicit-def: $sgpr17
	s_xor_b64 exec, exec, s[14:15]
	s_cbranch_execnz .LBB39_2091
.LBB39_1945:
	s_or_b64 exec, exec, s[14:15]
	v_mov_b32_e32 v9, s17
	s_and_saveexec_b64 s[14:15], s[12:13]
.LBB39_1946:
	v_lshrrev_b32_e32 v6, 8, v6
	s_movk_i32 s12, 0x80
	v_and_or_b32 v9, v6, s12, v7
.LBB39_1947:
	s_or_b64 exec, exec, s[14:15]
.LBB39_1948:
	s_or_b64 exec, exec, s[10:11]
	global_store_byte v[2:3], v9, off
.LBB39_1949:
	s_mov_b64 s[10:11], -1
.LBB39_1950:
	s_mov_b64 s[12:13], 0
.LBB39_1951:
	s_and_b64 vcc, exec, s[12:13]
	s_cbranch_vccz .LBB39_1991
; %bb.1952:
	v_cmp_gt_i16_e64 s[12:13], s16, 22
	s_mov_b64 s[6:7], -1
	s_and_b64 vcc, exec, s[12:13]
	s_cbranch_vccz .LBB39_1984
; %bb.1953:
	v_cmp_lt_i16_e64 s[10:11], s16, 24
	s_and_b64 vcc, exec, s[10:11]
	s_cbranch_vccnz .LBB39_1973
; %bb.1954:
	v_cmp_gt_i16_e64 s[10:11], s16, 24
	s_and_b64 vcc, exec, s[10:11]
	s_cbranch_vccz .LBB39_1962
; %bb.1955:
	v_lshlrev_b32_e32 v8, 16, v4
	v_and_b32_e32 v7, 0x7fffffff, v8
	s_mov_b32 s6, 0x47800000
	v_cmp_gt_u32_e32 vcc, s6, v7
	v_mov_b32_e32 v9, 0x80
	s_and_saveexec_b64 s[6:7], vcc
	s_cbranch_execz .LBB39_1961
; %bb.1956:
	s_mov_b32 s10, 0x37ffffff
	v_and_b32_e32 v6, 0xffff, v4
	v_cmp_lt_u32_e32 vcc, s10, v7
	s_mov_b64 s[10:11], 0
                                        ; implicit-def: $vgpr7
	s_and_saveexec_b64 s[12:13], vcc
	s_xor_b64 s[12:13], exec, s[12:13]
	s_cbranch_execz .LBB39_2094
; %bb.1957:
	v_bfe_u32 v7, v6, 5, 1
	s_mov_b32 s14, 0x88fffff
	v_add3_u32 v7, v8, v7, s14
	s_mov_b64 s[10:11], exec
	v_lshrrev_b32_e32 v7, 21, v7
                                        ; implicit-def: $vgpr8
	s_or_saveexec_b64 s[12:13], s[12:13]
                                        ; implicit-def: $sgpr14
	s_xor_b64 exec, exec, s[12:13]
	s_cbranch_execnz .LBB39_2095
.LBB39_1958:
	s_or_b64 exec, exec, s[12:13]
	v_mov_b32_e32 v9, s14
	s_and_saveexec_b64 s[12:13], s[10:11]
.LBB39_1959:
	v_lshrrev_b32_e32 v6, 8, v6
	s_movk_i32 s10, 0x80
	v_and_or_b32 v9, v6, s10, v7
.LBB39_1960:
	s_or_b64 exec, exec, s[12:13]
.LBB39_1961:
	s_or_b64 exec, exec, s[6:7]
	s_mov_b64 s[6:7], 0
	global_store_byte v[2:3], v9, off
.LBB39_1962:
	s_and_b64 vcc, exec, s[6:7]
	s_cbranch_vccz .LBB39_1972
; %bb.1963:
	v_lshlrev_b32_e32 v8, 16, v4
	v_and_b32_e32 v9, 0x7fffffff, v8
	s_mov_b32 s6, 0x43f00000
	v_and_b32_e32 v6, 0xffff, v4
	v_cmp_gt_u32_e32 vcc, s6, v9
                                        ; implicit-def: $vgpr7
	s_and_saveexec_b64 s[6:7], vcc
	s_xor_b64 s[6:7], exec, s[6:7]
	s_cbranch_execz .LBB39_1969
; %bb.1964:
	s_mov_b32 s10, 0x3c7fffff
	v_cmp_lt_u32_e32 vcc, s10, v9
                                        ; implicit-def: $vgpr7
	s_and_saveexec_b64 s[10:11], vcc
	s_xor_b64 s[10:11], exec, s[10:11]
; %bb.1965:
	v_bfe_u32 v7, v6, 4, 1
	s_mov_b32 s12, 0x407ffff
	v_add3_u32 v7, v8, v7, s12
	v_lshrrev_b32_e32 v8, 20, v7
	v_and_b32_e32 v7, 0xff00000, v7
	s_mov_b32 s12, 0x7f00000
	v_mov_b32_e32 v9, 0x7e
	v_cmp_ne_u32_e32 vcc, s12, v7
	v_cndmask_b32_e32 v7, v9, v8, vcc
                                        ; implicit-def: $vgpr8
; %bb.1966:
	s_andn2_saveexec_b64 s[10:11], s[10:11]
; %bb.1967:
	s_mov_b32 s12, 0x46800000
	v_add_f32_e64 v7, |v8|, s12
; %bb.1968:
	s_or_b64 exec, exec, s[10:11]
                                        ; implicit-def: $vgpr9
.LBB39_1969:
	s_andn2_saveexec_b64 s[6:7], s[6:7]
; %bb.1970:
	s_mov_b32 s10, 0x7f800000
	v_mov_b32_e32 v7, 0x7e
	v_mov_b32_e32 v8, 0x7f
	v_cmp_lt_u32_e32 vcc, s10, v9
	v_cndmask_b32_e32 v7, v7, v8, vcc
; %bb.1971:
	s_or_b64 exec, exec, s[6:7]
	v_lshrrev_b32_e32 v6, 8, v6
	s_movk_i32 s6, 0x80
	v_and_or_b32 v6, v6, s6, v7
	global_store_byte v[2:3], v6, off
.LBB39_1972:
	s_mov_b64 s[6:7], 0
.LBB39_1973:
	s_andn2_b64 vcc, exec, s[6:7]
	s_cbranch_vccnz .LBB39_1983
; %bb.1974:
	v_lshlrev_b32_e32 v8, 16, v4
	v_and_b32_e32 v9, 0x7fffffff, v8
	s_mov_b32 s6, 0x47800000
	v_and_b32_e32 v6, 0xffff, v4
	v_cmp_gt_u32_e32 vcc, s6, v9
                                        ; implicit-def: $vgpr7
	s_and_saveexec_b64 s[6:7], vcc
	s_xor_b64 s[6:7], exec, s[6:7]
	s_cbranch_execz .LBB39_1980
; %bb.1975:
	s_mov_b32 s10, 0x387fffff
	v_cmp_lt_u32_e32 vcc, s10, v9
                                        ; implicit-def: $vgpr7
	s_and_saveexec_b64 s[10:11], vcc
	s_xor_b64 s[10:11], exec, s[10:11]
; %bb.1976:
	v_bfe_u32 v7, v6, 5, 1
	s_mov_b32 s12, 0x80fffff
	v_add3_u32 v7, v8, v7, s12
	v_lshrrev_b32_e32 v7, 21, v7
                                        ; implicit-def: $vgpr8
; %bb.1977:
	s_andn2_saveexec_b64 s[10:11], s[10:11]
; %bb.1978:
	s_mov_b32 s12, 0x43000000
	v_add_f32_e64 v7, |v8|, s12
; %bb.1979:
	s_or_b64 exec, exec, s[10:11]
                                        ; implicit-def: $vgpr9
.LBB39_1980:
	s_andn2_saveexec_b64 s[6:7], s[6:7]
; %bb.1981:
	s_mov_b32 s10, 0x7f800000
	v_mov_b32_e32 v7, 0x7c
	v_mov_b32_e32 v8, 0x7f
	v_cmp_lt_u32_e32 vcc, s10, v9
	v_cndmask_b32_e32 v7, v7, v8, vcc
; %bb.1982:
	s_or_b64 exec, exec, s[6:7]
	v_lshrrev_b32_e32 v6, 8, v6
	s_movk_i32 s6, 0x80
	v_and_or_b32 v6, v6, s6, v7
	global_store_byte v[2:3], v6, off
.LBB39_1983:
	s_mov_b64 s[6:7], 0
	s_mov_b64 s[10:11], -1
.LBB39_1984:
	s_andn2_b64 vcc, exec, s[6:7]
	s_mov_b64 s[6:7], 0
	s_cbranch_vccnz .LBB39_1991
; %bb.1985:
	v_cmp_gt_i16_e64 s[6:7], s16, 14
	s_mov_b64 s[12:13], -1
	s_and_b64 vcc, exec, s[6:7]
	s_cbranch_vccz .LBB39_1989
; %bb.1986:
	v_cmp_eq_u16_e64 s[6:7], s16, 15
	s_mov_b64 s[0:1], -1
	s_and_b64 vcc, exec, s[6:7]
	s_cbranch_vccz .LBB39_1988
; %bb.1987:
	global_store_short v[2:3], v4, off
	s_mov_b64 s[0:1], 0
	s_mov_b64 s[10:11], -1
.LBB39_1988:
	s_mov_b64 s[12:13], 0
.LBB39_1989:
	s_mov_b64 s[6:7], 0
	s_and_b64 vcc, exec, s[12:13]
	s_cbranch_vccz .LBB39_1991
; %bb.1990:
	v_cmp_ne_u16_e64 s[0:1], s16, 11
	s_mov_b64 s[6:7], -1
.LBB39_1991:
	s_and_b64 vcc, exec, s[0:1]
	s_cbranch_vccnz .LBB39_2093
; %bb.1992:
	s_andn2_b64 vcc, exec, s[6:7]
	s_cbranch_vccnz .LBB39_1994
.LBB39_1993:
	v_cmp_ne_u16_e32 vcc, 0, v5
	v_cndmask_b32_e64 v5, 0, 1, vcc
	s_mov_b64 s[10:11], -1
	global_store_byte v[2:3], v5, off
.LBB39_1994:
	s_mov_b64 s[0:1], 0
.LBB39_1995:
	s_and_b64 vcc, exec, s[0:1]
	s_cbranch_vccz .LBB39_2034
; %bb.1996:
	v_cmp_lt_i16_e64 s[6:7], s16, 5
	s_mov_b64 s[0:1], -1
	s_and_b64 vcc, exec, s[6:7]
	s_cbranch_vccnz .LBB39_2017
; %bb.1997:
	v_cmp_lt_i16_e64 s[6:7], s16, 8
	s_and_b64 vcc, exec, s[6:7]
	s_cbranch_vccnz .LBB39_2007
; %bb.1998:
	v_cmp_lt_i16_e64 s[6:7], s16, 9
	s_and_b64 vcc, exec, s[6:7]
	s_cbranch_vccnz .LBB39_2004
; %bb.1999:
	v_cmp_gt_i16_e64 s[6:7], s16, 9
	s_and_b64 vcc, exec, s[6:7]
	s_cbranch_vccz .LBB39_2001
; %bb.2000:
	v_lshlrev_b32_e32 v5, 16, v4
	v_mov_b32_e32 v8, 0
	v_cvt_f64_f32_e32 v[6:7], v5
	v_mov_b32_e32 v9, v8
	global_store_dwordx4 v[2:3], v[6:9], off
	s_mov_b64 s[0:1], 0
.LBB39_2001:
	s_andn2_b64 vcc, exec, s[0:1]
	s_cbranch_vccnz .LBB39_2003
; %bb.2002:
	v_lshlrev_b32_e32 v6, 16, v4
	v_mov_b32_e32 v7, 0
	global_store_dwordx2 v[2:3], v[6:7], off
.LBB39_2003:
	s_mov_b64 s[0:1], 0
.LBB39_2004:
	s_andn2_b64 vcc, exec, s[0:1]
	s_cbranch_vccnz .LBB39_2006
; %bb.2005:
	v_lshlrev_b32_e32 v5, 16, v4
	v_cvt_f16_f32_e32 v5, v5
	global_store_dword v[2:3], v5, off
.LBB39_2006:
	s_mov_b64 s[0:1], 0
.LBB39_2007:
	s_andn2_b64 vcc, exec, s[0:1]
	s_cbranch_vccnz .LBB39_2016
; %bb.2008:
	v_cmp_lt_i16_e64 s[6:7], s16, 6
	s_mov_b64 s[0:1], -1
	s_and_b64 vcc, exec, s[6:7]
	s_cbranch_vccnz .LBB39_2014
; %bb.2009:
	v_cmp_gt_i16_e64 s[6:7], s16, 6
	s_and_b64 vcc, exec, s[6:7]
	s_cbranch_vccz .LBB39_2011
; %bb.2010:
	v_lshlrev_b32_e32 v5, 16, v4
	v_cvt_f64_f32_e32 v[6:7], v5
	global_store_dwordx2 v[2:3], v[6:7], off
	s_mov_b64 s[0:1], 0
.LBB39_2011:
	s_andn2_b64 vcc, exec, s[0:1]
	s_cbranch_vccnz .LBB39_2013
; %bb.2012:
	v_lshlrev_b32_e32 v5, 16, v4
	global_store_dword v[2:3], v5, off
.LBB39_2013:
	s_mov_b64 s[0:1], 0
.LBB39_2014:
	s_andn2_b64 vcc, exec, s[0:1]
	s_cbranch_vccnz .LBB39_2016
; %bb.2015:
	v_lshlrev_b32_e32 v5, 16, v4
	v_cvt_f16_f32_e32 v5, v5
	global_store_short v[2:3], v5, off
.LBB39_2016:
	s_mov_b64 s[0:1], 0
.LBB39_2017:
	s_andn2_b64 vcc, exec, s[0:1]
	s_cbranch_vccnz .LBB39_2033
; %bb.2018:
	v_cmp_lt_i16_e64 s[6:7], s16, 2
	s_mov_b64 s[0:1], -1
	s_and_b64 vcc, exec, s[6:7]
	s_cbranch_vccnz .LBB39_2028
; %bb.2019:
	v_cmp_lt_i16_e64 s[6:7], s16, 3
	s_and_b64 vcc, exec, s[6:7]
	s_cbranch_vccnz .LBB39_2025
; %bb.2020:
	v_cmp_gt_i16_e64 s[6:7], s16, 3
	s_and_b64 vcc, exec, s[6:7]
	s_cbranch_vccz .LBB39_2022
; %bb.2021:
	v_lshlrev_b32_e32 v5, 16, v4
	v_trunc_f32_e32 v5, v5
	s_mov_b32 s0, 0x2f800000
	v_mul_f32_e64 v6, |v5|, s0
	v_floor_f32_e32 v6, v6
	s_mov_b32 s0, 0xcf800000
	v_cvt_u32_f32_e32 v7, v6
	v_fma_f32 v6, v6, s0, |v5|
	v_cvt_u32_f32_e32 v6, v6
	v_ashrrev_i32_e32 v5, 31, v5
	v_xor_b32_e32 v7, v7, v5
	s_mov_b64 s[0:1], 0
	v_xor_b32_e32 v6, v6, v5
	v_sub_co_u32_e32 v6, vcc, v6, v5
	v_subb_co_u32_e32 v7, vcc, v7, v5, vcc
	global_store_dwordx2 v[2:3], v[6:7], off
.LBB39_2022:
	s_andn2_b64 vcc, exec, s[0:1]
	s_cbranch_vccnz .LBB39_2024
; %bb.2023:
	v_lshlrev_b32_e32 v5, 16, v4
	v_cvt_i32_f32_e32 v5, v5
	global_store_dword v[2:3], v5, off
.LBB39_2024:
	s_mov_b64 s[0:1], 0
.LBB39_2025:
	s_andn2_b64 vcc, exec, s[0:1]
	s_cbranch_vccnz .LBB39_2027
; %bb.2026:
	v_lshlrev_b32_e32 v5, 16, v4
	v_cvt_i32_f32_e32 v5, v5
	global_store_short v[2:3], v5, off
.LBB39_2027:
	s_mov_b64 s[0:1], 0
.LBB39_2028:
	s_andn2_b64 vcc, exec, s[0:1]
	s_cbranch_vccnz .LBB39_2033
; %bb.2029:
	v_cmp_gt_i16_e64 s[6:7], s16, 0
	s_mov_b64 s[0:1], -1
	s_and_b64 vcc, exec, s[6:7]
	s_cbranch_vccz .LBB39_2031
; %bb.2030:
	v_lshlrev_b32_e32 v5, 16, v4
	v_cvt_i32_f32_e32 v5, v5
	s_mov_b64 s[0:1], 0
	global_store_byte v[2:3], v5, off
.LBB39_2031:
	s_andn2_b64 vcc, exec, s[0:1]
	s_cbranch_vccnz .LBB39_2033
; %bb.2032:
	v_lshlrev_b32_e32 v4, 16, v4
	v_trunc_f32_e32 v4, v4
	s_mov_b32 s0, 0x2f800000
	v_mul_f32_e64 v5, |v4|, s0
	v_floor_f32_e32 v5, v5
	s_mov_b32 s0, 0xcf800000
	v_fma_f32 v5, v5, s0, |v4|
	v_cvt_u32_f32_e32 v5, v5
	v_ashrrev_i32_e32 v4, 31, v4
	v_xor_b32_e32 v5, v5, v4
	v_sub_u32_e32 v4, v5, v4
	global_store_byte v[2:3], v4, off
.LBB39_2033:
	s_mov_b64 s[10:11], -1
.LBB39_2034:
	s_andn2_b64 vcc, exec, s[10:11]
	s_cbranch_vccnz .LBB39_2043
; %bb.2035:
	v_and_b32_e32 v3, 0x7fff, v10
	v_or_b32_e32 v2, v3, v1
	v_mov_b32_e32 v1, s9
	v_add_co_u32_e32 v0, vcc, s8, v0
	v_addc_co_u32_e32 v1, vcc, 0, v1, vcc
	s_and_b64 vcc, exec, s[4:5]
	s_cbranch_vccnz .LBB39_2088
; %bb.2036:
	v_cmp_gt_i16_e64 s[0:1], s16, 25
	s_mov_b64 s[6:7], -1
	s_mov_b64 s[4:5], 0
	s_and_b64 vcc, exec, s[0:1]
	s_mov_b64 s[0:1], 0
	s_cbranch_vccz .LBB39_2123
; %bb.2037:
	v_cmp_gt_i16_e64 s[0:1], s16, 28
	s_and_b64 vcc, exec, s[0:1]
	s_cbranch_vccz .LBB39_2089
; %bb.2038:
	v_cmp_gt_i16_e64 s[0:1], s16, 43
	s_and_b64 vcc, exec, s[0:1]
	;; [unrolled: 4-line block ×3, first 2 shown]
	s_cbranch_vccz .LBB39_2096
; %bb.2040:
	v_cmp_eq_u16_e64 s[6:7], s16, 46
	s_mov_b64 s[0:1], -1
	s_and_b64 vcc, exec, s[6:7]
	s_cbranch_vccz .LBB39_2042
; %bb.2041:
	v_and_b32_e32 v4, 0xffff, v2
	global_store_dword v[0:1], v4, off
	s_mov_b64 s[0:1], 0
.LBB39_2042:
	s_mov_b64 s[6:7], 0
	s_branch .LBB39_2097
.LBB39_2043:
	s_mov_b64 s[0:1], 0
	s_mov_b64 s[4:5], 0
                                        ; implicit-def: $vgpr0_vgpr1
                                        ; implicit-def: $sgpr16
                                        ; implicit-def: $vgpr2
                                        ; implicit-def: $vgpr3
.LBB39_2044:
	s_and_b64 s[6:7], s[4:5], exec
	s_andn2_b64 s[4:5], s[28:29], exec
	s_and_b64 s[2:3], s[2:3], exec
	s_and_b64 s[0:1], s[0:1], exec
	s_or_b64 s[28:29], s[4:5], s[2:3]
.LBB39_2045:
	s_or_b64 exec, exec, s[30:31]
	s_and_saveexec_b64 s[2:3], s[28:29]
	s_cbranch_execz .LBB39_2048
; %bb.2046:
	; divergent unreachable
	s_or_b64 exec, exec, s[2:3]
	s_and_saveexec_b64 s[2:3], s[6:7]
	s_xor_b64 s[2:3], exec, s[2:3]
	s_cbranch_execnz .LBB39_2049
.LBB39_2047:
	s_or_b64 exec, exec, s[2:3]
	s_and_saveexec_b64 s[2:3], s[0:1]
	s_cbranch_execnz .LBB39_2050
	s_branch .LBB39_2087
.LBB39_2048:
	s_or_b64 exec, exec, s[2:3]
	s_and_saveexec_b64 s[2:3], s[6:7]
	s_xor_b64 s[2:3], exec, s[2:3]
	s_cbranch_execz .LBB39_2047
.LBB39_2049:
	s_waitcnt vmcnt(0)
	v_cmp_ne_u16_e32 vcc, 0, v3
	v_cndmask_b32_e64 v3, 0, 1, vcc
	global_store_byte v[0:1], v3, off
	s_or_b64 exec, exec, s[2:3]
	s_and_saveexec_b64 s[2:3], s[0:1]
	s_cbranch_execz .LBB39_2087
.LBB39_2050:
	v_cmp_lt_i16_e64 s[2:3], s16, 5
	s_mov_b64 s[0:1], -1
	s_and_b64 vcc, exec, s[2:3]
	s_cbranch_vccnz .LBB39_2071
; %bb.2051:
	v_cmp_lt_i16_e64 s[2:3], s16, 8
	s_and_b64 vcc, exec, s[2:3]
	s_cbranch_vccnz .LBB39_2061
; %bb.2052:
	v_cmp_lt_i16_e64 s[2:3], s16, 9
	s_and_b64 vcc, exec, s[2:3]
	s_cbranch_vccnz .LBB39_2058
; %bb.2053:
	v_cmp_gt_i16_e64 s[2:3], s16, 9
	s_and_b64 vcc, exec, s[2:3]
	s_cbranch_vccz .LBB39_2055
; %bb.2054:
	s_waitcnt vmcnt(0)
	v_lshlrev_b32_e32 v3, 16, v2
	v_mov_b32_e32 v6, 0
	v_cvt_f64_f32_e32 v[4:5], v3
	v_mov_b32_e32 v7, v6
	global_store_dwordx4 v[0:1], v[4:7], off
	s_mov_b64 s[0:1], 0
.LBB39_2055:
	s_andn2_b64 vcc, exec, s[0:1]
	s_cbranch_vccnz .LBB39_2057
; %bb.2056:
	v_lshlrev_b32_e32 v4, 16, v2
	v_mov_b32_e32 v5, 0
	s_waitcnt vmcnt(0)
	global_store_dwordx2 v[0:1], v[4:5], off
.LBB39_2057:
	s_mov_b64 s[0:1], 0
.LBB39_2058:
	s_andn2_b64 vcc, exec, s[0:1]
	s_cbranch_vccnz .LBB39_2060
; %bb.2059:
	s_waitcnt vmcnt(0)
	v_lshlrev_b32_e32 v3, 16, v2
	v_cvt_f16_f32_e32 v3, v3
	global_store_dword v[0:1], v3, off
.LBB39_2060:
	s_mov_b64 s[0:1], 0
.LBB39_2061:
	s_andn2_b64 vcc, exec, s[0:1]
	s_cbranch_vccnz .LBB39_2070
; %bb.2062:
	v_cmp_lt_i16_e64 s[2:3], s16, 6
	s_mov_b64 s[0:1], -1
	s_and_b64 vcc, exec, s[2:3]
	s_cbranch_vccnz .LBB39_2068
; %bb.2063:
	v_cmp_gt_i16_e64 s[2:3], s16, 6
	s_and_b64 vcc, exec, s[2:3]
	s_cbranch_vccz .LBB39_2065
; %bb.2064:
	s_waitcnt vmcnt(0)
	v_lshlrev_b32_e32 v3, 16, v2
	v_cvt_f64_f32_e32 v[4:5], v3
	global_store_dwordx2 v[0:1], v[4:5], off
	s_mov_b64 s[0:1], 0
.LBB39_2065:
	s_andn2_b64 vcc, exec, s[0:1]
	s_cbranch_vccnz .LBB39_2067
; %bb.2066:
	s_waitcnt vmcnt(0)
	v_lshlrev_b32_e32 v3, 16, v2
	global_store_dword v[0:1], v3, off
.LBB39_2067:
	s_mov_b64 s[0:1], 0
.LBB39_2068:
	s_andn2_b64 vcc, exec, s[0:1]
	s_cbranch_vccnz .LBB39_2070
; %bb.2069:
	s_waitcnt vmcnt(0)
	v_lshlrev_b32_e32 v3, 16, v2
	v_cvt_f16_f32_e32 v3, v3
	global_store_short v[0:1], v3, off
.LBB39_2070:
	s_mov_b64 s[0:1], 0
.LBB39_2071:
	s_andn2_b64 vcc, exec, s[0:1]
	s_cbranch_vccnz .LBB39_2087
; %bb.2072:
	v_cmp_lt_i16_e64 s[2:3], s16, 2
	s_mov_b64 s[0:1], -1
	s_and_b64 vcc, exec, s[2:3]
	s_cbranch_vccnz .LBB39_2082
; %bb.2073:
	v_cmp_lt_i16_e64 s[2:3], s16, 3
	s_and_b64 vcc, exec, s[2:3]
	s_cbranch_vccnz .LBB39_2079
; %bb.2074:
	v_cmp_gt_i16_e64 s[2:3], s16, 3
	s_and_b64 vcc, exec, s[2:3]
	s_cbranch_vccz .LBB39_2076
; %bb.2075:
	s_waitcnt vmcnt(0)
	v_lshlrev_b32_e32 v3, 16, v2
	v_trunc_f32_e32 v3, v3
	s_mov_b32 s0, 0x2f800000
	v_mul_f32_e64 v4, |v3|, s0
	v_floor_f32_e32 v4, v4
	s_mov_b32 s0, 0xcf800000
	v_cvt_u32_f32_e32 v5, v4
	v_fma_f32 v4, v4, s0, |v3|
	v_cvt_u32_f32_e32 v4, v4
	v_ashrrev_i32_e32 v3, 31, v3
	v_xor_b32_e32 v5, v5, v3
	s_mov_b64 s[0:1], 0
	v_xor_b32_e32 v4, v4, v3
	v_sub_co_u32_e32 v4, vcc, v4, v3
	v_subb_co_u32_e32 v5, vcc, v5, v3, vcc
	global_store_dwordx2 v[0:1], v[4:5], off
.LBB39_2076:
	s_andn2_b64 vcc, exec, s[0:1]
	s_cbranch_vccnz .LBB39_2078
; %bb.2077:
	s_waitcnt vmcnt(0)
	v_lshlrev_b32_e32 v3, 16, v2
	v_cvt_i32_f32_e32 v3, v3
	global_store_dword v[0:1], v3, off
.LBB39_2078:
	s_mov_b64 s[0:1], 0
.LBB39_2079:
	s_andn2_b64 vcc, exec, s[0:1]
	s_cbranch_vccnz .LBB39_2081
; %bb.2080:
	s_waitcnt vmcnt(0)
	v_lshlrev_b32_e32 v3, 16, v2
	v_cvt_i32_f32_e32 v3, v3
	global_store_short v[0:1], v3, off
.LBB39_2081:
	s_mov_b64 s[0:1], 0
.LBB39_2082:
	s_andn2_b64 vcc, exec, s[0:1]
	s_cbranch_vccnz .LBB39_2087
; %bb.2083:
	v_cmp_gt_i16_e64 s[2:3], s16, 0
	s_mov_b64 s[0:1], -1
	s_and_b64 vcc, exec, s[2:3]
	s_cbranch_vccz .LBB39_2085
; %bb.2084:
	s_waitcnt vmcnt(0)
	v_lshlrev_b32_e32 v3, 16, v2
	v_cvt_i32_f32_e32 v3, v3
	s_mov_b64 s[0:1], 0
	global_store_byte v[0:1], v3, off
.LBB39_2085:
	s_andn2_b64 vcc, exec, s[0:1]
	s_cbranch_vccnz .LBB39_2087
; %bb.2086:
	v_lshlrev_b32_e32 v2, 16, v2
	v_trunc_f32_e32 v2, v2
	s_mov_b32 s0, 0x2f800000
	s_waitcnt vmcnt(0)
	v_mul_f32_e64 v3, |v2|, s0
	v_floor_f32_e32 v3, v3
	s_mov_b32 s0, 0xcf800000
	v_fma_f32 v3, v3, s0, |v2|
	v_cvt_u32_f32_e32 v3, v3
	v_ashrrev_i32_e32 v2, 31, v2
	v_xor_b32_e32 v3, v3, v2
	v_sub_u32_e32 v2, v3, v2
	global_store_byte v[0:1], v2, off
	s_endpgm
.LBB39_2087:
	s_endpgm
.LBB39_2088:
	s_mov_b64 s[4:5], 0
	s_mov_b64 s[0:1], -1
	s_branch .LBB39_2044
.LBB39_2089:
	s_mov_b64 s[0:1], 0
	s_branch .LBB39_2107
.LBB39_2090:
	s_or_saveexec_b64 s[14:15], s[14:15]
                                        ; implicit-def: $sgpr17
	s_xor_b64 exec, exec, s[14:15]
	s_cbranch_execz .LBB39_1945
.LBB39_2091:
	s_mov_b32 s17, 0x46000000
	v_add_f32_e64 v7, |v8|, s17
	v_and_b32_e32 v7, 0xff, v7
	v_cmp_ne_u32_e32 vcc, 0, v7
	s_andn2_b64 s[12:13], s[12:13], exec
	s_and_b64 s[18:19], vcc, exec
	s_mov_b32 s17, 0
	s_or_b64 s[12:13], s[12:13], s[18:19]
	s_or_b64 exec, exec, s[14:15]
	v_mov_b32_e32 v9, s17
	s_and_saveexec_b64 s[14:15], s[12:13]
	s_cbranch_execnz .LBB39_1946
	s_branch .LBB39_1947
.LBB39_2092:
	s_mov_b64 s[0:1], 0
	s_branch .LBB39_2103
.LBB39_2093:
	s_trap 2
	s_or_b64 s[2:3], s[2:3], exec
	s_cbranch_execz .LBB39_1993
	s_branch .LBB39_1994
.LBB39_2094:
	s_or_saveexec_b64 s[12:13], s[12:13]
                                        ; implicit-def: $sgpr14
	s_xor_b64 exec, exec, s[12:13]
	s_cbranch_execz .LBB39_1958
.LBB39_2095:
	s_mov_b32 s14, 0x42800000
	v_add_f32_e64 v7, |v8|, s14
	v_and_b32_e32 v7, 0xff, v7
	v_cmp_ne_u32_e32 vcc, 0, v7
	s_andn2_b64 s[10:11], s[10:11], exec
	s_and_b64 s[18:19], vcc, exec
	s_mov_b32 s14, 0
	s_or_b64 s[10:11], s[10:11], s[18:19]
	s_or_b64 exec, exec, s[12:13]
	v_mov_b32_e32 v9, s14
	s_and_saveexec_b64 s[12:13], s[10:11]
	s_cbranch_execnz .LBB39_1959
	s_branch .LBB39_1960
.LBB39_2096:
	s_mov_b64 s[0:1], 0
.LBB39_2097:
	s_and_b64 vcc, exec, s[6:7]
	s_cbranch_vccz .LBB39_2102
; %bb.2098:
	v_cmp_eq_u16_e64 s[6:7], s16, 44
	s_mov_b64 s[0:1], -1
	s_and_b64 vcc, exec, s[6:7]
	s_cbranch_vccz .LBB39_2102
; %bb.2099:
	v_and_b32_e32 v5, 0xffff, v2
	v_bfe_u32 v4, v5, 7, 8
	s_movk_i32 s0, 0xff
	v_cmp_ne_u32_e32 vcc, s0, v4
	v_mov_b32_e32 v6, 0xff
	s_and_saveexec_b64 s[6:7], vcc
; %bb.2100:
	v_lshlrev_b32_e32 v7, 16, v5
	s_mov_b32 s0, 0x3f0000
	v_lshrrev_b32_e32 v6, 7, v5
	v_and_b32_e32 v5, 64, v5
	v_and_or_b32 v4, v7, s0, v4
	v_cmp_ne_u32_e32 vcc, 0, v5
	v_cmp_ne_u32_e64 s[0:1], 0, v4
	s_and_b64 s[0:1], vcc, s[0:1]
	v_cndmask_b32_e64 v4, 0, 1, s[0:1]
	v_add_u32_e32 v6, v6, v4
; %bb.2101:
	s_or_b64 exec, exec, s[6:7]
	s_mov_b64 s[0:1], 0
	global_store_byte v[0:1], v6, off
.LBB39_2102:
	s_mov_b64 s[6:7], 0
.LBB39_2103:
	s_and_b64 vcc, exec, s[6:7]
	s_cbranch_vccz .LBB39_2106
; %bb.2104:
	v_cmp_eq_u16_e64 s[6:7], s16, 29
	s_mov_b64 s[0:1], -1
	s_and_b64 vcc, exec, s[6:7]
	s_cbranch_vccz .LBB39_2106
; %bb.2105:
	v_lshlrev_b32_e32 v4, 16, v2
	v_trunc_f32_e32 v4, v4
	v_mul_f32_e32 v5, 0x2f800000, v4
	v_floor_f32_e32 v6, v5
	v_fmac_f32_e32 v4, 0xcf800000, v6
	v_cvt_u32_f32_e32 v5, v6
	v_cvt_u32_f32_e32 v4, v4
	s_mov_b64 s[0:1], 0
	global_store_dwordx2 v[0:1], v[4:5], off
.LBB39_2106:
	s_mov_b64 s[6:7], 0
.LBB39_2107:
	s_and_b64 vcc, exec, s[6:7]
	s_cbranch_vccz .LBB39_2122
; %bb.2108:
	v_cmp_lt_i16_e64 s[8:9], s16, 27
	s_mov_b64 s[6:7], -1
	s_and_b64 vcc, exec, s[8:9]
	s_cbranch_vccnz .LBB39_2114
; %bb.2109:
	v_cmp_gt_i16_e64 s[8:9], s16, 27
	s_and_b64 vcc, exec, s[8:9]
	s_cbranch_vccz .LBB39_2111
; %bb.2110:
	v_lshlrev_b32_e32 v4, 16, v2
	v_cvt_u32_f32_e32 v4, v4
	s_mov_b64 s[6:7], 0
	global_store_dword v[0:1], v4, off
.LBB39_2111:
	s_andn2_b64 vcc, exec, s[6:7]
	s_cbranch_vccnz .LBB39_2113
; %bb.2112:
	v_lshlrev_b32_e32 v4, 16, v2
	v_cvt_u32_f32_e32 v4, v4
	global_store_short v[0:1], v4, off
.LBB39_2113:
	s_mov_b64 s[6:7], 0
.LBB39_2114:
	s_andn2_b64 vcc, exec, s[6:7]
	s_cbranch_vccnz .LBB39_2122
; %bb.2115:
	v_lshlrev_b32_e32 v6, 16, v2
	v_and_b32_e32 v5, 0x7fffffff, v6
	s_mov_b32 s6, 0x43800000
	v_cmp_gt_u32_e32 vcc, s6, v5
	v_mov_b32_e32 v7, 0x80
	s_and_saveexec_b64 s[6:7], vcc
	s_cbranch_execz .LBB39_2121
; %bb.2116:
	s_mov_b32 s8, 0x3bffffff
	v_and_b32_e32 v4, 0xffff, v2
	v_cmp_lt_u32_e32 vcc, s8, v5
	s_mov_b64 s[8:9], 0
                                        ; implicit-def: $vgpr5
	s_and_saveexec_b64 s[10:11], vcc
	s_xor_b64 s[10:11], exec, s[10:11]
	s_cbranch_execz .LBB39_2165
; %bb.2117:
	v_bfe_u32 v5, v4, 4, 1
	s_mov_b32 s12, 0x487ffff
	v_add3_u32 v5, v6, v5, s12
	s_mov_b64 s[8:9], exec
	v_lshrrev_b32_e32 v5, 20, v5
                                        ; implicit-def: $vgpr6
	s_or_saveexec_b64 s[10:11], s[10:11]
                                        ; implicit-def: $sgpr12
	s_xor_b64 exec, exec, s[10:11]
	s_cbranch_execnz .LBB39_2166
.LBB39_2118:
	s_or_b64 exec, exec, s[10:11]
	v_mov_b32_e32 v7, s12
	s_and_saveexec_b64 s[10:11], s[8:9]
.LBB39_2119:
	v_lshrrev_b32_e32 v4, 8, v4
	s_movk_i32 s8, 0x80
	v_and_or_b32 v7, v4, s8, v5
.LBB39_2120:
	s_or_b64 exec, exec, s[10:11]
.LBB39_2121:
	s_or_b64 exec, exec, s[6:7]
	global_store_byte v[0:1], v7, off
.LBB39_2122:
	s_mov_b64 s[6:7], 0
.LBB39_2123:
	s_and_b64 vcc, exec, s[6:7]
	s_cbranch_vccz .LBB39_2163
; %bb.2124:
	v_cmp_gt_i16_e64 s[6:7], s16, 22
	s_mov_b64 s[4:5], -1
	s_and_b64 vcc, exec, s[6:7]
	s_cbranch_vccz .LBB39_2156
; %bb.2125:
	v_cmp_lt_i16_e64 s[6:7], s16, 24
	s_and_b64 vcc, exec, s[6:7]
	s_cbranch_vccnz .LBB39_2145
; %bb.2126:
	v_cmp_gt_i16_e64 s[6:7], s16, 24
	s_and_b64 vcc, exec, s[6:7]
	s_cbranch_vccz .LBB39_2134
; %bb.2127:
	v_lshlrev_b32_e32 v6, 16, v2
	v_and_b32_e32 v5, 0x7fffffff, v6
	s_mov_b32 s4, 0x47800000
	v_cmp_gt_u32_e32 vcc, s4, v5
	v_mov_b32_e32 v7, 0x80
	s_and_saveexec_b64 s[4:5], vcc
	s_cbranch_execz .LBB39_2133
; %bb.2128:
	s_mov_b32 s6, 0x37ffffff
	v_and_b32_e32 v4, 0xffff, v2
	v_cmp_lt_u32_e32 vcc, s6, v5
	s_mov_b64 s[6:7], 0
                                        ; implicit-def: $vgpr5
	s_and_saveexec_b64 s[8:9], vcc
	s_xor_b64 s[8:9], exec, s[8:9]
	s_cbranch_execz .LBB39_2168
; %bb.2129:
	v_bfe_u32 v5, v4, 5, 1
	s_mov_b32 s10, 0x88fffff
	v_add3_u32 v5, v6, v5, s10
	s_mov_b64 s[6:7], exec
	v_lshrrev_b32_e32 v5, 21, v5
                                        ; implicit-def: $vgpr6
	s_or_saveexec_b64 s[8:9], s[8:9]
                                        ; implicit-def: $sgpr10
	s_xor_b64 exec, exec, s[8:9]
	s_cbranch_execnz .LBB39_2169
.LBB39_2130:
	s_or_b64 exec, exec, s[8:9]
	v_mov_b32_e32 v7, s10
	s_and_saveexec_b64 s[8:9], s[6:7]
.LBB39_2131:
	v_lshrrev_b32_e32 v4, 8, v4
	s_movk_i32 s6, 0x80
	v_and_or_b32 v7, v4, s6, v5
.LBB39_2132:
	s_or_b64 exec, exec, s[8:9]
.LBB39_2133:
	s_or_b64 exec, exec, s[4:5]
	s_mov_b64 s[4:5], 0
	global_store_byte v[0:1], v7, off
.LBB39_2134:
	s_and_b64 vcc, exec, s[4:5]
	s_cbranch_vccz .LBB39_2144
; %bb.2135:
	v_lshlrev_b32_e32 v6, 16, v2
	v_and_b32_e32 v7, 0x7fffffff, v6
	s_mov_b32 s4, 0x43f00000
	v_and_b32_e32 v4, 0xffff, v2
	v_cmp_gt_u32_e32 vcc, s4, v7
                                        ; implicit-def: $vgpr5
	s_and_saveexec_b64 s[4:5], vcc
	s_xor_b64 s[4:5], exec, s[4:5]
	s_cbranch_execz .LBB39_2141
; %bb.2136:
	s_mov_b32 s6, 0x3c7fffff
	v_cmp_lt_u32_e32 vcc, s6, v7
                                        ; implicit-def: $vgpr5
	s_and_saveexec_b64 s[6:7], vcc
	s_xor_b64 s[6:7], exec, s[6:7]
; %bb.2137:
	v_bfe_u32 v5, v4, 4, 1
	s_mov_b32 s8, 0x407ffff
	v_add3_u32 v5, v6, v5, s8
	v_lshrrev_b32_e32 v6, 20, v5
	v_and_b32_e32 v5, 0xff00000, v5
	s_mov_b32 s8, 0x7f00000
	v_mov_b32_e32 v7, 0x7e
	v_cmp_ne_u32_e32 vcc, s8, v5
	v_cndmask_b32_e32 v5, v7, v6, vcc
                                        ; implicit-def: $vgpr6
; %bb.2138:
	s_andn2_saveexec_b64 s[6:7], s[6:7]
; %bb.2139:
	s_mov_b32 s8, 0x46800000
	v_add_f32_e64 v5, |v6|, s8
; %bb.2140:
	s_or_b64 exec, exec, s[6:7]
                                        ; implicit-def: $vgpr7
.LBB39_2141:
	s_andn2_saveexec_b64 s[4:5], s[4:5]
; %bb.2142:
	s_mov_b32 s6, 0x7f800000
	v_mov_b32_e32 v5, 0x7e
	v_mov_b32_e32 v6, 0x7f
	v_cmp_lt_u32_e32 vcc, s6, v7
	v_cndmask_b32_e32 v5, v5, v6, vcc
; %bb.2143:
	s_or_b64 exec, exec, s[4:5]
	v_lshrrev_b32_e32 v4, 8, v4
	s_movk_i32 s4, 0x80
	v_and_or_b32 v4, v4, s4, v5
	global_store_byte v[0:1], v4, off
.LBB39_2144:
	s_mov_b64 s[4:5], 0
.LBB39_2145:
	s_andn2_b64 vcc, exec, s[4:5]
	s_cbranch_vccnz .LBB39_2155
; %bb.2146:
	v_lshlrev_b32_e32 v6, 16, v2
	v_and_b32_e32 v7, 0x7fffffff, v6
	s_mov_b32 s4, 0x47800000
	v_and_b32_e32 v4, 0xffff, v2
	v_cmp_gt_u32_e32 vcc, s4, v7
                                        ; implicit-def: $vgpr5
	s_and_saveexec_b64 s[4:5], vcc
	s_xor_b64 s[4:5], exec, s[4:5]
	s_cbranch_execz .LBB39_2152
; %bb.2147:
	s_mov_b32 s6, 0x387fffff
	v_cmp_lt_u32_e32 vcc, s6, v7
                                        ; implicit-def: $vgpr5
	s_and_saveexec_b64 s[6:7], vcc
	s_xor_b64 s[6:7], exec, s[6:7]
; %bb.2148:
	v_bfe_u32 v5, v4, 5, 1
	s_mov_b32 s8, 0x80fffff
	v_add3_u32 v5, v6, v5, s8
	v_lshrrev_b32_e32 v5, 21, v5
                                        ; implicit-def: $vgpr6
; %bb.2149:
	s_andn2_saveexec_b64 s[6:7], s[6:7]
; %bb.2150:
	s_mov_b32 s8, 0x43000000
	v_add_f32_e64 v5, |v6|, s8
; %bb.2151:
	s_or_b64 exec, exec, s[6:7]
                                        ; implicit-def: $vgpr7
.LBB39_2152:
	s_andn2_saveexec_b64 s[4:5], s[4:5]
; %bb.2153:
	s_mov_b32 s6, 0x7f800000
	v_mov_b32_e32 v5, 0x7c
	v_mov_b32_e32 v6, 0x7f
	v_cmp_lt_u32_e32 vcc, s6, v7
	v_cndmask_b32_e32 v5, v5, v6, vcc
; %bb.2154:
	s_or_b64 exec, exec, s[4:5]
	v_lshrrev_b32_e32 v4, 8, v4
	s_movk_i32 s4, 0x80
	v_and_or_b32 v4, v4, s4, v5
	global_store_byte v[0:1], v4, off
.LBB39_2155:
	s_mov_b64 s[4:5], 0
.LBB39_2156:
	s_andn2_b64 vcc, exec, s[4:5]
	s_mov_b64 s[4:5], 0
	s_cbranch_vccnz .LBB39_2163
; %bb.2157:
	v_cmp_gt_i16_e64 s[4:5], s16, 14
	s_mov_b64 s[6:7], -1
	s_and_b64 vcc, exec, s[4:5]
	s_cbranch_vccz .LBB39_2161
; %bb.2158:
	v_cmp_eq_u16_e64 s[4:5], s16, 15
	s_mov_b64 s[0:1], -1
	s_and_b64 vcc, exec, s[4:5]
	s_cbranch_vccz .LBB39_2160
; %bb.2159:
	global_store_short v[0:1], v2, off
	s_mov_b64 s[0:1], 0
.LBB39_2160:
	s_mov_b64 s[6:7], 0
.LBB39_2161:
	s_mov_b64 s[4:5], 0
	s_and_b64 vcc, exec, s[6:7]
	s_cbranch_vccz .LBB39_2163
; %bb.2162:
	v_cmp_ne_u16_e64 s[0:1], s16, 11
	s_mov_b64 s[4:5], -1
.LBB39_2163:
	s_and_b64 vcc, exec, s[0:1]
	s_cbranch_vccnz .LBB39_2167
.LBB39_2164:
	s_mov_b64 s[0:1], 0
	s_branch .LBB39_2044
.LBB39_2165:
	s_or_saveexec_b64 s[10:11], s[10:11]
                                        ; implicit-def: $sgpr12
	s_xor_b64 exec, exec, s[10:11]
	s_cbranch_execz .LBB39_2118
.LBB39_2166:
	s_mov_b32 s12, 0x46000000
	v_add_f32_e64 v5, |v6|, s12
	v_and_b32_e32 v5, 0xff, v5
	v_cmp_ne_u32_e32 vcc, 0, v5
	s_andn2_b64 s[8:9], s[8:9], exec
	s_and_b64 s[14:15], vcc, exec
	s_mov_b32 s12, 0
	s_or_b64 s[8:9], s[8:9], s[14:15]
	s_or_b64 exec, exec, s[10:11]
	v_mov_b32_e32 v7, s12
	s_and_saveexec_b64 s[10:11], s[8:9]
	s_cbranch_execnz .LBB39_2119
	s_branch .LBB39_2120
.LBB39_2167:
	s_mov_b64 s[4:5], 0
	s_or_b64 s[2:3], s[2:3], exec
	s_trap 2
	s_branch .LBB39_2164
.LBB39_2168:
	s_or_saveexec_b64 s[8:9], s[8:9]
                                        ; implicit-def: $sgpr10
	s_xor_b64 exec, exec, s[8:9]
	s_cbranch_execz .LBB39_2130
.LBB39_2169:
	s_mov_b32 s10, 0x42800000
	v_add_f32_e64 v5, |v6|, s10
	v_and_b32_e32 v5, 0xff, v5
	v_cmp_ne_u32_e32 vcc, 0, v5
	s_andn2_b64 s[6:7], s[6:7], exec
	s_and_b64 s[12:13], vcc, exec
	s_mov_b32 s10, 0
	s_or_b64 s[6:7], s[6:7], s[12:13]
	s_or_b64 exec, exec, s[8:9]
	v_mov_b32_e32 v7, s10
	s_and_saveexec_b64 s[8:9], s[6:7]
	s_cbranch_execnz .LBB39_2131
	s_branch .LBB39_2132
	.section	.rodata,"a",@progbits
	.p2align	6, 0x0
	.amdhsa_kernel _ZN2at6native32elementwise_kernel_manual_unrollILi128ELi4EZNS0_15gpu_kernel_implINS0_13BUnaryFunctorIN3c108BFloat16ES5_S5_ZNS0_20copysign_kernel_cudaERNS_18TensorIteratorBaseEEUlS5_S5_E_EEEEvS7_RKT_EUlibE0_EEviT1_
		.amdhsa_group_segment_fixed_size 0
		.amdhsa_private_segment_fixed_size 0
		.amdhsa_kernarg_size 360
		.amdhsa_user_sgpr_count 6
		.amdhsa_user_sgpr_private_segment_buffer 1
		.amdhsa_user_sgpr_dispatch_ptr 0
		.amdhsa_user_sgpr_queue_ptr 0
		.amdhsa_user_sgpr_kernarg_segment_ptr 1
		.amdhsa_user_sgpr_dispatch_id 0
		.amdhsa_user_sgpr_flat_scratch_init 0
		.amdhsa_user_sgpr_kernarg_preload_length 0
		.amdhsa_user_sgpr_kernarg_preload_offset 0
		.amdhsa_user_sgpr_private_segment_size 0
		.amdhsa_uses_dynamic_stack 0
		.amdhsa_system_sgpr_private_segment_wavefront_offset 0
		.amdhsa_system_sgpr_workgroup_id_x 1
		.amdhsa_system_sgpr_workgroup_id_y 0
		.amdhsa_system_sgpr_workgroup_id_z 0
		.amdhsa_system_sgpr_workgroup_info 0
		.amdhsa_system_vgpr_workitem_id 0
		.amdhsa_next_free_vgpr 18
		.amdhsa_next_free_sgpr 77
		.amdhsa_accum_offset 20
		.amdhsa_reserve_vcc 1
		.amdhsa_reserve_flat_scratch 0
		.amdhsa_float_round_mode_32 0
		.amdhsa_float_round_mode_16_64 0
		.amdhsa_float_denorm_mode_32 3
		.amdhsa_float_denorm_mode_16_64 3
		.amdhsa_dx10_clamp 1
		.amdhsa_ieee_mode 1
		.amdhsa_fp16_overflow 0
		.amdhsa_tg_split 0
		.amdhsa_exception_fp_ieee_invalid_op 0
		.amdhsa_exception_fp_denorm_src 0
		.amdhsa_exception_fp_ieee_div_zero 0
		.amdhsa_exception_fp_ieee_overflow 0
		.amdhsa_exception_fp_ieee_underflow 0
		.amdhsa_exception_fp_ieee_inexact 0
		.amdhsa_exception_int_div_zero 0
	.end_amdhsa_kernel
	.section	.text._ZN2at6native32elementwise_kernel_manual_unrollILi128ELi4EZNS0_15gpu_kernel_implINS0_13BUnaryFunctorIN3c108BFloat16ES5_S5_ZNS0_20copysign_kernel_cudaERNS_18TensorIteratorBaseEEUlS5_S5_E_EEEEvS7_RKT_EUlibE0_EEviT1_,"axG",@progbits,_ZN2at6native32elementwise_kernel_manual_unrollILi128ELi4EZNS0_15gpu_kernel_implINS0_13BUnaryFunctorIN3c108BFloat16ES5_S5_ZNS0_20copysign_kernel_cudaERNS_18TensorIteratorBaseEEUlS5_S5_E_EEEEvS7_RKT_EUlibE0_EEviT1_,comdat
.Lfunc_end39:
	.size	_ZN2at6native32elementwise_kernel_manual_unrollILi128ELi4EZNS0_15gpu_kernel_implINS0_13BUnaryFunctorIN3c108BFloat16ES5_S5_ZNS0_20copysign_kernel_cudaERNS_18TensorIteratorBaseEEUlS5_S5_E_EEEEvS7_RKT_EUlibE0_EEviT1_, .Lfunc_end39-_ZN2at6native32elementwise_kernel_manual_unrollILi128ELi4EZNS0_15gpu_kernel_implINS0_13BUnaryFunctorIN3c108BFloat16ES5_S5_ZNS0_20copysign_kernel_cudaERNS_18TensorIteratorBaseEEUlS5_S5_E_EEEEvS7_RKT_EUlibE0_EEviT1_
                                        ; -- End function
	.section	.AMDGPU.csdata,"",@progbits
; Kernel info:
; codeLenInByte = 46000
; NumSgprs: 81
; NumVgprs: 18
; NumAgprs: 0
; TotalNumVgprs: 18
; ScratchSize: 0
; MemoryBound: 0
; FloatMode: 240
; IeeeMode: 1
; LDSByteSize: 0 bytes/workgroup (compile time only)
; SGPRBlocks: 10
; VGPRBlocks: 2
; NumSGPRsForWavesPerEU: 81
; NumVGPRsForWavesPerEU: 18
; AccumOffset: 20
; Occupancy: 8
; WaveLimiterHint : 1
; COMPUTE_PGM_RSRC2:SCRATCH_EN: 0
; COMPUTE_PGM_RSRC2:USER_SGPR: 6
; COMPUTE_PGM_RSRC2:TRAP_HANDLER: 0
; COMPUTE_PGM_RSRC2:TGID_X_EN: 1
; COMPUTE_PGM_RSRC2:TGID_Y_EN: 0
; COMPUTE_PGM_RSRC2:TGID_Z_EN: 0
; COMPUTE_PGM_RSRC2:TIDIG_COMP_CNT: 0
; COMPUTE_PGM_RSRC3_GFX90A:ACCUM_OFFSET: 4
; COMPUTE_PGM_RSRC3_GFX90A:TG_SPLIT: 0
	.section	.text._ZN2at6native29vectorized_elementwise_kernelILi16ENS0_13BinaryFunctorIN3c108BFloat16ES4_S4_ZNS0_20copysign_kernel_cudaERNS_18TensorIteratorBaseEEUlS4_S4_E_EESt5arrayIPcLm3EEEEviT0_T1_,"axG",@progbits,_ZN2at6native29vectorized_elementwise_kernelILi16ENS0_13BinaryFunctorIN3c108BFloat16ES4_S4_ZNS0_20copysign_kernel_cudaERNS_18TensorIteratorBaseEEUlS4_S4_E_EESt5arrayIPcLm3EEEEviT0_T1_,comdat
	.globl	_ZN2at6native29vectorized_elementwise_kernelILi16ENS0_13BinaryFunctorIN3c108BFloat16ES4_S4_ZNS0_20copysign_kernel_cudaERNS_18TensorIteratorBaseEEUlS4_S4_E_EESt5arrayIPcLm3EEEEviT0_T1_ ; -- Begin function _ZN2at6native29vectorized_elementwise_kernelILi16ENS0_13BinaryFunctorIN3c108BFloat16ES4_S4_ZNS0_20copysign_kernel_cudaERNS_18TensorIteratorBaseEEUlS4_S4_E_EESt5arrayIPcLm3EEEEviT0_T1_
	.p2align	8
	.type	_ZN2at6native29vectorized_elementwise_kernelILi16ENS0_13BinaryFunctorIN3c108BFloat16ES4_S4_ZNS0_20copysign_kernel_cudaERNS_18TensorIteratorBaseEEUlS4_S4_E_EESt5arrayIPcLm3EEEEviT0_T1_,@function
_ZN2at6native29vectorized_elementwise_kernelILi16ENS0_13BinaryFunctorIN3c108BFloat16ES4_S4_ZNS0_20copysign_kernel_cudaERNS_18TensorIteratorBaseEEUlS4_S4_E_EESt5arrayIPcLm3EEEEviT0_T1_: ; @_ZN2at6native29vectorized_elementwise_kernelILi16ENS0_13BinaryFunctorIN3c108BFloat16ES4_S4_ZNS0_20copysign_kernel_cudaERNS_18TensorIteratorBaseEEUlS4_S4_E_EESt5arrayIPcLm3EEEEviT0_T1_
; %bb.0:
	s_load_dword s0, s[4:5], 0x0
	s_load_dwordx4 s[8:11], s[4:5], 0x8
	s_load_dwordx2 s[12:13], s[4:5], 0x18
	s_lshl_b32 s2, s6, 11
	s_waitcnt lgkmcnt(0)
	s_sub_i32 s6, s0, s2
	s_cmpk_gt_i32 s6, 0x7ff
	s_mov_b64 s[0:1], -1
	s_cbranch_scc0 .LBB40_2
; %bb.1:
	s_ashr_i32 s3, s2, 31
	s_lshl_b64 s[0:1], s[2:3], 1
	s_add_u32 s4, s10, s0
	s_addc_u32 s5, s11, s1
	v_lshlrev_b32_e32 v1, 4, v0
	global_load_dwordx4 v[2:5], v1, s[4:5]
	s_add_u32 s4, s12, s0
	s_addc_u32 s5, s13, s1
	global_load_dwordx4 v[6:9], v1, s[4:5]
	s_movk_i32 s3, 0x7fff
	s_movk_i32 s4, 0x8000
	s_mov_b32 s5, 0x5040100
	s_add_u32 s0, s8, s0
	s_addc_u32 s1, s9, s1
	s_waitcnt vmcnt(1)
	v_and_b32_sdwa v10, v3, s3 dst_sel:DWORD dst_unused:UNUSED_PAD src0_sel:WORD_1 src1_sel:DWORD
	v_and_b32_e32 v3, 0x7fff, v3
	v_and_b32_sdwa v11, v2, s3 dst_sel:DWORD dst_unused:UNUSED_PAD src0_sel:WORD_1 src1_sel:DWORD
	v_and_b32_e32 v2, 0x7fff, v2
	;; [unrolled: 2-line block ×4, first 2 shown]
	s_waitcnt vmcnt(0)
	v_and_b32_sdwa v14, v7, s4 dst_sel:DWORD dst_unused:UNUSED_PAD src0_sel:WORD_1 src1_sel:DWORD
	v_and_b32_e32 v7, 0xffff8000, v7
	v_and_b32_sdwa v15, v6, s4 dst_sel:DWORD dst_unused:UNUSED_PAD src0_sel:WORD_1 src1_sel:DWORD
	v_and_b32_e32 v6, 0xffff8000, v6
	;; [unrolled: 2-line block ×4, first 2 shown]
	v_or_b32_e32 v2, v6, v2
	v_or_b32_e32 v6, v15, v11
	;; [unrolled: 1-line block ×8, first 2 shown]
	v_perm_b32 v5, v9, v5, s5
	v_perm_b32 v4, v8, v4, s5
	;; [unrolled: 1-line block ×4, first 2 shown]
	global_store_dwordx4 v1, v[2:5], s[0:1]
	s_mov_b64 s[0:1], 0
.LBB40_2:
	s_andn2_b64 vcc, exec, s[0:1]
	s_cbranch_vccnz .LBB40_26
; %bb.3:
	v_cmp_gt_i32_e32 vcc, s6, v0
	v_mov_b32_e32 v1, 0
	v_or_b32_e32 v2, s2, v0
	v_mov_b32_e32 v3, 0
	v_mov_b32_e32 v4, 0
	;; [unrolled: 1-line block ×3, first 2 shown]
	s_and_saveexec_b64 s[4:5], vcc
	s_cbranch_execz .LBB40_5
; %bb.4:
	v_mov_b32_e32 v3, 0
	v_lshlrev_b64 v[4:5], 1, v[2:3]
	v_mov_b32_e32 v3, s13
	v_add_co_u32_e64 v6, s[0:1], s12, v4
	v_addc_co_u32_e64 v7, s[0:1], v3, v5, s[0:1]
	v_mov_b32_e32 v3, s11
	v_add_co_u32_e64 v4, s[0:1], s10, v4
	v_addc_co_u32_e64 v5, s[0:1], v3, v5, s[0:1]
	global_load_ushort v3, v[4:5], off
	global_load_ushort v8, v[6:7], off
	v_or_b32_e32 v11, 0x100, v0
	s_waitcnt vmcnt(1)
	v_and_b32_e32 v3, 0x7fff, v3
	s_waitcnt vmcnt(0)
	v_and_b32_e32 v4, 0xffff8000, v8
.LBB40_5:
	s_or_b64 exec, exec, s[4:5]
	v_cmp_gt_i32_e64 s[0:1], s6, v11
	v_mov_b32_e32 v6, 0
	s_and_saveexec_b64 s[4:5], s[0:1]
	s_cbranch_execz .LBB40_7
; %bb.6:
	v_add_u32_e32 v6, s2, v11
	v_mov_b32_e32 v7, 0
	v_lshlrev_b64 v[6:7], 1, v[6:7]
	v_mov_b32_e32 v1, s13
	v_add_co_u32_e64 v8, s[0:1], s12, v6
	v_addc_co_u32_e64 v9, s[0:1], v1, v7, s[0:1]
	v_mov_b32_e32 v1, s11
	v_add_co_u32_e64 v6, s[0:1], s10, v6
	v_addc_co_u32_e64 v7, s[0:1], v1, v7, s[0:1]
	global_load_ushort v1, v[6:7], off
	global_load_ushort v5, v[8:9], off
	v_add_u32_e32 v11, 0x100, v11
	s_waitcnt vmcnt(1)
	v_and_b32_e32 v1, 0x7fff, v1
	s_waitcnt vmcnt(0)
	v_and_b32_e32 v6, 0xffff8000, v5
.LBB40_7:
	s_or_b64 exec, exec, s[4:5]
	v_cmp_gt_i32_e64 s[0:1], s6, v11
	v_mov_b32_e32 v5, 0
	v_mov_b32_e32 v7, 0
	v_mov_b32_e32 v8, 0
	s_and_saveexec_b64 s[4:5], s[0:1]
	s_cbranch_execz .LBB40_9
; %bb.8:
	v_add_u32_e32 v8, s2, v11
	v_mov_b32_e32 v9, 0
	v_lshlrev_b64 v[8:9], 1, v[8:9]
	v_mov_b32_e32 v7, s13
	v_add_co_u32_e64 v12, s[0:1], s12, v8
	v_addc_co_u32_e64 v13, s[0:1], v7, v9, s[0:1]
	v_mov_b32_e32 v7, s11
	v_add_co_u32_e64 v8, s[0:1], s10, v8
	v_addc_co_u32_e64 v9, s[0:1], v7, v9, s[0:1]
	global_load_ushort v7, v[8:9], off
	global_load_ushort v10, v[12:13], off
	v_add_u32_e32 v11, 0x100, v11
	s_waitcnt vmcnt(1)
	v_and_b32_e32 v7, 0x7fff, v7
	s_waitcnt vmcnt(0)
	v_and_b32_e32 v8, 0xffff8000, v10
.LBB40_9:
	s_or_b64 exec, exec, s[4:5]
	v_cmp_gt_i32_e64 s[0:1], s6, v11
	v_mov_b32_e32 v10, 0
	s_and_saveexec_b64 s[4:5], s[0:1]
	s_cbranch_execz .LBB40_11
; %bb.10:
	v_add_u32_e32 v12, s2, v11
	v_mov_b32_e32 v13, 0
	v_lshlrev_b64 v[12:13], 1, v[12:13]
	v_mov_b32_e32 v5, s13
	v_add_co_u32_e64 v14, s[0:1], s12, v12
	v_addc_co_u32_e64 v15, s[0:1], v5, v13, s[0:1]
	v_mov_b32_e32 v5, s11
	v_add_co_u32_e64 v12, s[0:1], s10, v12
	v_addc_co_u32_e64 v13, s[0:1], v5, v13, s[0:1]
	global_load_ushort v5, v[12:13], off
	global_load_ushort v9, v[14:15], off
	v_add_u32_e32 v11, 0x100, v11
	s_waitcnt vmcnt(1)
	v_and_b32_e32 v5, 0x7fff, v5
	s_waitcnt vmcnt(0)
	v_and_b32_e32 v10, 0xffff8000, v9
.LBB40_11:
	s_or_b64 exec, exec, s[4:5]
	v_cmp_gt_i32_e64 s[0:1], s6, v11
	v_mov_b32_e32 v9, 0
	v_mov_b32_e32 v13, 0
	;; [unrolled: 1-line block ×3, first 2 shown]
	s_and_saveexec_b64 s[4:5], s[0:1]
	s_cbranch_execz .LBB40_13
; %bb.12:
	v_add_u32_e32 v12, s2, v11
	v_mov_b32_e32 v13, 0
	v_lshlrev_b64 v[12:13], 1, v[12:13]
	v_mov_b32_e32 v15, s13
	v_add_co_u32_e64 v14, s[0:1], s12, v12
	v_addc_co_u32_e64 v15, s[0:1], v15, v13, s[0:1]
	v_mov_b32_e32 v16, s11
	v_add_co_u32_e64 v12, s[0:1], s10, v12
	v_addc_co_u32_e64 v13, s[0:1], v16, v13, s[0:1]
	global_load_ushort v16, v[12:13], off
	global_load_ushort v17, v[14:15], off
	v_add_u32_e32 v11, 0x100, v11
	s_waitcnt vmcnt(1)
	v_and_b32_e32 v13, 0x7fff, v16
	s_waitcnt vmcnt(0)
	v_and_b32_e32 v14, 0xffff8000, v17
.LBB40_13:
	s_or_b64 exec, exec, s[4:5]
	v_cmp_gt_i32_e64 s[0:1], s6, v11
	v_mov_b32_e32 v15, 0
	s_and_saveexec_b64 s[4:5], s[0:1]
	s_cbranch_execz .LBB40_15
; %bb.14:
	v_add_u32_e32 v16, s2, v11
	v_mov_b32_e32 v17, 0
	v_lshlrev_b64 v[16:17], 1, v[16:17]
	v_mov_b32_e32 v9, s13
	v_add_co_u32_e64 v18, s[0:1], s12, v16
	v_addc_co_u32_e64 v19, s[0:1], v9, v17, s[0:1]
	v_mov_b32_e32 v9, s11
	v_add_co_u32_e64 v16, s[0:1], s10, v16
	v_addc_co_u32_e64 v17, s[0:1], v9, v17, s[0:1]
	global_load_ushort v9, v[16:17], off
	global_load_ushort v12, v[18:19], off
	v_add_u32_e32 v11, 0x100, v11
	s_waitcnt vmcnt(1)
	v_and_b32_e32 v9, 0x7fff, v9
	s_waitcnt vmcnt(0)
	v_and_b32_e32 v15, 0xffff8000, v12
.LBB40_15:
	s_or_b64 exec, exec, s[4:5]
	v_cmp_gt_i32_e64 s[0:1], s6, v11
	v_mov_b32_e32 v12, 0
	v_mov_b32_e32 v16, 0
	;; [unrolled: 1-line block ×3, first 2 shown]
	s_and_saveexec_b64 s[4:5], s[0:1]
	s_cbranch_execnz .LBB40_27
; %bb.16:
	s_or_b64 exec, exec, s[4:5]
	v_cmp_gt_i32_e64 s[0:1], s6, v11
	s_and_saveexec_b64 s[4:5], s[0:1]
	s_cbranch_execnz .LBB40_28
.LBB40_17:
	s_or_b64 exec, exec, s[4:5]
	s_and_saveexec_b64 s[0:1], vcc
	s_cbranch_execnz .LBB40_29
.LBB40_18:
	s_or_b64 exec, exec, s[0:1]
	v_cmp_gt_i32_e32 vcc, s6, v0
	s_and_saveexec_b64 s[0:1], vcc
	s_cbranch_execnz .LBB40_30
.LBB40_19:
	s_or_b64 exec, exec, s[0:1]
	v_cmp_gt_i32_e32 vcc, s6, v0
	s_and_saveexec_b64 s[0:1], vcc
	s_cbranch_execnz .LBB40_31
.LBB40_20:
	s_or_b64 exec, exec, s[0:1]
	v_cmp_gt_i32_e32 vcc, s6, v0
	s_and_saveexec_b64 s[0:1], vcc
	s_cbranch_execnz .LBB40_32
.LBB40_21:
	s_or_b64 exec, exec, s[0:1]
	v_cmp_gt_i32_e32 vcc, s6, v0
	s_and_saveexec_b64 s[0:1], vcc
	s_cbranch_execnz .LBB40_33
.LBB40_22:
	s_or_b64 exec, exec, s[0:1]
	v_cmp_gt_i32_e32 vcc, s6, v0
	s_and_saveexec_b64 s[0:1], vcc
	s_cbranch_execnz .LBB40_34
.LBB40_23:
	s_or_b64 exec, exec, s[0:1]
	v_cmp_gt_i32_e32 vcc, s6, v0
	s_and_saveexec_b64 s[0:1], vcc
	s_cbranch_execnz .LBB40_35
.LBB40_24:
	s_or_b64 exec, exec, s[0:1]
	v_cmp_gt_i32_e32 vcc, s6, v0
	s_and_saveexec_b64 s[0:1], vcc
	s_cbranch_execz .LBB40_26
.LBB40_25:
	v_add_u32_e32 v0, s2, v0
	v_mov_b32_e32 v1, 0
	v_lshlrev_b64 v[0:1], 1, v[0:1]
	v_mov_b32_e32 v2, s9
	v_add_co_u32_e32 v0, vcc, s8, v0
	v_addc_co_u32_e32 v1, vcc, v2, v1, vcc
	global_store_short v[0:1], v12, off
.LBB40_26:
	s_endpgm
.LBB40_27:
	v_add_u32_e32 v16, s2, v11
	v_mov_b32_e32 v17, 0
	v_lshlrev_b64 v[16:17], 1, v[16:17]
	v_mov_b32_e32 v19, s13
	v_add_co_u32_e64 v18, s[0:1], s12, v16
	v_addc_co_u32_e64 v19, s[0:1], v19, v17, s[0:1]
	v_mov_b32_e32 v20, s11
	v_add_co_u32_e64 v16, s[0:1], s10, v16
	v_addc_co_u32_e64 v17, s[0:1], v20, v17, s[0:1]
	global_load_ushort v20, v[16:17], off
	global_load_ushort v21, v[18:19], off
	v_add_u32_e32 v11, 0x100, v11
	s_waitcnt vmcnt(1)
	v_and_b32_e32 v16, 0x7fff, v20
	s_waitcnt vmcnt(0)
	v_and_b32_e32 v17, 0xffff8000, v21
	s_or_b64 exec, exec, s[4:5]
	v_cmp_gt_i32_e64 s[0:1], s6, v11
	s_and_saveexec_b64 s[4:5], s[0:1]
	s_cbranch_execz .LBB40_17
.LBB40_28:
	v_add_u32_e32 v18, s2, v11
	v_mov_b32_e32 v19, 0
	v_lshlrev_b64 v[18:19], 1, v[18:19]
	v_mov_b32_e32 v11, s13
	v_add_co_u32_e64 v20, s[0:1], s12, v18
	v_addc_co_u32_e64 v21, s[0:1], v11, v19, s[0:1]
	v_mov_b32_e32 v11, s11
	v_add_co_u32_e64 v18, s[0:1], s10, v18
	v_addc_co_u32_e64 v19, s[0:1], v11, v19, s[0:1]
	global_load_ushort v11, v[18:19], off
	global_load_ushort v12, v[20:21], off
	s_waitcnt vmcnt(1)
	v_and_b32_e32 v11, 0x7fff, v11
	s_waitcnt vmcnt(0)
	v_and_b32_e32 v12, 0xffff8000, v12
	v_or_b32_e32 v12, v12, v11
	s_or_b64 exec, exec, s[4:5]
	s_and_saveexec_b64 s[0:1], vcc
	s_cbranch_execz .LBB40_18
.LBB40_29:
	v_or_b32_e32 v4, v4, v3
	v_mov_b32_e32 v3, 0
	v_lshlrev_b64 v[2:3], 1, v[2:3]
	v_mov_b32_e32 v11, s9
	v_add_co_u32_e32 v2, vcc, s8, v2
	v_or_b32_e32 v0, 0x100, v0
	v_addc_co_u32_e32 v3, vcc, v11, v3, vcc
	global_store_short v[2:3], v4, off
	s_or_b64 exec, exec, s[0:1]
	v_cmp_gt_i32_e32 vcc, s6, v0
	s_and_saveexec_b64 s[0:1], vcc
	s_cbranch_execz .LBB40_19
.LBB40_30:
	v_add_u32_e32 v2, s2, v0
	v_mov_b32_e32 v3, 0
	v_lshlrev_b64 v[2:3], 1, v[2:3]
	v_mov_b32_e32 v4, s9
	v_add_co_u32_e32 v2, vcc, s8, v2
	v_or_b32_e32 v1, v6, v1
	v_addc_co_u32_e32 v3, vcc, v4, v3, vcc
	v_add_u32_e32 v0, 0x100, v0
	global_store_short v[2:3], v1, off
	s_or_b64 exec, exec, s[0:1]
	v_cmp_gt_i32_e32 vcc, s6, v0
	s_and_saveexec_b64 s[0:1], vcc
	s_cbranch_execz .LBB40_20
.LBB40_31:
	v_add_u32_e32 v2, s2, v0
	v_mov_b32_e32 v3, 0
	v_lshlrev_b64 v[2:3], 1, v[2:3]
	v_mov_b32_e32 v4, s9
	v_add_co_u32_e32 v2, vcc, s8, v2
	v_or_b32_e32 v1, v8, v7
	v_addc_co_u32_e32 v3, vcc, v4, v3, vcc
	v_add_u32_e32 v0, 0x100, v0
	global_store_short v[2:3], v1, off
	s_or_b64 exec, exec, s[0:1]
	v_cmp_gt_i32_e32 vcc, s6, v0
	s_and_saveexec_b64 s[0:1], vcc
	s_cbranch_execz .LBB40_21
.LBB40_32:
	v_add_u32_e32 v2, s2, v0
	v_mov_b32_e32 v3, 0
	v_lshlrev_b64 v[2:3], 1, v[2:3]
	v_mov_b32_e32 v4, s9
	v_add_co_u32_e32 v2, vcc, s8, v2
	v_or_b32_e32 v1, v10, v5
	v_addc_co_u32_e32 v3, vcc, v4, v3, vcc
	v_add_u32_e32 v0, 0x100, v0
	global_store_short v[2:3], v1, off
	s_or_b64 exec, exec, s[0:1]
	v_cmp_gt_i32_e32 vcc, s6, v0
	s_and_saveexec_b64 s[0:1], vcc
	s_cbranch_execz .LBB40_22
.LBB40_33:
	v_add_u32_e32 v2, s2, v0
	v_mov_b32_e32 v3, 0
	v_lshlrev_b64 v[2:3], 1, v[2:3]
	v_mov_b32_e32 v4, s9
	v_add_co_u32_e32 v2, vcc, s8, v2
	v_or_b32_e32 v1, v14, v13
	v_addc_co_u32_e32 v3, vcc, v4, v3, vcc
	v_add_u32_e32 v0, 0x100, v0
	global_store_short v[2:3], v1, off
	s_or_b64 exec, exec, s[0:1]
	v_cmp_gt_i32_e32 vcc, s6, v0
	s_and_saveexec_b64 s[0:1], vcc
	s_cbranch_execz .LBB40_23
.LBB40_34:
	v_add_u32_e32 v2, s2, v0
	v_mov_b32_e32 v3, 0
	v_lshlrev_b64 v[2:3], 1, v[2:3]
	v_mov_b32_e32 v4, s9
	v_add_co_u32_e32 v2, vcc, s8, v2
	v_or_b32_e32 v1, v15, v9
	v_addc_co_u32_e32 v3, vcc, v4, v3, vcc
	v_add_u32_e32 v0, 0x100, v0
	global_store_short v[2:3], v1, off
	s_or_b64 exec, exec, s[0:1]
	v_cmp_gt_i32_e32 vcc, s6, v0
	s_and_saveexec_b64 s[0:1], vcc
	s_cbranch_execz .LBB40_24
.LBB40_35:
	v_add_u32_e32 v2, s2, v0
	v_mov_b32_e32 v3, 0
	v_lshlrev_b64 v[2:3], 1, v[2:3]
	v_mov_b32_e32 v4, s9
	v_add_co_u32_e32 v2, vcc, s8, v2
	v_or_b32_e32 v1, v17, v16
	v_addc_co_u32_e32 v3, vcc, v4, v3, vcc
	v_add_u32_e32 v0, 0x100, v0
	global_store_short v[2:3], v1, off
	s_or_b64 exec, exec, s[0:1]
	v_cmp_gt_i32_e32 vcc, s6, v0
	s_and_saveexec_b64 s[0:1], vcc
	s_cbranch_execnz .LBB40_25
	s_branch .LBB40_26
	.section	.rodata,"a",@progbits
	.p2align	6, 0x0
	.amdhsa_kernel _ZN2at6native29vectorized_elementwise_kernelILi16ENS0_13BinaryFunctorIN3c108BFloat16ES4_S4_ZNS0_20copysign_kernel_cudaERNS_18TensorIteratorBaseEEUlS4_S4_E_EESt5arrayIPcLm3EEEEviT0_T1_
		.amdhsa_group_segment_fixed_size 0
		.amdhsa_private_segment_fixed_size 0
		.amdhsa_kernarg_size 32
		.amdhsa_user_sgpr_count 6
		.amdhsa_user_sgpr_private_segment_buffer 1
		.amdhsa_user_sgpr_dispatch_ptr 0
		.amdhsa_user_sgpr_queue_ptr 0
		.amdhsa_user_sgpr_kernarg_segment_ptr 1
		.amdhsa_user_sgpr_dispatch_id 0
		.amdhsa_user_sgpr_flat_scratch_init 0
		.amdhsa_user_sgpr_kernarg_preload_length 0
		.amdhsa_user_sgpr_kernarg_preload_offset 0
		.amdhsa_user_sgpr_private_segment_size 0
		.amdhsa_uses_dynamic_stack 0
		.amdhsa_system_sgpr_private_segment_wavefront_offset 0
		.amdhsa_system_sgpr_workgroup_id_x 1
		.amdhsa_system_sgpr_workgroup_id_y 0
		.amdhsa_system_sgpr_workgroup_id_z 0
		.amdhsa_system_sgpr_workgroup_info 0
		.amdhsa_system_vgpr_workitem_id 0
		.amdhsa_next_free_vgpr 22
		.amdhsa_next_free_sgpr 14
		.amdhsa_accum_offset 24
		.amdhsa_reserve_vcc 1
		.amdhsa_reserve_flat_scratch 0
		.amdhsa_float_round_mode_32 0
		.amdhsa_float_round_mode_16_64 0
		.amdhsa_float_denorm_mode_32 3
		.amdhsa_float_denorm_mode_16_64 3
		.amdhsa_dx10_clamp 1
		.amdhsa_ieee_mode 1
		.amdhsa_fp16_overflow 0
		.amdhsa_tg_split 0
		.amdhsa_exception_fp_ieee_invalid_op 0
		.amdhsa_exception_fp_denorm_src 0
		.amdhsa_exception_fp_ieee_div_zero 0
		.amdhsa_exception_fp_ieee_overflow 0
		.amdhsa_exception_fp_ieee_underflow 0
		.amdhsa_exception_fp_ieee_inexact 0
		.amdhsa_exception_int_div_zero 0
	.end_amdhsa_kernel
	.section	.text._ZN2at6native29vectorized_elementwise_kernelILi16ENS0_13BinaryFunctorIN3c108BFloat16ES4_S4_ZNS0_20copysign_kernel_cudaERNS_18TensorIteratorBaseEEUlS4_S4_E_EESt5arrayIPcLm3EEEEviT0_T1_,"axG",@progbits,_ZN2at6native29vectorized_elementwise_kernelILi16ENS0_13BinaryFunctorIN3c108BFloat16ES4_S4_ZNS0_20copysign_kernel_cudaERNS_18TensorIteratorBaseEEUlS4_S4_E_EESt5arrayIPcLm3EEEEviT0_T1_,comdat
.Lfunc_end40:
	.size	_ZN2at6native29vectorized_elementwise_kernelILi16ENS0_13BinaryFunctorIN3c108BFloat16ES4_S4_ZNS0_20copysign_kernel_cudaERNS_18TensorIteratorBaseEEUlS4_S4_E_EESt5arrayIPcLm3EEEEviT0_T1_, .Lfunc_end40-_ZN2at6native29vectorized_elementwise_kernelILi16ENS0_13BinaryFunctorIN3c108BFloat16ES4_S4_ZNS0_20copysign_kernel_cudaERNS_18TensorIteratorBaseEEUlS4_S4_E_EESt5arrayIPcLm3EEEEviT0_T1_
                                        ; -- End function
	.section	.AMDGPU.csdata,"",@progbits
; Kernel info:
; codeLenInByte = 2024
; NumSgprs: 18
; NumVgprs: 22
; NumAgprs: 0
; TotalNumVgprs: 22
; ScratchSize: 0
; MemoryBound: 0
; FloatMode: 240
; IeeeMode: 1
; LDSByteSize: 0 bytes/workgroup (compile time only)
; SGPRBlocks: 2
; VGPRBlocks: 2
; NumSGPRsForWavesPerEU: 18
; NumVGPRsForWavesPerEU: 22
; AccumOffset: 24
; Occupancy: 8
; WaveLimiterHint : 0
; COMPUTE_PGM_RSRC2:SCRATCH_EN: 0
; COMPUTE_PGM_RSRC2:USER_SGPR: 6
; COMPUTE_PGM_RSRC2:TRAP_HANDLER: 0
; COMPUTE_PGM_RSRC2:TGID_X_EN: 1
; COMPUTE_PGM_RSRC2:TGID_Y_EN: 0
; COMPUTE_PGM_RSRC2:TGID_Z_EN: 0
; COMPUTE_PGM_RSRC2:TIDIG_COMP_CNT: 0
; COMPUTE_PGM_RSRC3_GFX90A:ACCUM_OFFSET: 5
; COMPUTE_PGM_RSRC3_GFX90A:TG_SPLIT: 0
	.section	.text._ZN2at6native29vectorized_elementwise_kernelILi8ENS0_13BinaryFunctorIN3c108BFloat16ES4_S4_ZNS0_20copysign_kernel_cudaERNS_18TensorIteratorBaseEEUlS4_S4_E_EESt5arrayIPcLm3EEEEviT0_T1_,"axG",@progbits,_ZN2at6native29vectorized_elementwise_kernelILi8ENS0_13BinaryFunctorIN3c108BFloat16ES4_S4_ZNS0_20copysign_kernel_cudaERNS_18TensorIteratorBaseEEUlS4_S4_E_EESt5arrayIPcLm3EEEEviT0_T1_,comdat
	.globl	_ZN2at6native29vectorized_elementwise_kernelILi8ENS0_13BinaryFunctorIN3c108BFloat16ES4_S4_ZNS0_20copysign_kernel_cudaERNS_18TensorIteratorBaseEEUlS4_S4_E_EESt5arrayIPcLm3EEEEviT0_T1_ ; -- Begin function _ZN2at6native29vectorized_elementwise_kernelILi8ENS0_13BinaryFunctorIN3c108BFloat16ES4_S4_ZNS0_20copysign_kernel_cudaERNS_18TensorIteratorBaseEEUlS4_S4_E_EESt5arrayIPcLm3EEEEviT0_T1_
	.p2align	8
	.type	_ZN2at6native29vectorized_elementwise_kernelILi8ENS0_13BinaryFunctorIN3c108BFloat16ES4_S4_ZNS0_20copysign_kernel_cudaERNS_18TensorIteratorBaseEEUlS4_S4_E_EESt5arrayIPcLm3EEEEviT0_T1_,@function
_ZN2at6native29vectorized_elementwise_kernelILi8ENS0_13BinaryFunctorIN3c108BFloat16ES4_S4_ZNS0_20copysign_kernel_cudaERNS_18TensorIteratorBaseEEUlS4_S4_E_EESt5arrayIPcLm3EEEEviT0_T1_: ; @_ZN2at6native29vectorized_elementwise_kernelILi8ENS0_13BinaryFunctorIN3c108BFloat16ES4_S4_ZNS0_20copysign_kernel_cudaERNS_18TensorIteratorBaseEEUlS4_S4_E_EESt5arrayIPcLm3EEEEviT0_T1_
; %bb.0:
	s_load_dword s0, s[4:5], 0x0
	s_load_dwordx4 s[8:11], s[4:5], 0x8
	s_load_dwordx2 s[12:13], s[4:5], 0x18
	s_lshl_b32 s2, s6, 11
	s_waitcnt lgkmcnt(0)
	s_sub_i32 s6, s0, s2
	s_cmpk_gt_i32 s6, 0x7ff
	s_mov_b64 s[0:1], -1
	s_cbranch_scc0 .LBB41_2
; %bb.1:
	s_ashr_i32 s3, s2, 31
	s_lshl_b64 s[0:1], s[2:3], 1
	s_add_u32 s4, s10, s0
	s_addc_u32 s5, s11, s1
	v_lshlrev_b32_e32 v1, 4, v0
	global_load_dwordx4 v[2:5], v1, s[4:5]
	s_add_u32 s4, s12, s0
	s_addc_u32 s5, s13, s1
	global_load_dwordx4 v[6:9], v1, s[4:5]
	s_movk_i32 s3, 0x7fff
	s_movk_i32 s4, 0x8000
	s_mov_b32 s5, 0x5040100
	s_add_u32 s0, s8, s0
	s_addc_u32 s1, s9, s1
	s_waitcnt vmcnt(1)
	v_and_b32_sdwa v10, v3, s3 dst_sel:DWORD dst_unused:UNUSED_PAD src0_sel:WORD_1 src1_sel:DWORD
	v_and_b32_e32 v3, 0x7fff, v3
	v_and_b32_sdwa v11, v2, s3 dst_sel:DWORD dst_unused:UNUSED_PAD src0_sel:WORD_1 src1_sel:DWORD
	v_and_b32_e32 v2, 0x7fff, v2
	;; [unrolled: 2-line block ×4, first 2 shown]
	s_waitcnt vmcnt(0)
	v_and_b32_sdwa v14, v7, s4 dst_sel:DWORD dst_unused:UNUSED_PAD src0_sel:WORD_1 src1_sel:DWORD
	v_and_b32_e32 v7, 0xffff8000, v7
	v_and_b32_sdwa v15, v6, s4 dst_sel:DWORD dst_unused:UNUSED_PAD src0_sel:WORD_1 src1_sel:DWORD
	v_and_b32_e32 v6, 0xffff8000, v6
	;; [unrolled: 2-line block ×4, first 2 shown]
	v_or_b32_e32 v2, v6, v2
	v_or_b32_e32 v6, v15, v11
	;; [unrolled: 1-line block ×8, first 2 shown]
	v_perm_b32 v5, v9, v5, s5
	v_perm_b32 v4, v8, v4, s5
	;; [unrolled: 1-line block ×4, first 2 shown]
	global_store_dwordx4 v1, v[2:5], s[0:1]
	s_mov_b64 s[0:1], 0
.LBB41_2:
	s_andn2_b64 vcc, exec, s[0:1]
	s_cbranch_vccnz .LBB41_26
; %bb.3:
	v_cmp_gt_i32_e32 vcc, s6, v0
	v_mov_b32_e32 v1, 0
	v_or_b32_e32 v2, s2, v0
	v_mov_b32_e32 v3, 0
	v_mov_b32_e32 v4, 0
	;; [unrolled: 1-line block ×3, first 2 shown]
	s_and_saveexec_b64 s[4:5], vcc
	s_cbranch_execz .LBB41_5
; %bb.4:
	v_mov_b32_e32 v3, 0
	v_lshlrev_b64 v[4:5], 1, v[2:3]
	v_mov_b32_e32 v3, s13
	v_add_co_u32_e64 v6, s[0:1], s12, v4
	v_addc_co_u32_e64 v7, s[0:1], v3, v5, s[0:1]
	v_mov_b32_e32 v3, s11
	v_add_co_u32_e64 v4, s[0:1], s10, v4
	v_addc_co_u32_e64 v5, s[0:1], v3, v5, s[0:1]
	global_load_ushort v3, v[4:5], off
	global_load_ushort v8, v[6:7], off
	v_or_b32_e32 v11, 0x100, v0
	s_waitcnt vmcnt(1)
	v_and_b32_e32 v3, 0x7fff, v3
	s_waitcnt vmcnt(0)
	v_and_b32_e32 v4, 0xffff8000, v8
.LBB41_5:
	s_or_b64 exec, exec, s[4:5]
	v_cmp_gt_i32_e64 s[0:1], s6, v11
	v_mov_b32_e32 v6, 0
	s_and_saveexec_b64 s[4:5], s[0:1]
	s_cbranch_execz .LBB41_7
; %bb.6:
	v_add_u32_e32 v6, s2, v11
	v_mov_b32_e32 v7, 0
	v_lshlrev_b64 v[6:7], 1, v[6:7]
	v_mov_b32_e32 v1, s13
	v_add_co_u32_e64 v8, s[0:1], s12, v6
	v_addc_co_u32_e64 v9, s[0:1], v1, v7, s[0:1]
	v_mov_b32_e32 v1, s11
	v_add_co_u32_e64 v6, s[0:1], s10, v6
	v_addc_co_u32_e64 v7, s[0:1], v1, v7, s[0:1]
	global_load_ushort v1, v[6:7], off
	global_load_ushort v5, v[8:9], off
	v_add_u32_e32 v11, 0x100, v11
	s_waitcnt vmcnt(1)
	v_and_b32_e32 v1, 0x7fff, v1
	s_waitcnt vmcnt(0)
	v_and_b32_e32 v6, 0xffff8000, v5
.LBB41_7:
	s_or_b64 exec, exec, s[4:5]
	v_cmp_gt_i32_e64 s[0:1], s6, v11
	v_mov_b32_e32 v5, 0
	v_mov_b32_e32 v7, 0
	;; [unrolled: 1-line block ×3, first 2 shown]
	s_and_saveexec_b64 s[4:5], s[0:1]
	s_cbranch_execz .LBB41_9
; %bb.8:
	v_add_u32_e32 v8, s2, v11
	v_mov_b32_e32 v9, 0
	v_lshlrev_b64 v[8:9], 1, v[8:9]
	v_mov_b32_e32 v7, s13
	v_add_co_u32_e64 v12, s[0:1], s12, v8
	v_addc_co_u32_e64 v13, s[0:1], v7, v9, s[0:1]
	v_mov_b32_e32 v7, s11
	v_add_co_u32_e64 v8, s[0:1], s10, v8
	v_addc_co_u32_e64 v9, s[0:1], v7, v9, s[0:1]
	global_load_ushort v7, v[8:9], off
	global_load_ushort v10, v[12:13], off
	v_add_u32_e32 v11, 0x100, v11
	s_waitcnt vmcnt(1)
	v_and_b32_e32 v7, 0x7fff, v7
	s_waitcnt vmcnt(0)
	v_and_b32_e32 v8, 0xffff8000, v10
.LBB41_9:
	s_or_b64 exec, exec, s[4:5]
	v_cmp_gt_i32_e64 s[0:1], s6, v11
	v_mov_b32_e32 v10, 0
	s_and_saveexec_b64 s[4:5], s[0:1]
	s_cbranch_execz .LBB41_11
; %bb.10:
	v_add_u32_e32 v12, s2, v11
	v_mov_b32_e32 v13, 0
	v_lshlrev_b64 v[12:13], 1, v[12:13]
	v_mov_b32_e32 v5, s13
	v_add_co_u32_e64 v14, s[0:1], s12, v12
	v_addc_co_u32_e64 v15, s[0:1], v5, v13, s[0:1]
	v_mov_b32_e32 v5, s11
	v_add_co_u32_e64 v12, s[0:1], s10, v12
	v_addc_co_u32_e64 v13, s[0:1], v5, v13, s[0:1]
	global_load_ushort v5, v[12:13], off
	global_load_ushort v9, v[14:15], off
	v_add_u32_e32 v11, 0x100, v11
	s_waitcnt vmcnt(1)
	v_and_b32_e32 v5, 0x7fff, v5
	s_waitcnt vmcnt(0)
	v_and_b32_e32 v10, 0xffff8000, v9
.LBB41_11:
	s_or_b64 exec, exec, s[4:5]
	v_cmp_gt_i32_e64 s[0:1], s6, v11
	v_mov_b32_e32 v9, 0
	v_mov_b32_e32 v13, 0
	;; [unrolled: 1-line block ×3, first 2 shown]
	s_and_saveexec_b64 s[4:5], s[0:1]
	s_cbranch_execz .LBB41_13
; %bb.12:
	v_add_u32_e32 v12, s2, v11
	v_mov_b32_e32 v13, 0
	v_lshlrev_b64 v[12:13], 1, v[12:13]
	v_mov_b32_e32 v15, s13
	v_add_co_u32_e64 v14, s[0:1], s12, v12
	v_addc_co_u32_e64 v15, s[0:1], v15, v13, s[0:1]
	v_mov_b32_e32 v16, s11
	v_add_co_u32_e64 v12, s[0:1], s10, v12
	v_addc_co_u32_e64 v13, s[0:1], v16, v13, s[0:1]
	global_load_ushort v16, v[12:13], off
	global_load_ushort v17, v[14:15], off
	v_add_u32_e32 v11, 0x100, v11
	s_waitcnt vmcnt(1)
	v_and_b32_e32 v13, 0x7fff, v16
	s_waitcnt vmcnt(0)
	v_and_b32_e32 v14, 0xffff8000, v17
.LBB41_13:
	s_or_b64 exec, exec, s[4:5]
	v_cmp_gt_i32_e64 s[0:1], s6, v11
	v_mov_b32_e32 v15, 0
	s_and_saveexec_b64 s[4:5], s[0:1]
	s_cbranch_execz .LBB41_15
; %bb.14:
	v_add_u32_e32 v16, s2, v11
	v_mov_b32_e32 v17, 0
	v_lshlrev_b64 v[16:17], 1, v[16:17]
	v_mov_b32_e32 v9, s13
	v_add_co_u32_e64 v18, s[0:1], s12, v16
	v_addc_co_u32_e64 v19, s[0:1], v9, v17, s[0:1]
	v_mov_b32_e32 v9, s11
	v_add_co_u32_e64 v16, s[0:1], s10, v16
	v_addc_co_u32_e64 v17, s[0:1], v9, v17, s[0:1]
	global_load_ushort v9, v[16:17], off
	global_load_ushort v12, v[18:19], off
	v_add_u32_e32 v11, 0x100, v11
	s_waitcnt vmcnt(1)
	v_and_b32_e32 v9, 0x7fff, v9
	s_waitcnt vmcnt(0)
	v_and_b32_e32 v15, 0xffff8000, v12
.LBB41_15:
	s_or_b64 exec, exec, s[4:5]
	v_cmp_gt_i32_e64 s[0:1], s6, v11
	v_mov_b32_e32 v12, 0
	v_mov_b32_e32 v16, 0
	;; [unrolled: 1-line block ×3, first 2 shown]
	s_and_saveexec_b64 s[4:5], s[0:1]
	s_cbranch_execnz .LBB41_27
; %bb.16:
	s_or_b64 exec, exec, s[4:5]
	v_cmp_gt_i32_e64 s[0:1], s6, v11
	s_and_saveexec_b64 s[4:5], s[0:1]
	s_cbranch_execnz .LBB41_28
.LBB41_17:
	s_or_b64 exec, exec, s[4:5]
	s_and_saveexec_b64 s[0:1], vcc
	s_cbranch_execnz .LBB41_29
.LBB41_18:
	s_or_b64 exec, exec, s[0:1]
	v_cmp_gt_i32_e32 vcc, s6, v0
	s_and_saveexec_b64 s[0:1], vcc
	s_cbranch_execnz .LBB41_30
.LBB41_19:
	s_or_b64 exec, exec, s[0:1]
	v_cmp_gt_i32_e32 vcc, s6, v0
	s_and_saveexec_b64 s[0:1], vcc
	s_cbranch_execnz .LBB41_31
.LBB41_20:
	s_or_b64 exec, exec, s[0:1]
	v_cmp_gt_i32_e32 vcc, s6, v0
	s_and_saveexec_b64 s[0:1], vcc
	s_cbranch_execnz .LBB41_32
.LBB41_21:
	s_or_b64 exec, exec, s[0:1]
	v_cmp_gt_i32_e32 vcc, s6, v0
	s_and_saveexec_b64 s[0:1], vcc
	s_cbranch_execnz .LBB41_33
.LBB41_22:
	s_or_b64 exec, exec, s[0:1]
	v_cmp_gt_i32_e32 vcc, s6, v0
	s_and_saveexec_b64 s[0:1], vcc
	s_cbranch_execnz .LBB41_34
.LBB41_23:
	s_or_b64 exec, exec, s[0:1]
	v_cmp_gt_i32_e32 vcc, s6, v0
	s_and_saveexec_b64 s[0:1], vcc
	s_cbranch_execnz .LBB41_35
.LBB41_24:
	s_or_b64 exec, exec, s[0:1]
	v_cmp_gt_i32_e32 vcc, s6, v0
	s_and_saveexec_b64 s[0:1], vcc
	s_cbranch_execz .LBB41_26
.LBB41_25:
	v_add_u32_e32 v0, s2, v0
	v_mov_b32_e32 v1, 0
	v_lshlrev_b64 v[0:1], 1, v[0:1]
	v_mov_b32_e32 v2, s9
	v_add_co_u32_e32 v0, vcc, s8, v0
	v_addc_co_u32_e32 v1, vcc, v2, v1, vcc
	global_store_short v[0:1], v12, off
.LBB41_26:
	s_endpgm
.LBB41_27:
	v_add_u32_e32 v16, s2, v11
	v_mov_b32_e32 v17, 0
	v_lshlrev_b64 v[16:17], 1, v[16:17]
	v_mov_b32_e32 v19, s13
	v_add_co_u32_e64 v18, s[0:1], s12, v16
	v_addc_co_u32_e64 v19, s[0:1], v19, v17, s[0:1]
	v_mov_b32_e32 v20, s11
	v_add_co_u32_e64 v16, s[0:1], s10, v16
	v_addc_co_u32_e64 v17, s[0:1], v20, v17, s[0:1]
	global_load_ushort v20, v[16:17], off
	global_load_ushort v21, v[18:19], off
	v_add_u32_e32 v11, 0x100, v11
	s_waitcnt vmcnt(1)
	v_and_b32_e32 v16, 0x7fff, v20
	s_waitcnt vmcnt(0)
	v_and_b32_e32 v17, 0xffff8000, v21
	s_or_b64 exec, exec, s[4:5]
	v_cmp_gt_i32_e64 s[0:1], s6, v11
	s_and_saveexec_b64 s[4:5], s[0:1]
	s_cbranch_execz .LBB41_17
.LBB41_28:
	v_add_u32_e32 v18, s2, v11
	v_mov_b32_e32 v19, 0
	v_lshlrev_b64 v[18:19], 1, v[18:19]
	v_mov_b32_e32 v11, s13
	v_add_co_u32_e64 v20, s[0:1], s12, v18
	v_addc_co_u32_e64 v21, s[0:1], v11, v19, s[0:1]
	v_mov_b32_e32 v11, s11
	v_add_co_u32_e64 v18, s[0:1], s10, v18
	v_addc_co_u32_e64 v19, s[0:1], v11, v19, s[0:1]
	global_load_ushort v11, v[18:19], off
	global_load_ushort v12, v[20:21], off
	s_waitcnt vmcnt(1)
	v_and_b32_e32 v11, 0x7fff, v11
	s_waitcnt vmcnt(0)
	v_and_b32_e32 v12, 0xffff8000, v12
	v_or_b32_e32 v12, v12, v11
	s_or_b64 exec, exec, s[4:5]
	s_and_saveexec_b64 s[0:1], vcc
	s_cbranch_execz .LBB41_18
.LBB41_29:
	v_or_b32_e32 v4, v4, v3
	v_mov_b32_e32 v3, 0
	v_lshlrev_b64 v[2:3], 1, v[2:3]
	v_mov_b32_e32 v11, s9
	v_add_co_u32_e32 v2, vcc, s8, v2
	v_or_b32_e32 v0, 0x100, v0
	v_addc_co_u32_e32 v3, vcc, v11, v3, vcc
	global_store_short v[2:3], v4, off
	s_or_b64 exec, exec, s[0:1]
	v_cmp_gt_i32_e32 vcc, s6, v0
	s_and_saveexec_b64 s[0:1], vcc
	s_cbranch_execz .LBB41_19
.LBB41_30:
	v_add_u32_e32 v2, s2, v0
	v_mov_b32_e32 v3, 0
	v_lshlrev_b64 v[2:3], 1, v[2:3]
	v_mov_b32_e32 v4, s9
	v_add_co_u32_e32 v2, vcc, s8, v2
	v_or_b32_e32 v1, v6, v1
	v_addc_co_u32_e32 v3, vcc, v4, v3, vcc
	v_add_u32_e32 v0, 0x100, v0
	global_store_short v[2:3], v1, off
	s_or_b64 exec, exec, s[0:1]
	v_cmp_gt_i32_e32 vcc, s6, v0
	s_and_saveexec_b64 s[0:1], vcc
	s_cbranch_execz .LBB41_20
.LBB41_31:
	v_add_u32_e32 v2, s2, v0
	v_mov_b32_e32 v3, 0
	v_lshlrev_b64 v[2:3], 1, v[2:3]
	v_mov_b32_e32 v4, s9
	v_add_co_u32_e32 v2, vcc, s8, v2
	v_or_b32_e32 v1, v8, v7
	v_addc_co_u32_e32 v3, vcc, v4, v3, vcc
	v_add_u32_e32 v0, 0x100, v0
	global_store_short v[2:3], v1, off
	s_or_b64 exec, exec, s[0:1]
	v_cmp_gt_i32_e32 vcc, s6, v0
	s_and_saveexec_b64 s[0:1], vcc
	s_cbranch_execz .LBB41_21
.LBB41_32:
	v_add_u32_e32 v2, s2, v0
	v_mov_b32_e32 v3, 0
	v_lshlrev_b64 v[2:3], 1, v[2:3]
	v_mov_b32_e32 v4, s9
	v_add_co_u32_e32 v2, vcc, s8, v2
	v_or_b32_e32 v1, v10, v5
	v_addc_co_u32_e32 v3, vcc, v4, v3, vcc
	v_add_u32_e32 v0, 0x100, v0
	global_store_short v[2:3], v1, off
	s_or_b64 exec, exec, s[0:1]
	v_cmp_gt_i32_e32 vcc, s6, v0
	s_and_saveexec_b64 s[0:1], vcc
	s_cbranch_execz .LBB41_22
.LBB41_33:
	v_add_u32_e32 v2, s2, v0
	v_mov_b32_e32 v3, 0
	v_lshlrev_b64 v[2:3], 1, v[2:3]
	v_mov_b32_e32 v4, s9
	v_add_co_u32_e32 v2, vcc, s8, v2
	v_or_b32_e32 v1, v14, v13
	v_addc_co_u32_e32 v3, vcc, v4, v3, vcc
	v_add_u32_e32 v0, 0x100, v0
	global_store_short v[2:3], v1, off
	s_or_b64 exec, exec, s[0:1]
	v_cmp_gt_i32_e32 vcc, s6, v0
	s_and_saveexec_b64 s[0:1], vcc
	s_cbranch_execz .LBB41_23
.LBB41_34:
	v_add_u32_e32 v2, s2, v0
	v_mov_b32_e32 v3, 0
	v_lshlrev_b64 v[2:3], 1, v[2:3]
	v_mov_b32_e32 v4, s9
	v_add_co_u32_e32 v2, vcc, s8, v2
	v_or_b32_e32 v1, v15, v9
	v_addc_co_u32_e32 v3, vcc, v4, v3, vcc
	v_add_u32_e32 v0, 0x100, v0
	global_store_short v[2:3], v1, off
	s_or_b64 exec, exec, s[0:1]
	v_cmp_gt_i32_e32 vcc, s6, v0
	s_and_saveexec_b64 s[0:1], vcc
	s_cbranch_execz .LBB41_24
.LBB41_35:
	v_add_u32_e32 v2, s2, v0
	v_mov_b32_e32 v3, 0
	v_lshlrev_b64 v[2:3], 1, v[2:3]
	v_mov_b32_e32 v4, s9
	v_add_co_u32_e32 v2, vcc, s8, v2
	v_or_b32_e32 v1, v17, v16
	v_addc_co_u32_e32 v3, vcc, v4, v3, vcc
	v_add_u32_e32 v0, 0x100, v0
	global_store_short v[2:3], v1, off
	s_or_b64 exec, exec, s[0:1]
	v_cmp_gt_i32_e32 vcc, s6, v0
	s_and_saveexec_b64 s[0:1], vcc
	s_cbranch_execnz .LBB41_25
	s_branch .LBB41_26
	.section	.rodata,"a",@progbits
	.p2align	6, 0x0
	.amdhsa_kernel _ZN2at6native29vectorized_elementwise_kernelILi8ENS0_13BinaryFunctorIN3c108BFloat16ES4_S4_ZNS0_20copysign_kernel_cudaERNS_18TensorIteratorBaseEEUlS4_S4_E_EESt5arrayIPcLm3EEEEviT0_T1_
		.amdhsa_group_segment_fixed_size 0
		.amdhsa_private_segment_fixed_size 0
		.amdhsa_kernarg_size 32
		.amdhsa_user_sgpr_count 6
		.amdhsa_user_sgpr_private_segment_buffer 1
		.amdhsa_user_sgpr_dispatch_ptr 0
		.amdhsa_user_sgpr_queue_ptr 0
		.amdhsa_user_sgpr_kernarg_segment_ptr 1
		.amdhsa_user_sgpr_dispatch_id 0
		.amdhsa_user_sgpr_flat_scratch_init 0
		.amdhsa_user_sgpr_kernarg_preload_length 0
		.amdhsa_user_sgpr_kernarg_preload_offset 0
		.amdhsa_user_sgpr_private_segment_size 0
		.amdhsa_uses_dynamic_stack 0
		.amdhsa_system_sgpr_private_segment_wavefront_offset 0
		.amdhsa_system_sgpr_workgroup_id_x 1
		.amdhsa_system_sgpr_workgroup_id_y 0
		.amdhsa_system_sgpr_workgroup_id_z 0
		.amdhsa_system_sgpr_workgroup_info 0
		.amdhsa_system_vgpr_workitem_id 0
		.amdhsa_next_free_vgpr 22
		.amdhsa_next_free_sgpr 14
		.amdhsa_accum_offset 24
		.amdhsa_reserve_vcc 1
		.amdhsa_reserve_flat_scratch 0
		.amdhsa_float_round_mode_32 0
		.amdhsa_float_round_mode_16_64 0
		.amdhsa_float_denorm_mode_32 3
		.amdhsa_float_denorm_mode_16_64 3
		.amdhsa_dx10_clamp 1
		.amdhsa_ieee_mode 1
		.amdhsa_fp16_overflow 0
		.amdhsa_tg_split 0
		.amdhsa_exception_fp_ieee_invalid_op 0
		.amdhsa_exception_fp_denorm_src 0
		.amdhsa_exception_fp_ieee_div_zero 0
		.amdhsa_exception_fp_ieee_overflow 0
		.amdhsa_exception_fp_ieee_underflow 0
		.amdhsa_exception_fp_ieee_inexact 0
		.amdhsa_exception_int_div_zero 0
	.end_amdhsa_kernel
	.section	.text._ZN2at6native29vectorized_elementwise_kernelILi8ENS0_13BinaryFunctorIN3c108BFloat16ES4_S4_ZNS0_20copysign_kernel_cudaERNS_18TensorIteratorBaseEEUlS4_S4_E_EESt5arrayIPcLm3EEEEviT0_T1_,"axG",@progbits,_ZN2at6native29vectorized_elementwise_kernelILi8ENS0_13BinaryFunctorIN3c108BFloat16ES4_S4_ZNS0_20copysign_kernel_cudaERNS_18TensorIteratorBaseEEUlS4_S4_E_EESt5arrayIPcLm3EEEEviT0_T1_,comdat
.Lfunc_end41:
	.size	_ZN2at6native29vectorized_elementwise_kernelILi8ENS0_13BinaryFunctorIN3c108BFloat16ES4_S4_ZNS0_20copysign_kernel_cudaERNS_18TensorIteratorBaseEEUlS4_S4_E_EESt5arrayIPcLm3EEEEviT0_T1_, .Lfunc_end41-_ZN2at6native29vectorized_elementwise_kernelILi8ENS0_13BinaryFunctorIN3c108BFloat16ES4_S4_ZNS0_20copysign_kernel_cudaERNS_18TensorIteratorBaseEEUlS4_S4_E_EESt5arrayIPcLm3EEEEviT0_T1_
                                        ; -- End function
	.section	.AMDGPU.csdata,"",@progbits
; Kernel info:
; codeLenInByte = 2024
; NumSgprs: 18
; NumVgprs: 22
; NumAgprs: 0
; TotalNumVgprs: 22
; ScratchSize: 0
; MemoryBound: 0
; FloatMode: 240
; IeeeMode: 1
; LDSByteSize: 0 bytes/workgroup (compile time only)
; SGPRBlocks: 2
; VGPRBlocks: 2
; NumSGPRsForWavesPerEU: 18
; NumVGPRsForWavesPerEU: 22
; AccumOffset: 24
; Occupancy: 8
; WaveLimiterHint : 0
; COMPUTE_PGM_RSRC2:SCRATCH_EN: 0
; COMPUTE_PGM_RSRC2:USER_SGPR: 6
; COMPUTE_PGM_RSRC2:TRAP_HANDLER: 0
; COMPUTE_PGM_RSRC2:TGID_X_EN: 1
; COMPUTE_PGM_RSRC2:TGID_Y_EN: 0
; COMPUTE_PGM_RSRC2:TGID_Z_EN: 0
; COMPUTE_PGM_RSRC2:TIDIG_COMP_CNT: 0
; COMPUTE_PGM_RSRC3_GFX90A:ACCUM_OFFSET: 5
; COMPUTE_PGM_RSRC3_GFX90A:TG_SPLIT: 0
	.section	.text._ZN2at6native29vectorized_elementwise_kernelILi4ENS0_13BinaryFunctorIN3c108BFloat16ES4_S4_ZNS0_20copysign_kernel_cudaERNS_18TensorIteratorBaseEEUlS4_S4_E_EESt5arrayIPcLm3EEEEviT0_T1_,"axG",@progbits,_ZN2at6native29vectorized_elementwise_kernelILi4ENS0_13BinaryFunctorIN3c108BFloat16ES4_S4_ZNS0_20copysign_kernel_cudaERNS_18TensorIteratorBaseEEUlS4_S4_E_EESt5arrayIPcLm3EEEEviT0_T1_,comdat
	.globl	_ZN2at6native29vectorized_elementwise_kernelILi4ENS0_13BinaryFunctorIN3c108BFloat16ES4_S4_ZNS0_20copysign_kernel_cudaERNS_18TensorIteratorBaseEEUlS4_S4_E_EESt5arrayIPcLm3EEEEviT0_T1_ ; -- Begin function _ZN2at6native29vectorized_elementwise_kernelILi4ENS0_13BinaryFunctorIN3c108BFloat16ES4_S4_ZNS0_20copysign_kernel_cudaERNS_18TensorIteratorBaseEEUlS4_S4_E_EESt5arrayIPcLm3EEEEviT0_T1_
	.p2align	8
	.type	_ZN2at6native29vectorized_elementwise_kernelILi4ENS0_13BinaryFunctorIN3c108BFloat16ES4_S4_ZNS0_20copysign_kernel_cudaERNS_18TensorIteratorBaseEEUlS4_S4_E_EESt5arrayIPcLm3EEEEviT0_T1_,@function
_ZN2at6native29vectorized_elementwise_kernelILi4ENS0_13BinaryFunctorIN3c108BFloat16ES4_S4_ZNS0_20copysign_kernel_cudaERNS_18TensorIteratorBaseEEUlS4_S4_E_EESt5arrayIPcLm3EEEEviT0_T1_: ; @_ZN2at6native29vectorized_elementwise_kernelILi4ENS0_13BinaryFunctorIN3c108BFloat16ES4_S4_ZNS0_20copysign_kernel_cudaERNS_18TensorIteratorBaseEEUlS4_S4_E_EESt5arrayIPcLm3EEEEviT0_T1_
; %bb.0:
	s_load_dword s0, s[4:5], 0x0
	s_load_dwordx4 s[8:11], s[4:5], 0x8
	s_load_dwordx2 s[12:13], s[4:5], 0x18
	s_lshl_b32 s2, s6, 11
	s_waitcnt lgkmcnt(0)
	s_sub_i32 s6, s0, s2
	s_cmpk_gt_i32 s6, 0x7ff
	s_mov_b64 s[0:1], -1
	s_cbranch_scc0 .LBB42_2
; %bb.1:
	s_ashr_i32 s3, s2, 31
	s_lshl_b64 s[0:1], s[2:3], 1
	s_add_u32 s4, s10, s0
	s_addc_u32 s5, s11, s1
	v_lshlrev_b32_e32 v1, 3, v0
	s_add_u32 s14, s12, s0
	global_load_dwordx2 v[2:3], v1, s[4:5]
	global_load_dwordx2 v[4:5], v1, s[4:5] offset:2048
	s_addc_u32 s15, s13, s1
	global_load_dwordx2 v[6:7], v1, s[14:15]
	global_load_dwordx2 v[8:9], v1, s[14:15] offset:2048
	s_mov_b32 s3, 0x8000
	s_mov_b32 s4, 0x80008000
	s_add_u32 s0, s8, s0
	s_addc_u32 s1, s9, s1
	s_waitcnt vmcnt(3)
	v_and_b32_e32 v10, 0x7fff, v3
	v_bfe_u32 v3, v3, 16, 15
	s_waitcnt vmcnt(1)
	v_lshrrev_b32_e32 v12, 16, v7
	v_and_b32_e32 v11, 0x7fff, v5
	v_bfe_u32 v5, v5, 16, 15
	s_waitcnt vmcnt(0)
	v_lshrrev_b32_e32 v13, 16, v9
	v_and_or_b32 v3, v12, s3, v3
	v_and_or_b32 v7, v7, s3, v10
	;; [unrolled: 1-line block ×3, first 2 shown]
	v_lshlrev_b32_e32 v3, 16, v3
	v_and_or_b32 v9, v9, s3, v11
	v_bfi_b32 v2, s4, v6, v2
	v_lshlrev_b32_e32 v5, 16, v5
	v_or_b32_e32 v3, v7, v3
	v_bfi_b32 v4, s4, v8, v4
	v_or_b32_e32 v5, v9, v5
	global_store_dwordx2 v1, v[2:3], s[0:1]
	global_store_dwordx2 v1, v[4:5], s[0:1] offset:2048
	s_mov_b64 s[0:1], 0
.LBB42_2:
	s_andn2_b64 vcc, exec, s[0:1]
	s_cbranch_vccnz .LBB42_26
; %bb.3:
	v_cmp_gt_i32_e32 vcc, s6, v0
	v_mov_b32_e32 v1, 0
	v_or_b32_e32 v2, s2, v0
	v_mov_b32_e32 v3, 0
	v_mov_b32_e32 v4, 0
	v_mov_b32_e32 v11, v0
	s_and_saveexec_b64 s[4:5], vcc
	s_cbranch_execz .LBB42_5
; %bb.4:
	v_mov_b32_e32 v3, 0
	v_lshlrev_b64 v[4:5], 1, v[2:3]
	v_mov_b32_e32 v3, s13
	v_add_co_u32_e64 v6, s[0:1], s12, v4
	v_addc_co_u32_e64 v7, s[0:1], v3, v5, s[0:1]
	v_mov_b32_e32 v3, s11
	v_add_co_u32_e64 v4, s[0:1], s10, v4
	v_addc_co_u32_e64 v5, s[0:1], v3, v5, s[0:1]
	global_load_ushort v3, v[4:5], off
	global_load_ushort v8, v[6:7], off
	v_or_b32_e32 v11, 0x100, v0
	s_waitcnt vmcnt(1)
	v_and_b32_e32 v3, 0x7fff, v3
	s_waitcnt vmcnt(0)
	v_and_b32_e32 v4, 0xffff8000, v8
.LBB42_5:
	s_or_b64 exec, exec, s[4:5]
	v_cmp_gt_i32_e64 s[0:1], s6, v11
	v_mov_b32_e32 v6, 0
	s_and_saveexec_b64 s[4:5], s[0:1]
	s_cbranch_execz .LBB42_7
; %bb.6:
	v_add_u32_e32 v6, s2, v11
	v_mov_b32_e32 v7, 0
	v_lshlrev_b64 v[6:7], 1, v[6:7]
	v_mov_b32_e32 v1, s13
	v_add_co_u32_e64 v8, s[0:1], s12, v6
	v_addc_co_u32_e64 v9, s[0:1], v1, v7, s[0:1]
	v_mov_b32_e32 v1, s11
	v_add_co_u32_e64 v6, s[0:1], s10, v6
	v_addc_co_u32_e64 v7, s[0:1], v1, v7, s[0:1]
	global_load_ushort v1, v[6:7], off
	global_load_ushort v5, v[8:9], off
	v_add_u32_e32 v11, 0x100, v11
	s_waitcnt vmcnt(1)
	v_and_b32_e32 v1, 0x7fff, v1
	s_waitcnt vmcnt(0)
	v_and_b32_e32 v6, 0xffff8000, v5
.LBB42_7:
	s_or_b64 exec, exec, s[4:5]
	v_cmp_gt_i32_e64 s[0:1], s6, v11
	v_mov_b32_e32 v5, 0
	v_mov_b32_e32 v7, 0
	;; [unrolled: 1-line block ×3, first 2 shown]
	s_and_saveexec_b64 s[4:5], s[0:1]
	s_cbranch_execz .LBB42_9
; %bb.8:
	v_add_u32_e32 v8, s2, v11
	v_mov_b32_e32 v9, 0
	v_lshlrev_b64 v[8:9], 1, v[8:9]
	v_mov_b32_e32 v7, s13
	v_add_co_u32_e64 v12, s[0:1], s12, v8
	v_addc_co_u32_e64 v13, s[0:1], v7, v9, s[0:1]
	v_mov_b32_e32 v7, s11
	v_add_co_u32_e64 v8, s[0:1], s10, v8
	v_addc_co_u32_e64 v9, s[0:1], v7, v9, s[0:1]
	global_load_ushort v7, v[8:9], off
	global_load_ushort v10, v[12:13], off
	v_add_u32_e32 v11, 0x100, v11
	s_waitcnt vmcnt(1)
	v_and_b32_e32 v7, 0x7fff, v7
	s_waitcnt vmcnt(0)
	v_and_b32_e32 v8, 0xffff8000, v10
.LBB42_9:
	s_or_b64 exec, exec, s[4:5]
	v_cmp_gt_i32_e64 s[0:1], s6, v11
	v_mov_b32_e32 v10, 0
	s_and_saveexec_b64 s[4:5], s[0:1]
	s_cbranch_execz .LBB42_11
; %bb.10:
	v_add_u32_e32 v12, s2, v11
	v_mov_b32_e32 v13, 0
	v_lshlrev_b64 v[12:13], 1, v[12:13]
	v_mov_b32_e32 v5, s13
	v_add_co_u32_e64 v14, s[0:1], s12, v12
	v_addc_co_u32_e64 v15, s[0:1], v5, v13, s[0:1]
	v_mov_b32_e32 v5, s11
	v_add_co_u32_e64 v12, s[0:1], s10, v12
	v_addc_co_u32_e64 v13, s[0:1], v5, v13, s[0:1]
	global_load_ushort v5, v[12:13], off
	global_load_ushort v9, v[14:15], off
	v_add_u32_e32 v11, 0x100, v11
	s_waitcnt vmcnt(1)
	v_and_b32_e32 v5, 0x7fff, v5
	s_waitcnt vmcnt(0)
	v_and_b32_e32 v10, 0xffff8000, v9
.LBB42_11:
	s_or_b64 exec, exec, s[4:5]
	v_cmp_gt_i32_e64 s[0:1], s6, v11
	v_mov_b32_e32 v9, 0
	v_mov_b32_e32 v13, 0
	;; [unrolled: 1-line block ×3, first 2 shown]
	s_and_saveexec_b64 s[4:5], s[0:1]
	s_cbranch_execz .LBB42_13
; %bb.12:
	v_add_u32_e32 v12, s2, v11
	v_mov_b32_e32 v13, 0
	v_lshlrev_b64 v[12:13], 1, v[12:13]
	v_mov_b32_e32 v15, s13
	v_add_co_u32_e64 v14, s[0:1], s12, v12
	v_addc_co_u32_e64 v15, s[0:1], v15, v13, s[0:1]
	v_mov_b32_e32 v16, s11
	v_add_co_u32_e64 v12, s[0:1], s10, v12
	v_addc_co_u32_e64 v13, s[0:1], v16, v13, s[0:1]
	global_load_ushort v16, v[12:13], off
	global_load_ushort v17, v[14:15], off
	v_add_u32_e32 v11, 0x100, v11
	s_waitcnt vmcnt(1)
	v_and_b32_e32 v13, 0x7fff, v16
	s_waitcnt vmcnt(0)
	v_and_b32_e32 v14, 0xffff8000, v17
.LBB42_13:
	s_or_b64 exec, exec, s[4:5]
	v_cmp_gt_i32_e64 s[0:1], s6, v11
	v_mov_b32_e32 v15, 0
	s_and_saveexec_b64 s[4:5], s[0:1]
	s_cbranch_execz .LBB42_15
; %bb.14:
	v_add_u32_e32 v16, s2, v11
	v_mov_b32_e32 v17, 0
	v_lshlrev_b64 v[16:17], 1, v[16:17]
	v_mov_b32_e32 v9, s13
	v_add_co_u32_e64 v18, s[0:1], s12, v16
	v_addc_co_u32_e64 v19, s[0:1], v9, v17, s[0:1]
	v_mov_b32_e32 v9, s11
	v_add_co_u32_e64 v16, s[0:1], s10, v16
	v_addc_co_u32_e64 v17, s[0:1], v9, v17, s[0:1]
	global_load_ushort v9, v[16:17], off
	global_load_ushort v12, v[18:19], off
	v_add_u32_e32 v11, 0x100, v11
	s_waitcnt vmcnt(1)
	v_and_b32_e32 v9, 0x7fff, v9
	s_waitcnt vmcnt(0)
	v_and_b32_e32 v15, 0xffff8000, v12
.LBB42_15:
	s_or_b64 exec, exec, s[4:5]
	v_cmp_gt_i32_e64 s[0:1], s6, v11
	v_mov_b32_e32 v12, 0
	v_mov_b32_e32 v16, 0
	;; [unrolled: 1-line block ×3, first 2 shown]
	s_and_saveexec_b64 s[4:5], s[0:1]
	s_cbranch_execnz .LBB42_27
; %bb.16:
	s_or_b64 exec, exec, s[4:5]
	v_cmp_gt_i32_e64 s[0:1], s6, v11
	s_and_saveexec_b64 s[4:5], s[0:1]
	s_cbranch_execnz .LBB42_28
.LBB42_17:
	s_or_b64 exec, exec, s[4:5]
	s_and_saveexec_b64 s[0:1], vcc
	s_cbranch_execnz .LBB42_29
.LBB42_18:
	s_or_b64 exec, exec, s[0:1]
	v_cmp_gt_i32_e32 vcc, s6, v0
	s_and_saveexec_b64 s[0:1], vcc
	s_cbranch_execnz .LBB42_30
.LBB42_19:
	s_or_b64 exec, exec, s[0:1]
	v_cmp_gt_i32_e32 vcc, s6, v0
	s_and_saveexec_b64 s[0:1], vcc
	s_cbranch_execnz .LBB42_31
.LBB42_20:
	s_or_b64 exec, exec, s[0:1]
	v_cmp_gt_i32_e32 vcc, s6, v0
	s_and_saveexec_b64 s[0:1], vcc
	s_cbranch_execnz .LBB42_32
.LBB42_21:
	s_or_b64 exec, exec, s[0:1]
	v_cmp_gt_i32_e32 vcc, s6, v0
	s_and_saveexec_b64 s[0:1], vcc
	s_cbranch_execnz .LBB42_33
.LBB42_22:
	s_or_b64 exec, exec, s[0:1]
	v_cmp_gt_i32_e32 vcc, s6, v0
	s_and_saveexec_b64 s[0:1], vcc
	s_cbranch_execnz .LBB42_34
.LBB42_23:
	s_or_b64 exec, exec, s[0:1]
	v_cmp_gt_i32_e32 vcc, s6, v0
	s_and_saveexec_b64 s[0:1], vcc
	s_cbranch_execnz .LBB42_35
.LBB42_24:
	s_or_b64 exec, exec, s[0:1]
	v_cmp_gt_i32_e32 vcc, s6, v0
	s_and_saveexec_b64 s[0:1], vcc
	s_cbranch_execz .LBB42_26
.LBB42_25:
	v_add_u32_e32 v0, s2, v0
	v_mov_b32_e32 v1, 0
	v_lshlrev_b64 v[0:1], 1, v[0:1]
	v_mov_b32_e32 v2, s9
	v_add_co_u32_e32 v0, vcc, s8, v0
	v_addc_co_u32_e32 v1, vcc, v2, v1, vcc
	global_store_short v[0:1], v12, off
.LBB42_26:
	s_endpgm
.LBB42_27:
	v_add_u32_e32 v16, s2, v11
	v_mov_b32_e32 v17, 0
	v_lshlrev_b64 v[16:17], 1, v[16:17]
	v_mov_b32_e32 v19, s13
	v_add_co_u32_e64 v18, s[0:1], s12, v16
	v_addc_co_u32_e64 v19, s[0:1], v19, v17, s[0:1]
	v_mov_b32_e32 v20, s11
	v_add_co_u32_e64 v16, s[0:1], s10, v16
	v_addc_co_u32_e64 v17, s[0:1], v20, v17, s[0:1]
	global_load_ushort v20, v[16:17], off
	global_load_ushort v21, v[18:19], off
	v_add_u32_e32 v11, 0x100, v11
	s_waitcnt vmcnt(1)
	v_and_b32_e32 v16, 0x7fff, v20
	s_waitcnt vmcnt(0)
	v_and_b32_e32 v17, 0xffff8000, v21
	s_or_b64 exec, exec, s[4:5]
	v_cmp_gt_i32_e64 s[0:1], s6, v11
	s_and_saveexec_b64 s[4:5], s[0:1]
	s_cbranch_execz .LBB42_17
.LBB42_28:
	v_add_u32_e32 v18, s2, v11
	v_mov_b32_e32 v19, 0
	v_lshlrev_b64 v[18:19], 1, v[18:19]
	v_mov_b32_e32 v11, s13
	v_add_co_u32_e64 v20, s[0:1], s12, v18
	v_addc_co_u32_e64 v21, s[0:1], v11, v19, s[0:1]
	v_mov_b32_e32 v11, s11
	v_add_co_u32_e64 v18, s[0:1], s10, v18
	v_addc_co_u32_e64 v19, s[0:1], v11, v19, s[0:1]
	global_load_ushort v11, v[18:19], off
	global_load_ushort v12, v[20:21], off
	s_waitcnt vmcnt(1)
	v_and_b32_e32 v11, 0x7fff, v11
	s_waitcnt vmcnt(0)
	v_and_b32_e32 v12, 0xffff8000, v12
	v_or_b32_e32 v12, v12, v11
	s_or_b64 exec, exec, s[4:5]
	s_and_saveexec_b64 s[0:1], vcc
	s_cbranch_execz .LBB42_18
.LBB42_29:
	v_or_b32_e32 v4, v4, v3
	v_mov_b32_e32 v3, 0
	v_lshlrev_b64 v[2:3], 1, v[2:3]
	v_mov_b32_e32 v11, s9
	v_add_co_u32_e32 v2, vcc, s8, v2
	v_or_b32_e32 v0, 0x100, v0
	v_addc_co_u32_e32 v3, vcc, v11, v3, vcc
	global_store_short v[2:3], v4, off
	s_or_b64 exec, exec, s[0:1]
	v_cmp_gt_i32_e32 vcc, s6, v0
	s_and_saveexec_b64 s[0:1], vcc
	s_cbranch_execz .LBB42_19
.LBB42_30:
	v_add_u32_e32 v2, s2, v0
	v_mov_b32_e32 v3, 0
	v_lshlrev_b64 v[2:3], 1, v[2:3]
	v_mov_b32_e32 v4, s9
	v_add_co_u32_e32 v2, vcc, s8, v2
	v_or_b32_e32 v1, v6, v1
	v_addc_co_u32_e32 v3, vcc, v4, v3, vcc
	v_add_u32_e32 v0, 0x100, v0
	global_store_short v[2:3], v1, off
	s_or_b64 exec, exec, s[0:1]
	v_cmp_gt_i32_e32 vcc, s6, v0
	s_and_saveexec_b64 s[0:1], vcc
	s_cbranch_execz .LBB42_20
.LBB42_31:
	v_add_u32_e32 v2, s2, v0
	v_mov_b32_e32 v3, 0
	v_lshlrev_b64 v[2:3], 1, v[2:3]
	v_mov_b32_e32 v4, s9
	v_add_co_u32_e32 v2, vcc, s8, v2
	v_or_b32_e32 v1, v8, v7
	v_addc_co_u32_e32 v3, vcc, v4, v3, vcc
	v_add_u32_e32 v0, 0x100, v0
	global_store_short v[2:3], v1, off
	s_or_b64 exec, exec, s[0:1]
	v_cmp_gt_i32_e32 vcc, s6, v0
	s_and_saveexec_b64 s[0:1], vcc
	s_cbranch_execz .LBB42_21
.LBB42_32:
	v_add_u32_e32 v2, s2, v0
	v_mov_b32_e32 v3, 0
	v_lshlrev_b64 v[2:3], 1, v[2:3]
	v_mov_b32_e32 v4, s9
	v_add_co_u32_e32 v2, vcc, s8, v2
	v_or_b32_e32 v1, v10, v5
	v_addc_co_u32_e32 v3, vcc, v4, v3, vcc
	v_add_u32_e32 v0, 0x100, v0
	global_store_short v[2:3], v1, off
	s_or_b64 exec, exec, s[0:1]
	v_cmp_gt_i32_e32 vcc, s6, v0
	s_and_saveexec_b64 s[0:1], vcc
	s_cbranch_execz .LBB42_22
.LBB42_33:
	v_add_u32_e32 v2, s2, v0
	v_mov_b32_e32 v3, 0
	v_lshlrev_b64 v[2:3], 1, v[2:3]
	v_mov_b32_e32 v4, s9
	v_add_co_u32_e32 v2, vcc, s8, v2
	v_or_b32_e32 v1, v14, v13
	v_addc_co_u32_e32 v3, vcc, v4, v3, vcc
	v_add_u32_e32 v0, 0x100, v0
	global_store_short v[2:3], v1, off
	s_or_b64 exec, exec, s[0:1]
	v_cmp_gt_i32_e32 vcc, s6, v0
	s_and_saveexec_b64 s[0:1], vcc
	s_cbranch_execz .LBB42_23
.LBB42_34:
	v_add_u32_e32 v2, s2, v0
	v_mov_b32_e32 v3, 0
	v_lshlrev_b64 v[2:3], 1, v[2:3]
	v_mov_b32_e32 v4, s9
	v_add_co_u32_e32 v2, vcc, s8, v2
	v_or_b32_e32 v1, v15, v9
	v_addc_co_u32_e32 v3, vcc, v4, v3, vcc
	v_add_u32_e32 v0, 0x100, v0
	global_store_short v[2:3], v1, off
	s_or_b64 exec, exec, s[0:1]
	v_cmp_gt_i32_e32 vcc, s6, v0
	s_and_saveexec_b64 s[0:1], vcc
	s_cbranch_execz .LBB42_24
.LBB42_35:
	v_add_u32_e32 v2, s2, v0
	v_mov_b32_e32 v3, 0
	v_lshlrev_b64 v[2:3], 1, v[2:3]
	v_mov_b32_e32 v4, s9
	v_add_co_u32_e32 v2, vcc, s8, v2
	v_or_b32_e32 v1, v17, v16
	v_addc_co_u32_e32 v3, vcc, v4, v3, vcc
	v_add_u32_e32 v0, 0x100, v0
	global_store_short v[2:3], v1, off
	s_or_b64 exec, exec, s[0:1]
	v_cmp_gt_i32_e32 vcc, s6, v0
	s_and_saveexec_b64 s[0:1], vcc
	s_cbranch_execnz .LBB42_25
	s_branch .LBB42_26
	.section	.rodata,"a",@progbits
	.p2align	6, 0x0
	.amdhsa_kernel _ZN2at6native29vectorized_elementwise_kernelILi4ENS0_13BinaryFunctorIN3c108BFloat16ES4_S4_ZNS0_20copysign_kernel_cudaERNS_18TensorIteratorBaseEEUlS4_S4_E_EESt5arrayIPcLm3EEEEviT0_T1_
		.amdhsa_group_segment_fixed_size 0
		.amdhsa_private_segment_fixed_size 0
		.amdhsa_kernarg_size 32
		.amdhsa_user_sgpr_count 6
		.amdhsa_user_sgpr_private_segment_buffer 1
		.amdhsa_user_sgpr_dispatch_ptr 0
		.amdhsa_user_sgpr_queue_ptr 0
		.amdhsa_user_sgpr_kernarg_segment_ptr 1
		.amdhsa_user_sgpr_dispatch_id 0
		.amdhsa_user_sgpr_flat_scratch_init 0
		.amdhsa_user_sgpr_kernarg_preload_length 0
		.amdhsa_user_sgpr_kernarg_preload_offset 0
		.amdhsa_user_sgpr_private_segment_size 0
		.amdhsa_uses_dynamic_stack 0
		.amdhsa_system_sgpr_private_segment_wavefront_offset 0
		.amdhsa_system_sgpr_workgroup_id_x 1
		.amdhsa_system_sgpr_workgroup_id_y 0
		.amdhsa_system_sgpr_workgroup_id_z 0
		.amdhsa_system_sgpr_workgroup_info 0
		.amdhsa_system_vgpr_workitem_id 0
		.amdhsa_next_free_vgpr 22
		.amdhsa_next_free_sgpr 16
		.amdhsa_accum_offset 24
		.amdhsa_reserve_vcc 1
		.amdhsa_reserve_flat_scratch 0
		.amdhsa_float_round_mode_32 0
		.amdhsa_float_round_mode_16_64 0
		.amdhsa_float_denorm_mode_32 3
		.amdhsa_float_denorm_mode_16_64 3
		.amdhsa_dx10_clamp 1
		.amdhsa_ieee_mode 1
		.amdhsa_fp16_overflow 0
		.amdhsa_tg_split 0
		.amdhsa_exception_fp_ieee_invalid_op 0
		.amdhsa_exception_fp_denorm_src 0
		.amdhsa_exception_fp_ieee_div_zero 0
		.amdhsa_exception_fp_ieee_overflow 0
		.amdhsa_exception_fp_ieee_underflow 0
		.amdhsa_exception_fp_ieee_inexact 0
		.amdhsa_exception_int_div_zero 0
	.end_amdhsa_kernel
	.section	.text._ZN2at6native29vectorized_elementwise_kernelILi4ENS0_13BinaryFunctorIN3c108BFloat16ES4_S4_ZNS0_20copysign_kernel_cudaERNS_18TensorIteratorBaseEEUlS4_S4_E_EESt5arrayIPcLm3EEEEviT0_T1_,"axG",@progbits,_ZN2at6native29vectorized_elementwise_kernelILi4ENS0_13BinaryFunctorIN3c108BFloat16ES4_S4_ZNS0_20copysign_kernel_cudaERNS_18TensorIteratorBaseEEUlS4_S4_E_EESt5arrayIPcLm3EEEEviT0_T1_,comdat
.Lfunc_end42:
	.size	_ZN2at6native29vectorized_elementwise_kernelILi4ENS0_13BinaryFunctorIN3c108BFloat16ES4_S4_ZNS0_20copysign_kernel_cudaERNS_18TensorIteratorBaseEEUlS4_S4_E_EESt5arrayIPcLm3EEEEviT0_T1_, .Lfunc_end42-_ZN2at6native29vectorized_elementwise_kernelILi4ENS0_13BinaryFunctorIN3c108BFloat16ES4_S4_ZNS0_20copysign_kernel_cudaERNS_18TensorIteratorBaseEEUlS4_S4_E_EESt5arrayIPcLm3EEEEviT0_T1_
                                        ; -- End function
	.section	.AMDGPU.csdata,"",@progbits
; Kernel info:
; codeLenInByte = 1964
; NumSgprs: 20
; NumVgprs: 22
; NumAgprs: 0
; TotalNumVgprs: 22
; ScratchSize: 0
; MemoryBound: 0
; FloatMode: 240
; IeeeMode: 1
; LDSByteSize: 0 bytes/workgroup (compile time only)
; SGPRBlocks: 2
; VGPRBlocks: 2
; NumSGPRsForWavesPerEU: 20
; NumVGPRsForWavesPerEU: 22
; AccumOffset: 24
; Occupancy: 8
; WaveLimiterHint : 1
; COMPUTE_PGM_RSRC2:SCRATCH_EN: 0
; COMPUTE_PGM_RSRC2:USER_SGPR: 6
; COMPUTE_PGM_RSRC2:TRAP_HANDLER: 0
; COMPUTE_PGM_RSRC2:TGID_X_EN: 1
; COMPUTE_PGM_RSRC2:TGID_Y_EN: 0
; COMPUTE_PGM_RSRC2:TGID_Z_EN: 0
; COMPUTE_PGM_RSRC2:TIDIG_COMP_CNT: 0
; COMPUTE_PGM_RSRC3_GFX90A:ACCUM_OFFSET: 5
; COMPUTE_PGM_RSRC3_GFX90A:TG_SPLIT: 0
	.section	.text._ZN2at6native29vectorized_elementwise_kernelILi2ENS0_13BinaryFunctorIN3c108BFloat16ES4_S4_ZNS0_20copysign_kernel_cudaERNS_18TensorIteratorBaseEEUlS4_S4_E_EESt5arrayIPcLm3EEEEviT0_T1_,"axG",@progbits,_ZN2at6native29vectorized_elementwise_kernelILi2ENS0_13BinaryFunctorIN3c108BFloat16ES4_S4_ZNS0_20copysign_kernel_cudaERNS_18TensorIteratorBaseEEUlS4_S4_E_EESt5arrayIPcLm3EEEEviT0_T1_,comdat
	.globl	_ZN2at6native29vectorized_elementwise_kernelILi2ENS0_13BinaryFunctorIN3c108BFloat16ES4_S4_ZNS0_20copysign_kernel_cudaERNS_18TensorIteratorBaseEEUlS4_S4_E_EESt5arrayIPcLm3EEEEviT0_T1_ ; -- Begin function _ZN2at6native29vectorized_elementwise_kernelILi2ENS0_13BinaryFunctorIN3c108BFloat16ES4_S4_ZNS0_20copysign_kernel_cudaERNS_18TensorIteratorBaseEEUlS4_S4_E_EESt5arrayIPcLm3EEEEviT0_T1_
	.p2align	8
	.type	_ZN2at6native29vectorized_elementwise_kernelILi2ENS0_13BinaryFunctorIN3c108BFloat16ES4_S4_ZNS0_20copysign_kernel_cudaERNS_18TensorIteratorBaseEEUlS4_S4_E_EESt5arrayIPcLm3EEEEviT0_T1_,@function
_ZN2at6native29vectorized_elementwise_kernelILi2ENS0_13BinaryFunctorIN3c108BFloat16ES4_S4_ZNS0_20copysign_kernel_cudaERNS_18TensorIteratorBaseEEUlS4_S4_E_EESt5arrayIPcLm3EEEEviT0_T1_: ; @_ZN2at6native29vectorized_elementwise_kernelILi2ENS0_13BinaryFunctorIN3c108BFloat16ES4_S4_ZNS0_20copysign_kernel_cudaERNS_18TensorIteratorBaseEEUlS4_S4_E_EESt5arrayIPcLm3EEEEviT0_T1_
; %bb.0:
	s_load_dword s0, s[4:5], 0x0
	s_load_dwordx4 s[8:11], s[4:5], 0x8
	s_load_dwordx2 s[12:13], s[4:5], 0x18
	s_lshl_b32 s2, s6, 11
	s_waitcnt lgkmcnt(0)
	s_sub_i32 s6, s0, s2
	s_cmpk_gt_i32 s6, 0x7ff
	s_mov_b64 s[0:1], -1
	s_cbranch_scc0 .LBB43_2
; %bb.1:
	s_ashr_i32 s3, s2, 31
	s_lshl_b64 s[0:1], s[2:3], 1
	s_add_u32 s4, s10, s0
	s_addc_u32 s5, s11, s1
	v_lshlrev_b32_e32 v1, 2, v0
	s_add_u32 s14, s12, s0
	s_addc_u32 s15, s13, s1
	global_load_dword v2, v1, s[4:5]
	global_load_dword v3, v1, s[4:5] offset:1024
	global_load_dword v4, v1, s[4:5] offset:2048
	;; [unrolled: 1-line block ×3, first 2 shown]
	global_load_dword v6, v1, s[14:15]
	global_load_dword v7, v1, s[14:15] offset:1024
	global_load_dword v8, v1, s[14:15] offset:2048
	;; [unrolled: 1-line block ×3, first 2 shown]
	s_mov_b32 s3, 0x80008000
	s_add_u32 s0, s8, s0
	s_addc_u32 s1, s9, s1
	s_waitcnt vmcnt(3)
	v_bfi_b32 v2, s3, v6, v2
	s_waitcnt vmcnt(2)
	v_bfi_b32 v3, s3, v7, v3
	;; [unrolled: 2-line block ×4, first 2 shown]
	global_store_dword v1, v2, s[0:1]
	global_store_dword v1, v3, s[0:1] offset:1024
	global_store_dword v1, v4, s[0:1] offset:2048
	;; [unrolled: 1-line block ×3, first 2 shown]
	s_mov_b64 s[0:1], 0
.LBB43_2:
	s_andn2_b64 vcc, exec, s[0:1]
	s_cbranch_vccnz .LBB43_26
; %bb.3:
	v_cmp_gt_i32_e32 vcc, s6, v0
	v_mov_b32_e32 v1, 0
	v_or_b32_e32 v2, s2, v0
	v_mov_b32_e32 v3, 0
	v_mov_b32_e32 v4, 0
	;; [unrolled: 1-line block ×3, first 2 shown]
	s_and_saveexec_b64 s[4:5], vcc
	s_cbranch_execz .LBB43_5
; %bb.4:
	v_mov_b32_e32 v3, 0
	v_lshlrev_b64 v[4:5], 1, v[2:3]
	v_mov_b32_e32 v3, s13
	v_add_co_u32_e64 v6, s[0:1], s12, v4
	v_addc_co_u32_e64 v7, s[0:1], v3, v5, s[0:1]
	v_mov_b32_e32 v3, s11
	v_add_co_u32_e64 v4, s[0:1], s10, v4
	v_addc_co_u32_e64 v5, s[0:1], v3, v5, s[0:1]
	global_load_ushort v3, v[4:5], off
	global_load_ushort v8, v[6:7], off
	v_or_b32_e32 v11, 0x100, v0
	s_waitcnt vmcnt(1)
	v_and_b32_e32 v3, 0x7fff, v3
	s_waitcnt vmcnt(0)
	v_and_b32_e32 v4, 0xffff8000, v8
.LBB43_5:
	s_or_b64 exec, exec, s[4:5]
	v_cmp_gt_i32_e64 s[0:1], s6, v11
	v_mov_b32_e32 v6, 0
	s_and_saveexec_b64 s[4:5], s[0:1]
	s_cbranch_execz .LBB43_7
; %bb.6:
	v_add_u32_e32 v6, s2, v11
	v_mov_b32_e32 v7, 0
	v_lshlrev_b64 v[6:7], 1, v[6:7]
	v_mov_b32_e32 v1, s13
	v_add_co_u32_e64 v8, s[0:1], s12, v6
	v_addc_co_u32_e64 v9, s[0:1], v1, v7, s[0:1]
	v_mov_b32_e32 v1, s11
	v_add_co_u32_e64 v6, s[0:1], s10, v6
	v_addc_co_u32_e64 v7, s[0:1], v1, v7, s[0:1]
	global_load_ushort v1, v[6:7], off
	global_load_ushort v5, v[8:9], off
	v_add_u32_e32 v11, 0x100, v11
	s_waitcnt vmcnt(1)
	v_and_b32_e32 v1, 0x7fff, v1
	s_waitcnt vmcnt(0)
	v_and_b32_e32 v6, 0xffff8000, v5
.LBB43_7:
	s_or_b64 exec, exec, s[4:5]
	v_cmp_gt_i32_e64 s[0:1], s6, v11
	v_mov_b32_e32 v5, 0
	v_mov_b32_e32 v7, 0
	;; [unrolled: 1-line block ×3, first 2 shown]
	s_and_saveexec_b64 s[4:5], s[0:1]
	s_cbranch_execz .LBB43_9
; %bb.8:
	v_add_u32_e32 v8, s2, v11
	v_mov_b32_e32 v9, 0
	v_lshlrev_b64 v[8:9], 1, v[8:9]
	v_mov_b32_e32 v7, s13
	v_add_co_u32_e64 v12, s[0:1], s12, v8
	v_addc_co_u32_e64 v13, s[0:1], v7, v9, s[0:1]
	v_mov_b32_e32 v7, s11
	v_add_co_u32_e64 v8, s[0:1], s10, v8
	v_addc_co_u32_e64 v9, s[0:1], v7, v9, s[0:1]
	global_load_ushort v7, v[8:9], off
	global_load_ushort v10, v[12:13], off
	v_add_u32_e32 v11, 0x100, v11
	s_waitcnt vmcnt(1)
	v_and_b32_e32 v7, 0x7fff, v7
	s_waitcnt vmcnt(0)
	v_and_b32_e32 v8, 0xffff8000, v10
.LBB43_9:
	s_or_b64 exec, exec, s[4:5]
	v_cmp_gt_i32_e64 s[0:1], s6, v11
	v_mov_b32_e32 v10, 0
	s_and_saveexec_b64 s[4:5], s[0:1]
	s_cbranch_execz .LBB43_11
; %bb.10:
	v_add_u32_e32 v12, s2, v11
	v_mov_b32_e32 v13, 0
	v_lshlrev_b64 v[12:13], 1, v[12:13]
	v_mov_b32_e32 v5, s13
	v_add_co_u32_e64 v14, s[0:1], s12, v12
	v_addc_co_u32_e64 v15, s[0:1], v5, v13, s[0:1]
	v_mov_b32_e32 v5, s11
	v_add_co_u32_e64 v12, s[0:1], s10, v12
	v_addc_co_u32_e64 v13, s[0:1], v5, v13, s[0:1]
	global_load_ushort v5, v[12:13], off
	global_load_ushort v9, v[14:15], off
	v_add_u32_e32 v11, 0x100, v11
	s_waitcnt vmcnt(1)
	v_and_b32_e32 v5, 0x7fff, v5
	s_waitcnt vmcnt(0)
	v_and_b32_e32 v10, 0xffff8000, v9
.LBB43_11:
	s_or_b64 exec, exec, s[4:5]
	v_cmp_gt_i32_e64 s[0:1], s6, v11
	v_mov_b32_e32 v9, 0
	v_mov_b32_e32 v13, 0
	;; [unrolled: 1-line block ×3, first 2 shown]
	s_and_saveexec_b64 s[4:5], s[0:1]
	s_cbranch_execz .LBB43_13
; %bb.12:
	v_add_u32_e32 v12, s2, v11
	v_mov_b32_e32 v13, 0
	v_lshlrev_b64 v[12:13], 1, v[12:13]
	v_mov_b32_e32 v15, s13
	v_add_co_u32_e64 v14, s[0:1], s12, v12
	v_addc_co_u32_e64 v15, s[0:1], v15, v13, s[0:1]
	v_mov_b32_e32 v16, s11
	v_add_co_u32_e64 v12, s[0:1], s10, v12
	v_addc_co_u32_e64 v13, s[0:1], v16, v13, s[0:1]
	global_load_ushort v16, v[12:13], off
	global_load_ushort v17, v[14:15], off
	v_add_u32_e32 v11, 0x100, v11
	s_waitcnt vmcnt(1)
	v_and_b32_e32 v13, 0x7fff, v16
	s_waitcnt vmcnt(0)
	v_and_b32_e32 v14, 0xffff8000, v17
.LBB43_13:
	s_or_b64 exec, exec, s[4:5]
	v_cmp_gt_i32_e64 s[0:1], s6, v11
	v_mov_b32_e32 v15, 0
	s_and_saveexec_b64 s[4:5], s[0:1]
	s_cbranch_execz .LBB43_15
; %bb.14:
	v_add_u32_e32 v16, s2, v11
	v_mov_b32_e32 v17, 0
	v_lshlrev_b64 v[16:17], 1, v[16:17]
	v_mov_b32_e32 v9, s13
	v_add_co_u32_e64 v18, s[0:1], s12, v16
	v_addc_co_u32_e64 v19, s[0:1], v9, v17, s[0:1]
	v_mov_b32_e32 v9, s11
	v_add_co_u32_e64 v16, s[0:1], s10, v16
	v_addc_co_u32_e64 v17, s[0:1], v9, v17, s[0:1]
	global_load_ushort v9, v[16:17], off
	global_load_ushort v12, v[18:19], off
	v_add_u32_e32 v11, 0x100, v11
	s_waitcnt vmcnt(1)
	v_and_b32_e32 v9, 0x7fff, v9
	s_waitcnt vmcnt(0)
	v_and_b32_e32 v15, 0xffff8000, v12
.LBB43_15:
	s_or_b64 exec, exec, s[4:5]
	v_cmp_gt_i32_e64 s[0:1], s6, v11
	v_mov_b32_e32 v12, 0
	v_mov_b32_e32 v16, 0
	;; [unrolled: 1-line block ×3, first 2 shown]
	s_and_saveexec_b64 s[4:5], s[0:1]
	s_cbranch_execnz .LBB43_27
; %bb.16:
	s_or_b64 exec, exec, s[4:5]
	v_cmp_gt_i32_e64 s[0:1], s6, v11
	s_and_saveexec_b64 s[4:5], s[0:1]
	s_cbranch_execnz .LBB43_28
.LBB43_17:
	s_or_b64 exec, exec, s[4:5]
	s_and_saveexec_b64 s[0:1], vcc
	s_cbranch_execnz .LBB43_29
.LBB43_18:
	s_or_b64 exec, exec, s[0:1]
	v_cmp_gt_i32_e32 vcc, s6, v0
	s_and_saveexec_b64 s[0:1], vcc
	s_cbranch_execnz .LBB43_30
.LBB43_19:
	s_or_b64 exec, exec, s[0:1]
	v_cmp_gt_i32_e32 vcc, s6, v0
	s_and_saveexec_b64 s[0:1], vcc
	s_cbranch_execnz .LBB43_31
.LBB43_20:
	s_or_b64 exec, exec, s[0:1]
	v_cmp_gt_i32_e32 vcc, s6, v0
	s_and_saveexec_b64 s[0:1], vcc
	s_cbranch_execnz .LBB43_32
.LBB43_21:
	s_or_b64 exec, exec, s[0:1]
	v_cmp_gt_i32_e32 vcc, s6, v0
	s_and_saveexec_b64 s[0:1], vcc
	s_cbranch_execnz .LBB43_33
.LBB43_22:
	s_or_b64 exec, exec, s[0:1]
	v_cmp_gt_i32_e32 vcc, s6, v0
	s_and_saveexec_b64 s[0:1], vcc
	s_cbranch_execnz .LBB43_34
.LBB43_23:
	s_or_b64 exec, exec, s[0:1]
	v_cmp_gt_i32_e32 vcc, s6, v0
	s_and_saveexec_b64 s[0:1], vcc
	s_cbranch_execnz .LBB43_35
.LBB43_24:
	s_or_b64 exec, exec, s[0:1]
	v_cmp_gt_i32_e32 vcc, s6, v0
	s_and_saveexec_b64 s[0:1], vcc
	s_cbranch_execz .LBB43_26
.LBB43_25:
	v_add_u32_e32 v0, s2, v0
	v_mov_b32_e32 v1, 0
	v_lshlrev_b64 v[0:1], 1, v[0:1]
	v_mov_b32_e32 v2, s9
	v_add_co_u32_e32 v0, vcc, s8, v0
	v_addc_co_u32_e32 v1, vcc, v2, v1, vcc
	global_store_short v[0:1], v12, off
.LBB43_26:
	s_endpgm
.LBB43_27:
	v_add_u32_e32 v16, s2, v11
	v_mov_b32_e32 v17, 0
	v_lshlrev_b64 v[16:17], 1, v[16:17]
	v_mov_b32_e32 v19, s13
	v_add_co_u32_e64 v18, s[0:1], s12, v16
	v_addc_co_u32_e64 v19, s[0:1], v19, v17, s[0:1]
	v_mov_b32_e32 v20, s11
	v_add_co_u32_e64 v16, s[0:1], s10, v16
	v_addc_co_u32_e64 v17, s[0:1], v20, v17, s[0:1]
	global_load_ushort v20, v[16:17], off
	global_load_ushort v21, v[18:19], off
	v_add_u32_e32 v11, 0x100, v11
	s_waitcnt vmcnt(1)
	v_and_b32_e32 v16, 0x7fff, v20
	s_waitcnt vmcnt(0)
	v_and_b32_e32 v17, 0xffff8000, v21
	s_or_b64 exec, exec, s[4:5]
	v_cmp_gt_i32_e64 s[0:1], s6, v11
	s_and_saveexec_b64 s[4:5], s[0:1]
	s_cbranch_execz .LBB43_17
.LBB43_28:
	v_add_u32_e32 v18, s2, v11
	v_mov_b32_e32 v19, 0
	v_lshlrev_b64 v[18:19], 1, v[18:19]
	v_mov_b32_e32 v11, s13
	v_add_co_u32_e64 v20, s[0:1], s12, v18
	v_addc_co_u32_e64 v21, s[0:1], v11, v19, s[0:1]
	v_mov_b32_e32 v11, s11
	v_add_co_u32_e64 v18, s[0:1], s10, v18
	v_addc_co_u32_e64 v19, s[0:1], v11, v19, s[0:1]
	global_load_ushort v11, v[18:19], off
	global_load_ushort v12, v[20:21], off
	s_waitcnt vmcnt(1)
	v_and_b32_e32 v11, 0x7fff, v11
	s_waitcnt vmcnt(0)
	v_and_b32_e32 v12, 0xffff8000, v12
	v_or_b32_e32 v12, v12, v11
	s_or_b64 exec, exec, s[4:5]
	s_and_saveexec_b64 s[0:1], vcc
	s_cbranch_execz .LBB43_18
.LBB43_29:
	v_or_b32_e32 v4, v4, v3
	v_mov_b32_e32 v3, 0
	v_lshlrev_b64 v[2:3], 1, v[2:3]
	v_mov_b32_e32 v11, s9
	v_add_co_u32_e32 v2, vcc, s8, v2
	v_or_b32_e32 v0, 0x100, v0
	v_addc_co_u32_e32 v3, vcc, v11, v3, vcc
	global_store_short v[2:3], v4, off
	s_or_b64 exec, exec, s[0:1]
	v_cmp_gt_i32_e32 vcc, s6, v0
	s_and_saveexec_b64 s[0:1], vcc
	s_cbranch_execz .LBB43_19
.LBB43_30:
	v_add_u32_e32 v2, s2, v0
	v_mov_b32_e32 v3, 0
	v_lshlrev_b64 v[2:3], 1, v[2:3]
	v_mov_b32_e32 v4, s9
	v_add_co_u32_e32 v2, vcc, s8, v2
	v_or_b32_e32 v1, v6, v1
	v_addc_co_u32_e32 v3, vcc, v4, v3, vcc
	v_add_u32_e32 v0, 0x100, v0
	global_store_short v[2:3], v1, off
	s_or_b64 exec, exec, s[0:1]
	v_cmp_gt_i32_e32 vcc, s6, v0
	s_and_saveexec_b64 s[0:1], vcc
	s_cbranch_execz .LBB43_20
.LBB43_31:
	v_add_u32_e32 v2, s2, v0
	v_mov_b32_e32 v3, 0
	v_lshlrev_b64 v[2:3], 1, v[2:3]
	v_mov_b32_e32 v4, s9
	v_add_co_u32_e32 v2, vcc, s8, v2
	v_or_b32_e32 v1, v8, v7
	v_addc_co_u32_e32 v3, vcc, v4, v3, vcc
	v_add_u32_e32 v0, 0x100, v0
	global_store_short v[2:3], v1, off
	s_or_b64 exec, exec, s[0:1]
	v_cmp_gt_i32_e32 vcc, s6, v0
	s_and_saveexec_b64 s[0:1], vcc
	s_cbranch_execz .LBB43_21
.LBB43_32:
	v_add_u32_e32 v2, s2, v0
	v_mov_b32_e32 v3, 0
	v_lshlrev_b64 v[2:3], 1, v[2:3]
	v_mov_b32_e32 v4, s9
	v_add_co_u32_e32 v2, vcc, s8, v2
	v_or_b32_e32 v1, v10, v5
	v_addc_co_u32_e32 v3, vcc, v4, v3, vcc
	v_add_u32_e32 v0, 0x100, v0
	global_store_short v[2:3], v1, off
	s_or_b64 exec, exec, s[0:1]
	v_cmp_gt_i32_e32 vcc, s6, v0
	s_and_saveexec_b64 s[0:1], vcc
	s_cbranch_execz .LBB43_22
.LBB43_33:
	v_add_u32_e32 v2, s2, v0
	v_mov_b32_e32 v3, 0
	v_lshlrev_b64 v[2:3], 1, v[2:3]
	v_mov_b32_e32 v4, s9
	v_add_co_u32_e32 v2, vcc, s8, v2
	v_or_b32_e32 v1, v14, v13
	v_addc_co_u32_e32 v3, vcc, v4, v3, vcc
	v_add_u32_e32 v0, 0x100, v0
	global_store_short v[2:3], v1, off
	s_or_b64 exec, exec, s[0:1]
	v_cmp_gt_i32_e32 vcc, s6, v0
	s_and_saveexec_b64 s[0:1], vcc
	s_cbranch_execz .LBB43_23
.LBB43_34:
	v_add_u32_e32 v2, s2, v0
	v_mov_b32_e32 v3, 0
	v_lshlrev_b64 v[2:3], 1, v[2:3]
	v_mov_b32_e32 v4, s9
	v_add_co_u32_e32 v2, vcc, s8, v2
	v_or_b32_e32 v1, v15, v9
	v_addc_co_u32_e32 v3, vcc, v4, v3, vcc
	v_add_u32_e32 v0, 0x100, v0
	global_store_short v[2:3], v1, off
	s_or_b64 exec, exec, s[0:1]
	v_cmp_gt_i32_e32 vcc, s6, v0
	s_and_saveexec_b64 s[0:1], vcc
	s_cbranch_execz .LBB43_24
.LBB43_35:
	v_add_u32_e32 v2, s2, v0
	v_mov_b32_e32 v3, 0
	v_lshlrev_b64 v[2:3], 1, v[2:3]
	v_mov_b32_e32 v4, s9
	v_add_co_u32_e32 v2, vcc, s8, v2
	v_or_b32_e32 v1, v17, v16
	v_addc_co_u32_e32 v3, vcc, v4, v3, vcc
	v_add_u32_e32 v0, 0x100, v0
	global_store_short v[2:3], v1, off
	s_or_b64 exec, exec, s[0:1]
	v_cmp_gt_i32_e32 vcc, s6, v0
	s_and_saveexec_b64 s[0:1], vcc
	s_cbranch_execnz .LBB43_25
	s_branch .LBB43_26
	.section	.rodata,"a",@progbits
	.p2align	6, 0x0
	.amdhsa_kernel _ZN2at6native29vectorized_elementwise_kernelILi2ENS0_13BinaryFunctorIN3c108BFloat16ES4_S4_ZNS0_20copysign_kernel_cudaERNS_18TensorIteratorBaseEEUlS4_S4_E_EESt5arrayIPcLm3EEEEviT0_T1_
		.amdhsa_group_segment_fixed_size 0
		.amdhsa_private_segment_fixed_size 0
		.amdhsa_kernarg_size 32
		.amdhsa_user_sgpr_count 6
		.amdhsa_user_sgpr_private_segment_buffer 1
		.amdhsa_user_sgpr_dispatch_ptr 0
		.amdhsa_user_sgpr_queue_ptr 0
		.amdhsa_user_sgpr_kernarg_segment_ptr 1
		.amdhsa_user_sgpr_dispatch_id 0
		.amdhsa_user_sgpr_flat_scratch_init 0
		.amdhsa_user_sgpr_kernarg_preload_length 0
		.amdhsa_user_sgpr_kernarg_preload_offset 0
		.amdhsa_user_sgpr_private_segment_size 0
		.amdhsa_uses_dynamic_stack 0
		.amdhsa_system_sgpr_private_segment_wavefront_offset 0
		.amdhsa_system_sgpr_workgroup_id_x 1
		.amdhsa_system_sgpr_workgroup_id_y 0
		.amdhsa_system_sgpr_workgroup_id_z 0
		.amdhsa_system_sgpr_workgroup_info 0
		.amdhsa_system_vgpr_workitem_id 0
		.amdhsa_next_free_vgpr 22
		.amdhsa_next_free_sgpr 16
		.amdhsa_accum_offset 24
		.amdhsa_reserve_vcc 1
		.amdhsa_reserve_flat_scratch 0
		.amdhsa_float_round_mode_32 0
		.amdhsa_float_round_mode_16_64 0
		.amdhsa_float_denorm_mode_32 3
		.amdhsa_float_denorm_mode_16_64 3
		.amdhsa_dx10_clamp 1
		.amdhsa_ieee_mode 1
		.amdhsa_fp16_overflow 0
		.amdhsa_tg_split 0
		.amdhsa_exception_fp_ieee_invalid_op 0
		.amdhsa_exception_fp_denorm_src 0
		.amdhsa_exception_fp_ieee_div_zero 0
		.amdhsa_exception_fp_ieee_overflow 0
		.amdhsa_exception_fp_ieee_underflow 0
		.amdhsa_exception_fp_ieee_inexact 0
		.amdhsa_exception_int_div_zero 0
	.end_amdhsa_kernel
	.section	.text._ZN2at6native29vectorized_elementwise_kernelILi2ENS0_13BinaryFunctorIN3c108BFloat16ES4_S4_ZNS0_20copysign_kernel_cudaERNS_18TensorIteratorBaseEEUlS4_S4_E_EESt5arrayIPcLm3EEEEviT0_T1_,"axG",@progbits,_ZN2at6native29vectorized_elementwise_kernelILi2ENS0_13BinaryFunctorIN3c108BFloat16ES4_S4_ZNS0_20copysign_kernel_cudaERNS_18TensorIteratorBaseEEUlS4_S4_E_EESt5arrayIPcLm3EEEEviT0_T1_,comdat
.Lfunc_end43:
	.size	_ZN2at6native29vectorized_elementwise_kernelILi2ENS0_13BinaryFunctorIN3c108BFloat16ES4_S4_ZNS0_20copysign_kernel_cudaERNS_18TensorIteratorBaseEEUlS4_S4_E_EESt5arrayIPcLm3EEEEviT0_T1_, .Lfunc_end43-_ZN2at6native29vectorized_elementwise_kernelILi2ENS0_13BinaryFunctorIN3c108BFloat16ES4_S4_ZNS0_20copysign_kernel_cudaERNS_18TensorIteratorBaseEEUlS4_S4_E_EESt5arrayIPcLm3EEEEviT0_T1_
                                        ; -- End function
	.section	.AMDGPU.csdata,"",@progbits
; Kernel info:
; codeLenInByte = 1936
; NumSgprs: 20
; NumVgprs: 22
; NumAgprs: 0
; TotalNumVgprs: 22
; ScratchSize: 0
; MemoryBound: 0
; FloatMode: 240
; IeeeMode: 1
; LDSByteSize: 0 bytes/workgroup (compile time only)
; SGPRBlocks: 2
; VGPRBlocks: 2
; NumSGPRsForWavesPerEU: 20
; NumVGPRsForWavesPerEU: 22
; AccumOffset: 24
; Occupancy: 8
; WaveLimiterHint : 1
; COMPUTE_PGM_RSRC2:SCRATCH_EN: 0
; COMPUTE_PGM_RSRC2:USER_SGPR: 6
; COMPUTE_PGM_RSRC2:TRAP_HANDLER: 0
; COMPUTE_PGM_RSRC2:TGID_X_EN: 1
; COMPUTE_PGM_RSRC2:TGID_Y_EN: 0
; COMPUTE_PGM_RSRC2:TGID_Z_EN: 0
; COMPUTE_PGM_RSRC2:TIDIG_COMP_CNT: 0
; COMPUTE_PGM_RSRC3_GFX90A:ACCUM_OFFSET: 5
; COMPUTE_PGM_RSRC3_GFX90A:TG_SPLIT: 0
	.section	.text._ZN2at6native27unrolled_elementwise_kernelINS0_13BinaryFunctorIN3c108BFloat16ES4_S4_ZNS0_20copysign_kernel_cudaERNS_18TensorIteratorBaseEEUlS4_S4_E_EESt5arrayIPcLm3EELi4E23TrivialOffsetCalculatorILi2EjESC_ILi1EjENS0_6memory15LoadWithoutCastENSF_16StoreWithoutCastEEEviT_T0_T2_T3_T4_T5_,"axG",@progbits,_ZN2at6native27unrolled_elementwise_kernelINS0_13BinaryFunctorIN3c108BFloat16ES4_S4_ZNS0_20copysign_kernel_cudaERNS_18TensorIteratorBaseEEUlS4_S4_E_EESt5arrayIPcLm3EELi4E23TrivialOffsetCalculatorILi2EjESC_ILi1EjENS0_6memory15LoadWithoutCastENSF_16StoreWithoutCastEEEviT_T0_T2_T3_T4_T5_,comdat
	.globl	_ZN2at6native27unrolled_elementwise_kernelINS0_13BinaryFunctorIN3c108BFloat16ES4_S4_ZNS0_20copysign_kernel_cudaERNS_18TensorIteratorBaseEEUlS4_S4_E_EESt5arrayIPcLm3EELi4E23TrivialOffsetCalculatorILi2EjESC_ILi1EjENS0_6memory15LoadWithoutCastENSF_16StoreWithoutCastEEEviT_T0_T2_T3_T4_T5_ ; -- Begin function _ZN2at6native27unrolled_elementwise_kernelINS0_13BinaryFunctorIN3c108BFloat16ES4_S4_ZNS0_20copysign_kernel_cudaERNS_18TensorIteratorBaseEEUlS4_S4_E_EESt5arrayIPcLm3EELi4E23TrivialOffsetCalculatorILi2EjESC_ILi1EjENS0_6memory15LoadWithoutCastENSF_16StoreWithoutCastEEEviT_T0_T2_T3_T4_T5_
	.p2align	8
	.type	_ZN2at6native27unrolled_elementwise_kernelINS0_13BinaryFunctorIN3c108BFloat16ES4_S4_ZNS0_20copysign_kernel_cudaERNS_18TensorIteratorBaseEEUlS4_S4_E_EESt5arrayIPcLm3EELi4E23TrivialOffsetCalculatorILi2EjESC_ILi1EjENS0_6memory15LoadWithoutCastENSF_16StoreWithoutCastEEEviT_T0_T2_T3_T4_T5_,@function
_ZN2at6native27unrolled_elementwise_kernelINS0_13BinaryFunctorIN3c108BFloat16ES4_S4_ZNS0_20copysign_kernel_cudaERNS_18TensorIteratorBaseEEUlS4_S4_E_EESt5arrayIPcLm3EELi4E23TrivialOffsetCalculatorILi2EjESC_ILi1EjENS0_6memory15LoadWithoutCastENSF_16StoreWithoutCastEEEviT_T0_T2_T3_T4_T5_: ; @_ZN2at6native27unrolled_elementwise_kernelINS0_13BinaryFunctorIN3c108BFloat16ES4_S4_ZNS0_20copysign_kernel_cudaERNS_18TensorIteratorBaseEEUlS4_S4_E_EESt5arrayIPcLm3EELi4E23TrivialOffsetCalculatorILi2EjESC_ILi1EjENS0_6memory15LoadWithoutCastENSF_16StoreWithoutCastEEEviT_T0_T2_T3_T4_T5_
; %bb.0:
	s_load_dword s0, s[4:5], 0x0
	s_load_dwordx4 s[8:11], s[4:5], 0x8
	s_load_dwordx2 s[2:3], s[4:5], 0x18
	s_lshl_b32 s6, s6, 10
	v_mov_b32_e32 v1, 0
	s_waitcnt lgkmcnt(0)
	s_sub_i32 s7, s0, s6
	v_cmp_gt_i32_e32 vcc, s7, v0
	v_or_b32_e32 v2, s6, v0
	v_mov_b32_e32 v4, 0
	v_mov_b32_e32 v5, 0
	v_mov_b32_e32 v3, v0
	s_and_saveexec_b64 s[4:5], vcc
	s_cbranch_execz .LBB44_2
; %bb.1:
	v_mov_b32_e32 v3, 0
	v_lshlrev_b64 v[4:5], 1, v[2:3]
	v_mov_b32_e32 v3, s11
	v_add_co_u32_e64 v6, s[0:1], s10, v4
	v_addc_co_u32_e64 v7, s[0:1], v3, v5, s[0:1]
	v_mov_b32_e32 v3, s3
	v_add_co_u32_e64 v4, s[0:1], s2, v4
	v_addc_co_u32_e64 v5, s[0:1], v3, v5, s[0:1]
	global_load_ushort v8, v[6:7], off
	global_load_ushort v9, v[4:5], off
	v_or_b32_e32 v3, 0x100, v0
	s_waitcnt vmcnt(1)
	v_and_b32_e32 v4, 0x7fff, v8
	s_waitcnt vmcnt(0)
	v_and_b32_e32 v5, 0xffff8000, v9
.LBB44_2:
	s_or_b64 exec, exec, s[4:5]
	v_cmp_gt_i32_e64 s[0:1], s7, v3
	v_mov_b32_e32 v7, 0
	s_and_saveexec_b64 s[4:5], s[0:1]
	s_cbranch_execz .LBB44_4
; %bb.3:
	v_add_u32_e32 v6, s6, v3
	v_mov_b32_e32 v7, 0
	v_lshlrev_b64 v[6:7], 1, v[6:7]
	v_mov_b32_e32 v1, s11
	v_add_co_u32_e64 v8, s[0:1], s10, v6
	v_addc_co_u32_e64 v9, s[0:1], v1, v7, s[0:1]
	v_mov_b32_e32 v1, s3
	v_add_co_u32_e64 v6, s[0:1], s2, v6
	v_addc_co_u32_e64 v7, s[0:1], v1, v7, s[0:1]
	global_load_ushort v1, v[8:9], off
	global_load_ushort v10, v[6:7], off
	v_add_u32_e32 v3, 0x100, v3
	s_waitcnt vmcnt(1)
	v_and_b32_e32 v1, 0x7fff, v1
	s_waitcnt vmcnt(0)
	v_and_b32_e32 v7, 0xffff8000, v10
.LBB44_4:
	s_or_b64 exec, exec, s[4:5]
	v_cmp_gt_i32_e64 s[0:1], s7, v3
	v_mov_b32_e32 v6, 0
	v_mov_b32_e32 v8, 0
	;; [unrolled: 1-line block ×3, first 2 shown]
	s_and_saveexec_b64 s[4:5], s[0:1]
	s_cbranch_execnz .LBB44_11
; %bb.5:
	s_or_b64 exec, exec, s[4:5]
	v_cmp_gt_i32_e64 s[0:1], s7, v3
	s_and_saveexec_b64 s[4:5], s[0:1]
	s_cbranch_execnz .LBB44_12
.LBB44_6:
	s_or_b64 exec, exec, s[4:5]
	s_and_saveexec_b64 s[0:1], vcc
	s_cbranch_execnz .LBB44_13
.LBB44_7:
	s_or_b64 exec, exec, s[0:1]
	v_cmp_gt_i32_e32 vcc, s7, v0
	s_and_saveexec_b64 s[0:1], vcc
	s_cbranch_execnz .LBB44_14
.LBB44_8:
	s_or_b64 exec, exec, s[0:1]
	v_cmp_gt_i32_e32 vcc, s7, v0
	s_and_saveexec_b64 s[0:1], vcc
	s_cbranch_execnz .LBB44_15
.LBB44_9:
	s_or_b64 exec, exec, s[0:1]
	v_cmp_gt_i32_e32 vcc, s7, v0
	s_and_saveexec_b64 s[0:1], vcc
	s_cbranch_execnz .LBB44_16
.LBB44_10:
	s_endpgm
.LBB44_11:
	v_add_u32_e32 v8, s6, v3
	v_mov_b32_e32 v9, 0
	v_lshlrev_b64 v[8:9], 1, v[8:9]
	v_mov_b32_e32 v11, s11
	v_add_co_u32_e64 v10, s[0:1], s10, v8
	v_addc_co_u32_e64 v11, s[0:1], v11, v9, s[0:1]
	v_mov_b32_e32 v12, s3
	v_add_co_u32_e64 v8, s[0:1], s2, v8
	v_addc_co_u32_e64 v9, s[0:1], v12, v9, s[0:1]
	global_load_ushort v12, v[10:11], off
	global_load_ushort v13, v[8:9], off
	v_add_u32_e32 v3, 0x100, v3
	s_waitcnt vmcnt(1)
	v_and_b32_e32 v8, 0x7fff, v12
	s_waitcnt vmcnt(0)
	v_and_b32_e32 v9, 0xffff8000, v13
	s_or_b64 exec, exec, s[4:5]
	v_cmp_gt_i32_e64 s[0:1], s7, v3
	s_and_saveexec_b64 s[4:5], s[0:1]
	s_cbranch_execz .LBB44_6
.LBB44_12:
	v_add_u32_e32 v10, s6, v3
	v_mov_b32_e32 v11, 0
	v_lshlrev_b64 v[10:11], 1, v[10:11]
	v_mov_b32_e32 v3, s3
	v_add_co_u32_e64 v12, s[0:1], s2, v10
	v_addc_co_u32_e64 v13, s[0:1], v3, v11, s[0:1]
	v_mov_b32_e32 v3, s11
	v_add_co_u32_e64 v10, s[0:1], s10, v10
	v_addc_co_u32_e64 v11, s[0:1], v3, v11, s[0:1]
	global_load_ushort v3, v[10:11], off
	global_load_ushort v6, v[12:13], off
	s_waitcnt vmcnt(1)
	v_and_b32_e32 v3, 0x7fff, v3
	s_waitcnt vmcnt(0)
	v_and_b32_e32 v6, 0xffff8000, v6
	v_or_b32_e32 v6, v6, v3
	s_or_b64 exec, exec, s[4:5]
	s_and_saveexec_b64 s[0:1], vcc
	s_cbranch_execz .LBB44_7
.LBB44_13:
	v_mov_b32_e32 v3, 0
	v_lshlrev_b64 v[2:3], 1, v[2:3]
	v_mov_b32_e32 v10, s9
	v_add_co_u32_e32 v2, vcc, s8, v2
	v_or_b32_e32 v0, 0x100, v0
	v_addc_co_u32_e32 v3, vcc, v10, v3, vcc
	v_or_b32_e32 v4, v5, v4
	global_store_short v[2:3], v4, off
	s_or_b64 exec, exec, s[0:1]
	v_cmp_gt_i32_e32 vcc, s7, v0
	s_and_saveexec_b64 s[0:1], vcc
	s_cbranch_execz .LBB44_8
.LBB44_14:
	v_or_b32_e32 v2, v7, v1
	v_add_u32_e32 v3, 0x100, v0
	v_add_u32_e32 v0, s6, v0
	v_mov_b32_e32 v1, 0
	v_lshlrev_b64 v[0:1], 1, v[0:1]
	v_mov_b32_e32 v4, s9
	v_add_co_u32_e32 v0, vcc, s8, v0
	v_addc_co_u32_e32 v1, vcc, v4, v1, vcc
	global_store_short v[0:1], v2, off
	v_mov_b32_e32 v0, v3
	s_or_b64 exec, exec, s[0:1]
	v_cmp_gt_i32_e32 vcc, s7, v0
	s_and_saveexec_b64 s[0:1], vcc
	s_cbranch_execz .LBB44_9
.LBB44_15:
	v_add_u32_e32 v3, 0x100, v0
	v_add_u32_e32 v0, s6, v0
	v_mov_b32_e32 v1, 0
	v_lshlrev_b64 v[0:1], 1, v[0:1]
	v_mov_b32_e32 v4, s9
	v_add_co_u32_e32 v0, vcc, s8, v0
	v_or_b32_e32 v2, v9, v8
	v_addc_co_u32_e32 v1, vcc, v4, v1, vcc
	global_store_short v[0:1], v2, off
	v_mov_b32_e32 v0, v3
	s_or_b64 exec, exec, s[0:1]
	v_cmp_gt_i32_e32 vcc, s7, v0
	s_and_saveexec_b64 s[0:1], vcc
	s_cbranch_execz .LBB44_10
.LBB44_16:
	v_add_u32_e32 v0, s6, v0
	v_mov_b32_e32 v1, 0
	v_lshlrev_b64 v[0:1], 1, v[0:1]
	v_mov_b32_e32 v2, s9
	v_add_co_u32_e32 v0, vcc, s8, v0
	v_addc_co_u32_e32 v1, vcc, v2, v1, vcc
	global_store_short v[0:1], v6, off
	s_endpgm
	.section	.rodata,"a",@progbits
	.p2align	6, 0x0
	.amdhsa_kernel _ZN2at6native27unrolled_elementwise_kernelINS0_13BinaryFunctorIN3c108BFloat16ES4_S4_ZNS0_20copysign_kernel_cudaERNS_18TensorIteratorBaseEEUlS4_S4_E_EESt5arrayIPcLm3EELi4E23TrivialOffsetCalculatorILi2EjESC_ILi1EjENS0_6memory15LoadWithoutCastENSF_16StoreWithoutCastEEEviT_T0_T2_T3_T4_T5_
		.amdhsa_group_segment_fixed_size 0
		.amdhsa_private_segment_fixed_size 0
		.amdhsa_kernarg_size 36
		.amdhsa_user_sgpr_count 6
		.amdhsa_user_sgpr_private_segment_buffer 1
		.amdhsa_user_sgpr_dispatch_ptr 0
		.amdhsa_user_sgpr_queue_ptr 0
		.amdhsa_user_sgpr_kernarg_segment_ptr 1
		.amdhsa_user_sgpr_dispatch_id 0
		.amdhsa_user_sgpr_flat_scratch_init 0
		.amdhsa_user_sgpr_kernarg_preload_length 0
		.amdhsa_user_sgpr_kernarg_preload_offset 0
		.amdhsa_user_sgpr_private_segment_size 0
		.amdhsa_uses_dynamic_stack 0
		.amdhsa_system_sgpr_private_segment_wavefront_offset 0
		.amdhsa_system_sgpr_workgroup_id_x 1
		.amdhsa_system_sgpr_workgroup_id_y 0
		.amdhsa_system_sgpr_workgroup_id_z 0
		.amdhsa_system_sgpr_workgroup_info 0
		.amdhsa_system_vgpr_workitem_id 0
		.amdhsa_next_free_vgpr 14
		.amdhsa_next_free_sgpr 12
		.amdhsa_accum_offset 16
		.amdhsa_reserve_vcc 1
		.amdhsa_reserve_flat_scratch 0
		.amdhsa_float_round_mode_32 0
		.amdhsa_float_round_mode_16_64 0
		.amdhsa_float_denorm_mode_32 3
		.amdhsa_float_denorm_mode_16_64 3
		.amdhsa_dx10_clamp 1
		.amdhsa_ieee_mode 1
		.amdhsa_fp16_overflow 0
		.amdhsa_tg_split 0
		.amdhsa_exception_fp_ieee_invalid_op 0
		.amdhsa_exception_fp_denorm_src 0
		.amdhsa_exception_fp_ieee_div_zero 0
		.amdhsa_exception_fp_ieee_overflow 0
		.amdhsa_exception_fp_ieee_underflow 0
		.amdhsa_exception_fp_ieee_inexact 0
		.amdhsa_exception_int_div_zero 0
	.end_amdhsa_kernel
	.section	.text._ZN2at6native27unrolled_elementwise_kernelINS0_13BinaryFunctorIN3c108BFloat16ES4_S4_ZNS0_20copysign_kernel_cudaERNS_18TensorIteratorBaseEEUlS4_S4_E_EESt5arrayIPcLm3EELi4E23TrivialOffsetCalculatorILi2EjESC_ILi1EjENS0_6memory15LoadWithoutCastENSF_16StoreWithoutCastEEEviT_T0_T2_T3_T4_T5_,"axG",@progbits,_ZN2at6native27unrolled_elementwise_kernelINS0_13BinaryFunctorIN3c108BFloat16ES4_S4_ZNS0_20copysign_kernel_cudaERNS_18TensorIteratorBaseEEUlS4_S4_E_EESt5arrayIPcLm3EELi4E23TrivialOffsetCalculatorILi2EjESC_ILi1EjENS0_6memory15LoadWithoutCastENSF_16StoreWithoutCastEEEviT_T0_T2_T3_T4_T5_,comdat
.Lfunc_end44:
	.size	_ZN2at6native27unrolled_elementwise_kernelINS0_13BinaryFunctorIN3c108BFloat16ES4_S4_ZNS0_20copysign_kernel_cudaERNS_18TensorIteratorBaseEEUlS4_S4_E_EESt5arrayIPcLm3EELi4E23TrivialOffsetCalculatorILi2EjESC_ILi1EjENS0_6memory15LoadWithoutCastENSF_16StoreWithoutCastEEEviT_T0_T2_T3_T4_T5_, .Lfunc_end44-_ZN2at6native27unrolled_elementwise_kernelINS0_13BinaryFunctorIN3c108BFloat16ES4_S4_ZNS0_20copysign_kernel_cudaERNS_18TensorIteratorBaseEEUlS4_S4_E_EESt5arrayIPcLm3EELi4E23TrivialOffsetCalculatorILi2EjESC_ILi1EjENS0_6memory15LoadWithoutCastENSF_16StoreWithoutCastEEEviT_T0_T2_T3_T4_T5_
                                        ; -- End function
	.section	.AMDGPU.csdata,"",@progbits
; Kernel info:
; codeLenInByte = 884
; NumSgprs: 16
; NumVgprs: 14
; NumAgprs: 0
; TotalNumVgprs: 14
; ScratchSize: 0
; MemoryBound: 0
; FloatMode: 240
; IeeeMode: 1
; LDSByteSize: 0 bytes/workgroup (compile time only)
; SGPRBlocks: 1
; VGPRBlocks: 1
; NumSGPRsForWavesPerEU: 16
; NumVGPRsForWavesPerEU: 14
; AccumOffset: 16
; Occupancy: 8
; WaveLimiterHint : 0
; COMPUTE_PGM_RSRC2:SCRATCH_EN: 0
; COMPUTE_PGM_RSRC2:USER_SGPR: 6
; COMPUTE_PGM_RSRC2:TRAP_HANDLER: 0
; COMPUTE_PGM_RSRC2:TGID_X_EN: 1
; COMPUTE_PGM_RSRC2:TGID_Y_EN: 0
; COMPUTE_PGM_RSRC2:TGID_Z_EN: 0
; COMPUTE_PGM_RSRC2:TIDIG_COMP_CNT: 0
; COMPUTE_PGM_RSRC3_GFX90A:ACCUM_OFFSET: 3
; COMPUTE_PGM_RSRC3_GFX90A:TG_SPLIT: 0
	.section	.text._ZN2at6native32elementwise_kernel_manual_unrollILi128ELi8EZNS0_22gpu_kernel_impl_nocastINS0_13BinaryFunctorIN3c108BFloat16ES5_S5_ZNS0_20copysign_kernel_cudaERNS_18TensorIteratorBaseEEUlS5_S5_E_EEEEvS7_RKT_EUlibE_EEviT1_,"axG",@progbits,_ZN2at6native32elementwise_kernel_manual_unrollILi128ELi8EZNS0_22gpu_kernel_impl_nocastINS0_13BinaryFunctorIN3c108BFloat16ES5_S5_ZNS0_20copysign_kernel_cudaERNS_18TensorIteratorBaseEEUlS5_S5_E_EEEEvS7_RKT_EUlibE_EEviT1_,comdat
	.globl	_ZN2at6native32elementwise_kernel_manual_unrollILi128ELi8EZNS0_22gpu_kernel_impl_nocastINS0_13BinaryFunctorIN3c108BFloat16ES5_S5_ZNS0_20copysign_kernel_cudaERNS_18TensorIteratorBaseEEUlS5_S5_E_EEEEvS7_RKT_EUlibE_EEviT1_ ; -- Begin function _ZN2at6native32elementwise_kernel_manual_unrollILi128ELi8EZNS0_22gpu_kernel_impl_nocastINS0_13BinaryFunctorIN3c108BFloat16ES5_S5_ZNS0_20copysign_kernel_cudaERNS_18TensorIteratorBaseEEUlS5_S5_E_EEEEvS7_RKT_EUlibE_EEviT1_
	.p2align	8
	.type	_ZN2at6native32elementwise_kernel_manual_unrollILi128ELi8EZNS0_22gpu_kernel_impl_nocastINS0_13BinaryFunctorIN3c108BFloat16ES5_S5_ZNS0_20copysign_kernel_cudaERNS_18TensorIteratorBaseEEUlS5_S5_E_EEEEvS7_RKT_EUlibE_EEviT1_,@function
_ZN2at6native32elementwise_kernel_manual_unrollILi128ELi8EZNS0_22gpu_kernel_impl_nocastINS0_13BinaryFunctorIN3c108BFloat16ES5_S5_ZNS0_20copysign_kernel_cudaERNS_18TensorIteratorBaseEEUlS5_S5_E_EEEEvS7_RKT_EUlibE_EEviT1_: ; @_ZN2at6native32elementwise_kernel_manual_unrollILi128ELi8EZNS0_22gpu_kernel_impl_nocastINS0_13BinaryFunctorIN3c108BFloat16ES5_S5_ZNS0_20copysign_kernel_cudaERNS_18TensorIteratorBaseEEUlS5_S5_E_EEEEvS7_RKT_EUlibE_EEviT1_
; %bb.0:
	s_load_dword s36, s[4:5], 0x0
	s_load_dword s33, s[4:5], 0x8
	s_or_b32 s4, s4, 8
	v_lshl_or_b32 v36, s6, 10, v0
	v_or_b32_e32 v48, 0x380, v36
	s_waitcnt lgkmcnt(0)
	v_cmp_le_i32_e32 vcc, s36, v48
	s_add_i32 s34, s33, -1
	s_cmp_gt_u32 s34, 1
	s_cselect_b64 s[6:7], -1, 0
	s_and_saveexec_b64 s[0:1], vcc
	s_xor_b64 s[16:17], exec, s[0:1]
	s_cbranch_execz .LBB45_98
; %bb.1:
	s_load_dwordx4 s[12:15], s[4:5], 0x4
	s_load_dwordx2 s[22:23], s[4:5], 0x14
	s_load_dwordx4 s[8:11], s[4:5], 0xc4
	s_load_dwordx2 s[20:21], s[4:5], 0xd4
	s_load_dwordx2 s[18:19], s[4:5], 0x198
	s_load_dwordx4 s[0:3], s[4:5], 0x188
	s_cmp_lg_u32 s33, 0
	s_cselect_b64 s[26:27], -1, 0
	s_min_u32 s35, s34, 15
	s_cmp_gt_u32 s33, 1
	s_cselect_b64 s[24:25], -1, 0
	v_cmp_gt_i32_e32 vcc, s36, v36
	s_and_saveexec_b64 s[28:29], vcc
	s_cbranch_execnz .LBB45_9
; %bb.2:
	s_or_b64 exec, exec, s[28:29]
	v_cmp_gt_i32_e32 vcc, s36, v36
	s_and_saveexec_b64 s[28:29], vcc
	s_cbranch_execnz .LBB45_20
.LBB45_3:
	s_or_b64 exec, exec, s[28:29]
	v_cmp_gt_i32_e32 vcc, s36, v36
	s_and_saveexec_b64 s[28:29], vcc
	s_cbranch_execnz .LBB45_31
.LBB45_4:
	s_or_b64 exec, exec, s[28:29]
	v_cmp_gt_i32_e32 vcc, s36, v36
	s_and_saveexec_b64 s[28:29], vcc
	s_cbranch_execnz .LBB45_42
.LBB45_5:
	s_or_b64 exec, exec, s[28:29]
	v_cmp_gt_i32_e32 vcc, s36, v36
	s_and_saveexec_b64 s[28:29], vcc
	s_cbranch_execnz .LBB45_53
.LBB45_6:
	s_or_b64 exec, exec, s[28:29]
	v_cmp_gt_i32_e32 vcc, s36, v36
	s_and_saveexec_b64 s[28:29], vcc
	s_cbranch_execnz .LBB45_64
.LBB45_7:
	s_or_b64 exec, exec, s[28:29]
	v_cmp_gt_i32_e32 vcc, s36, v36
	s_and_saveexec_b64 s[28:29], vcc
	s_cbranch_execnz .LBB45_75
.LBB45_8:
	s_or_b64 exec, exec, s[28:29]
	v_cmp_gt_i32_e32 vcc, s36, v36
	s_and_saveexec_b64 s[28:29], vcc
	s_cbranch_execnz .LBB45_86
	s_branch .LBB45_97
.LBB45_9:
	s_andn2_b64 vcc, exec, s[6:7]
	s_cbranch_vccnz .LBB45_16
; %bb.10:
	s_andn2_b64 vcc, exec, s[26:27]
	v_mov_b32_e32 v2, 0
	v_mov_b32_e32 v4, 0
	v_mov_b32_e32 v0, 0
	s_cbranch_vccnz .LBB45_15
; %bb.11:
	s_add_i32 s30, s35, 1
	s_and_b32 s37, s30, 30
	s_add_u32 s30, s4, 0xffffffec
	s_addc_u32 s31, s5, -1
	v_mov_b32_e32 v0, 0
	v_mov_b32_e32 v1, v36
	;; [unrolled: 1-line block ×4, first 2 shown]
.LBB45_12:                              ; =>This Inner Loop Header: Depth=1
	s_mov_b64 s[38:39], s[30:31]
	s_load_dwordx4 s[40:43], s[38:39], 0x18
	s_load_dwordx2 s[48:49], s[38:39], 0x28
	s_load_dwordx2 s[50:51], s[38:39], 0xe8
	s_load_dwordx4 s[44:47], s[38:39], 0xd8
	s_add_u32 s30, s38, 24
	s_waitcnt lgkmcnt(0)
	v_mul_hi_u32 v3, s41, v1
	v_add_u32_e32 v3, v1, v3
	v_lshrrev_b32_e32 v3, s42, v3
	v_mul_lo_u32 v5, v3, s40
	v_mul_hi_u32 v6, s48, v3
	v_sub_u32_e32 v1, v1, v5
	v_add_u32_e32 v5, v3, v6
	v_mul_lo_u32 v6, v1, s44
	v_mul_lo_u32 v7, v1, s45
	v_mul_lo_u32 v8, v1, s46
	v_lshrrev_b32_e32 v1, s49, v5
	v_mul_lo_u32 v5, v1, s43
	v_sub_u32_e32 v3, v3, v5
	s_addc_u32 s31, s39, 0
	s_add_i32 s37, s37, -2
	v_mul_lo_u32 v5, v3, s47
	v_mul_lo_u32 v9, v3, s50
	v_mul_lo_u32 v3, v3, s51
	s_cmp_lg_u32 s37, 0
	v_add3_u32 v0, v6, v0, v5
	v_add3_u32 v2, v8, v2, v3
	;; [unrolled: 1-line block ×3, first 2 shown]
	s_cbranch_scc1 .LBB45_12
; %bb.13:
	s_bitcmp1_b32 s35, 0
	s_cselect_b64 s[38:39], -1, 0
	s_and_b64 vcc, exec, s[38:39]
	s_cbranch_vccnz .LBB45_15
; %bb.14:
	s_load_dwordx2 s[38:39], s[30:31], 0x18
	s_load_dword s37, s[30:31], 0x20
	s_load_dword s42, s[30:31], 0xe0
	s_load_dwordx2 s[40:41], s[30:31], 0xd8
	s_waitcnt lgkmcnt(0)
	v_mul_hi_u32 v3, s39, v1
	v_add_u32_e32 v3, v1, v3
	v_lshrrev_b32_e32 v3, s37, v3
	v_mul_lo_u32 v3, v3, s38
	v_sub_u32_e32 v3, v1, v3
	v_mad_u64_u32 v[0:1], s[30:31], v3, s40, v[0:1]
	v_mad_u64_u32 v[4:5], s[30:31], v3, s41, v[4:5]
	;; [unrolled: 1-line block ×3, first 2 shown]
.LBB45_15:
	s_cbranch_execz .LBB45_17
	s_branch .LBB45_19
.LBB45_16:
                                        ; implicit-def: $vgpr2
                                        ; implicit-def: $vgpr4
                                        ; implicit-def: $vgpr0
.LBB45_17:
	s_waitcnt lgkmcnt(0)
	v_mul_hi_u32 v0, s13, v36
	v_add_u32_e32 v0, v36, v0
	v_lshrrev_b32_e32 v1, s14, v0
	v_mul_lo_u32 v0, v1, s12
	v_sub_u32_e32 v3, v36, v0
	v_mul_lo_u32 v0, v3, s8
	v_mul_lo_u32 v2, v3, s10
	s_andn2_b64 vcc, exec, s[24:25]
	v_mul_lo_u32 v4, v3, s9
	s_cbranch_vccnz .LBB45_19
; %bb.18:
	v_mul_hi_u32 v3, s22, v1
	v_add_u32_e32 v3, v1, v3
	v_lshrrev_b32_e32 v3, s23, v3
	v_mul_lo_u32 v3, v3, s15
	v_sub_u32_e32 v3, v1, v3
	v_mad_u64_u32 v[0:1], s[30:31], v3, s11, v[0:1]
	v_mad_u64_u32 v[4:5], s[30:31], v3, s20, v[4:5]
	;; [unrolled: 1-line block ×3, first 2 shown]
.LBB45_19:
	s_waitcnt lgkmcnt(0)
	global_load_ushort v1, v4, s[2:3]
	global_load_ushort v3, v2, s[18:19]
	v_add_u32_e32 v36, 0x80, v36
	s_waitcnt vmcnt(1)
	v_and_b32_e32 v1, 0x7fff, v1
	s_waitcnt vmcnt(0)
	v_and_b32_e32 v2, 0xffff8000, v3
	v_or_b32_e32 v1, v2, v1
	global_store_short v0, v1, s[0:1]
	s_or_b64 exec, exec, s[28:29]
	v_cmp_gt_i32_e32 vcc, s36, v36
	s_and_saveexec_b64 s[28:29], vcc
	s_cbranch_execz .LBB45_3
.LBB45_20:
	s_andn2_b64 vcc, exec, s[6:7]
	s_cbranch_vccnz .LBB45_27
; %bb.21:
	s_andn2_b64 vcc, exec, s[26:27]
	v_mov_b32_e32 v2, 0
	v_mov_b32_e32 v4, 0
	;; [unrolled: 1-line block ×3, first 2 shown]
	s_cbranch_vccnz .LBB45_26
; %bb.22:
	s_add_i32 s30, s35, 1
	s_and_b32 s37, s30, 30
	s_add_u32 s30, s4, 0xffffffec
	s_addc_u32 s31, s5, -1
	v_mov_b32_e32 v0, 0
	v_mov_b32_e32 v1, v36
	;; [unrolled: 1-line block ×4, first 2 shown]
.LBB45_23:                              ; =>This Inner Loop Header: Depth=1
	s_mov_b64 s[38:39], s[30:31]
	s_load_dwordx4 s[40:43], s[38:39], 0x18
	s_load_dwordx2 s[48:49], s[38:39], 0x28
	s_load_dwordx2 s[50:51], s[38:39], 0xe8
	s_load_dwordx4 s[44:47], s[38:39], 0xd8
	s_add_u32 s30, s38, 24
	s_waitcnt lgkmcnt(0)
	v_mul_hi_u32 v3, s41, v1
	v_add_u32_e32 v3, v1, v3
	v_lshrrev_b32_e32 v3, s42, v3
	v_mul_lo_u32 v5, v3, s40
	v_mul_hi_u32 v6, s48, v3
	v_sub_u32_e32 v1, v1, v5
	v_add_u32_e32 v5, v3, v6
	v_mul_lo_u32 v6, v1, s44
	v_mul_lo_u32 v7, v1, s45
	;; [unrolled: 1-line block ×3, first 2 shown]
	v_lshrrev_b32_e32 v1, s49, v5
	v_mul_lo_u32 v5, v1, s43
	v_sub_u32_e32 v3, v3, v5
	s_addc_u32 s31, s39, 0
	s_add_i32 s37, s37, -2
	v_mul_lo_u32 v5, v3, s47
	v_mul_lo_u32 v9, v3, s50
	;; [unrolled: 1-line block ×3, first 2 shown]
	s_cmp_eq_u32 s37, 0
	v_add3_u32 v0, v6, v0, v5
	v_add3_u32 v2, v8, v2, v3
	;; [unrolled: 1-line block ×3, first 2 shown]
	s_cbranch_scc0 .LBB45_23
; %bb.24:
	s_bitcmp1_b32 s35, 0
	s_cselect_b64 s[38:39], -1, 0
	s_and_b64 vcc, exec, s[38:39]
	s_cbranch_vccnz .LBB45_26
; %bb.25:
	s_load_dwordx2 s[38:39], s[30:31], 0x18
	s_load_dword s37, s[30:31], 0x20
	s_load_dword s42, s[30:31], 0xe0
	s_load_dwordx2 s[40:41], s[30:31], 0xd8
	s_waitcnt lgkmcnt(0)
	v_mul_hi_u32 v3, s39, v1
	v_add_u32_e32 v3, v1, v3
	v_lshrrev_b32_e32 v3, s37, v3
	v_mul_lo_u32 v3, v3, s38
	v_sub_u32_e32 v3, v1, v3
	v_mad_u64_u32 v[0:1], s[30:31], v3, s40, v[0:1]
	v_mad_u64_u32 v[4:5], s[30:31], v3, s41, v[4:5]
	;; [unrolled: 1-line block ×3, first 2 shown]
.LBB45_26:
	s_cbranch_execz .LBB45_28
	s_branch .LBB45_30
.LBB45_27:
                                        ; implicit-def: $vgpr2
                                        ; implicit-def: $vgpr4
                                        ; implicit-def: $vgpr0
.LBB45_28:
	s_waitcnt lgkmcnt(0)
	v_mul_hi_u32 v0, s13, v36
	v_add_u32_e32 v0, v36, v0
	v_lshrrev_b32_e32 v1, s14, v0
	v_mul_lo_u32 v0, v1, s12
	v_sub_u32_e32 v3, v36, v0
	v_mul_lo_u32 v0, v3, s8
	v_mul_lo_u32 v2, v3, s10
	s_andn2_b64 vcc, exec, s[24:25]
	v_mul_lo_u32 v4, v3, s9
	s_cbranch_vccnz .LBB45_30
; %bb.29:
	v_mul_hi_u32 v3, s22, v1
	v_add_u32_e32 v3, v1, v3
	v_lshrrev_b32_e32 v3, s23, v3
	v_mul_lo_u32 v3, v3, s15
	v_sub_u32_e32 v3, v1, v3
	v_mad_u64_u32 v[0:1], s[30:31], v3, s11, v[0:1]
	v_mad_u64_u32 v[4:5], s[30:31], v3, s20, v[4:5]
	;; [unrolled: 1-line block ×3, first 2 shown]
.LBB45_30:
	s_waitcnt lgkmcnt(0)
	global_load_ushort v1, v4, s[2:3]
	global_load_ushort v3, v2, s[18:19]
	v_add_u32_e32 v36, 0x80, v36
	s_waitcnt vmcnt(1)
	v_and_b32_e32 v1, 0x7fff, v1
	s_waitcnt vmcnt(0)
	v_and_b32_e32 v2, 0xffff8000, v3
	v_or_b32_e32 v1, v2, v1
	global_store_short v0, v1, s[0:1]
	s_or_b64 exec, exec, s[28:29]
	v_cmp_gt_i32_e32 vcc, s36, v36
	s_and_saveexec_b64 s[28:29], vcc
	s_cbranch_execz .LBB45_4
.LBB45_31:
	s_andn2_b64 vcc, exec, s[6:7]
	s_cbranch_vccnz .LBB45_38
; %bb.32:
	s_andn2_b64 vcc, exec, s[26:27]
	v_mov_b32_e32 v2, 0
	v_mov_b32_e32 v4, 0
	v_mov_b32_e32 v0, 0
	s_cbranch_vccnz .LBB45_37
; %bb.33:
	s_add_i32 s30, s35, 1
	s_and_b32 s37, s30, 30
	s_add_u32 s30, s4, 0xffffffec
	s_addc_u32 s31, s5, -1
	v_mov_b32_e32 v0, 0
	v_mov_b32_e32 v1, v36
	;; [unrolled: 1-line block ×4, first 2 shown]
.LBB45_34:                              ; =>This Inner Loop Header: Depth=1
	s_mov_b64 s[38:39], s[30:31]
	s_load_dwordx4 s[40:43], s[38:39], 0x18
	s_load_dwordx2 s[48:49], s[38:39], 0x28
	s_load_dwordx2 s[50:51], s[38:39], 0xe8
	s_load_dwordx4 s[44:47], s[38:39], 0xd8
	s_add_u32 s30, s38, 24
	s_waitcnt lgkmcnt(0)
	v_mul_hi_u32 v3, s41, v1
	v_add_u32_e32 v3, v1, v3
	v_lshrrev_b32_e32 v3, s42, v3
	v_mul_lo_u32 v5, v3, s40
	v_mul_hi_u32 v6, s48, v3
	v_sub_u32_e32 v1, v1, v5
	v_add_u32_e32 v5, v3, v6
	v_mul_lo_u32 v6, v1, s44
	v_mul_lo_u32 v7, v1, s45
	;; [unrolled: 1-line block ×3, first 2 shown]
	v_lshrrev_b32_e32 v1, s49, v5
	v_mul_lo_u32 v5, v1, s43
	v_sub_u32_e32 v3, v3, v5
	s_addc_u32 s31, s39, 0
	s_add_i32 s37, s37, -2
	v_mul_lo_u32 v5, v3, s47
	v_mul_lo_u32 v9, v3, s50
	;; [unrolled: 1-line block ×3, first 2 shown]
	s_cmp_eq_u32 s37, 0
	v_add3_u32 v0, v6, v0, v5
	v_add3_u32 v2, v8, v2, v3
	;; [unrolled: 1-line block ×3, first 2 shown]
	s_cbranch_scc0 .LBB45_34
; %bb.35:
	s_bitcmp1_b32 s35, 0
	s_cselect_b64 s[38:39], -1, 0
	s_and_b64 vcc, exec, s[38:39]
	s_cbranch_vccnz .LBB45_37
; %bb.36:
	s_load_dwordx2 s[38:39], s[30:31], 0x18
	s_load_dword s37, s[30:31], 0x20
	s_load_dword s42, s[30:31], 0xe0
	s_load_dwordx2 s[40:41], s[30:31], 0xd8
	s_waitcnt lgkmcnt(0)
	v_mul_hi_u32 v3, s39, v1
	v_add_u32_e32 v3, v1, v3
	v_lshrrev_b32_e32 v3, s37, v3
	v_mul_lo_u32 v3, v3, s38
	v_sub_u32_e32 v3, v1, v3
	v_mad_u64_u32 v[0:1], s[30:31], v3, s40, v[0:1]
	v_mad_u64_u32 v[4:5], s[30:31], v3, s41, v[4:5]
	;; [unrolled: 1-line block ×3, first 2 shown]
.LBB45_37:
	s_cbranch_execz .LBB45_39
	s_branch .LBB45_41
.LBB45_38:
                                        ; implicit-def: $vgpr2
                                        ; implicit-def: $vgpr4
                                        ; implicit-def: $vgpr0
.LBB45_39:
	s_waitcnt lgkmcnt(0)
	v_mul_hi_u32 v0, s13, v36
	v_add_u32_e32 v0, v36, v0
	v_lshrrev_b32_e32 v1, s14, v0
	v_mul_lo_u32 v0, v1, s12
	v_sub_u32_e32 v3, v36, v0
	v_mul_lo_u32 v0, v3, s8
	v_mul_lo_u32 v2, v3, s10
	s_andn2_b64 vcc, exec, s[24:25]
	v_mul_lo_u32 v4, v3, s9
	s_cbranch_vccnz .LBB45_41
; %bb.40:
	v_mul_hi_u32 v3, s22, v1
	v_add_u32_e32 v3, v1, v3
	v_lshrrev_b32_e32 v3, s23, v3
	v_mul_lo_u32 v3, v3, s15
	v_sub_u32_e32 v3, v1, v3
	v_mad_u64_u32 v[0:1], s[30:31], v3, s11, v[0:1]
	v_mad_u64_u32 v[4:5], s[30:31], v3, s20, v[4:5]
	;; [unrolled: 1-line block ×3, first 2 shown]
.LBB45_41:
	s_waitcnt lgkmcnt(0)
	global_load_ushort v1, v4, s[2:3]
	global_load_ushort v3, v2, s[18:19]
	v_add_u32_e32 v36, 0x80, v36
	s_waitcnt vmcnt(1)
	v_and_b32_e32 v1, 0x7fff, v1
	s_waitcnt vmcnt(0)
	v_and_b32_e32 v2, 0xffff8000, v3
	v_or_b32_e32 v1, v2, v1
	global_store_short v0, v1, s[0:1]
	s_or_b64 exec, exec, s[28:29]
	v_cmp_gt_i32_e32 vcc, s36, v36
	s_and_saveexec_b64 s[28:29], vcc
	s_cbranch_execz .LBB45_5
.LBB45_42:
	s_andn2_b64 vcc, exec, s[6:7]
	s_cbranch_vccnz .LBB45_49
; %bb.43:
	s_andn2_b64 vcc, exec, s[26:27]
	v_mov_b32_e32 v2, 0
	v_mov_b32_e32 v4, 0
	;; [unrolled: 1-line block ×3, first 2 shown]
	s_cbranch_vccnz .LBB45_48
; %bb.44:
	s_add_i32 s30, s35, 1
	s_and_b32 s37, s30, 30
	s_add_u32 s30, s4, 0xffffffec
	s_addc_u32 s31, s5, -1
	v_mov_b32_e32 v0, 0
	v_mov_b32_e32 v1, v36
	;; [unrolled: 1-line block ×4, first 2 shown]
.LBB45_45:                              ; =>This Inner Loop Header: Depth=1
	s_mov_b64 s[38:39], s[30:31]
	s_load_dwordx4 s[40:43], s[38:39], 0x18
	s_load_dwordx2 s[48:49], s[38:39], 0x28
	s_load_dwordx2 s[50:51], s[38:39], 0xe8
	s_load_dwordx4 s[44:47], s[38:39], 0xd8
	s_add_u32 s30, s38, 24
	s_waitcnt lgkmcnt(0)
	v_mul_hi_u32 v3, s41, v1
	v_add_u32_e32 v3, v1, v3
	v_lshrrev_b32_e32 v3, s42, v3
	v_mul_lo_u32 v5, v3, s40
	v_mul_hi_u32 v6, s48, v3
	v_sub_u32_e32 v1, v1, v5
	v_add_u32_e32 v5, v3, v6
	v_mul_lo_u32 v6, v1, s44
	v_mul_lo_u32 v7, v1, s45
	;; [unrolled: 1-line block ×3, first 2 shown]
	v_lshrrev_b32_e32 v1, s49, v5
	v_mul_lo_u32 v5, v1, s43
	v_sub_u32_e32 v3, v3, v5
	s_addc_u32 s31, s39, 0
	s_add_i32 s37, s37, -2
	v_mul_lo_u32 v5, v3, s47
	v_mul_lo_u32 v9, v3, s50
	;; [unrolled: 1-line block ×3, first 2 shown]
	s_cmp_eq_u32 s37, 0
	v_add3_u32 v0, v6, v0, v5
	v_add3_u32 v2, v8, v2, v3
	;; [unrolled: 1-line block ×3, first 2 shown]
	s_cbranch_scc0 .LBB45_45
; %bb.46:
	s_bitcmp1_b32 s35, 0
	s_cselect_b64 s[38:39], -1, 0
	s_and_b64 vcc, exec, s[38:39]
	s_cbranch_vccnz .LBB45_48
; %bb.47:
	s_load_dwordx2 s[38:39], s[30:31], 0x18
	s_load_dword s37, s[30:31], 0x20
	s_load_dword s42, s[30:31], 0xe0
	s_load_dwordx2 s[40:41], s[30:31], 0xd8
	s_waitcnt lgkmcnt(0)
	v_mul_hi_u32 v3, s39, v1
	v_add_u32_e32 v3, v1, v3
	v_lshrrev_b32_e32 v3, s37, v3
	v_mul_lo_u32 v3, v3, s38
	v_sub_u32_e32 v3, v1, v3
	v_mad_u64_u32 v[0:1], s[30:31], v3, s40, v[0:1]
	v_mad_u64_u32 v[4:5], s[30:31], v3, s41, v[4:5]
	;; [unrolled: 1-line block ×3, first 2 shown]
.LBB45_48:
	s_cbranch_execz .LBB45_50
	s_branch .LBB45_52
.LBB45_49:
                                        ; implicit-def: $vgpr2
                                        ; implicit-def: $vgpr4
                                        ; implicit-def: $vgpr0
.LBB45_50:
	s_waitcnt lgkmcnt(0)
	v_mul_hi_u32 v0, s13, v36
	v_add_u32_e32 v0, v36, v0
	v_lshrrev_b32_e32 v1, s14, v0
	v_mul_lo_u32 v0, v1, s12
	v_sub_u32_e32 v3, v36, v0
	v_mul_lo_u32 v0, v3, s8
	v_mul_lo_u32 v2, v3, s10
	s_andn2_b64 vcc, exec, s[24:25]
	v_mul_lo_u32 v4, v3, s9
	s_cbranch_vccnz .LBB45_52
; %bb.51:
	v_mul_hi_u32 v3, s22, v1
	v_add_u32_e32 v3, v1, v3
	v_lshrrev_b32_e32 v3, s23, v3
	v_mul_lo_u32 v3, v3, s15
	v_sub_u32_e32 v3, v1, v3
	v_mad_u64_u32 v[0:1], s[30:31], v3, s11, v[0:1]
	v_mad_u64_u32 v[4:5], s[30:31], v3, s20, v[4:5]
	;; [unrolled: 1-line block ×3, first 2 shown]
.LBB45_52:
	s_waitcnt lgkmcnt(0)
	global_load_ushort v1, v4, s[2:3]
	global_load_ushort v3, v2, s[18:19]
	v_add_u32_e32 v36, 0x80, v36
	s_waitcnt vmcnt(1)
	v_and_b32_e32 v1, 0x7fff, v1
	s_waitcnt vmcnt(0)
	v_and_b32_e32 v2, 0xffff8000, v3
	v_or_b32_e32 v1, v2, v1
	global_store_short v0, v1, s[0:1]
	s_or_b64 exec, exec, s[28:29]
	v_cmp_gt_i32_e32 vcc, s36, v36
	s_and_saveexec_b64 s[28:29], vcc
	s_cbranch_execz .LBB45_6
.LBB45_53:
	s_andn2_b64 vcc, exec, s[6:7]
	s_cbranch_vccnz .LBB45_60
; %bb.54:
	s_andn2_b64 vcc, exec, s[26:27]
	v_mov_b32_e32 v2, 0
	v_mov_b32_e32 v4, 0
	v_mov_b32_e32 v0, 0
	s_cbranch_vccnz .LBB45_59
; %bb.55:
	s_add_i32 s30, s35, 1
	s_and_b32 s37, s30, 30
	s_add_u32 s30, s4, 0xffffffec
	s_addc_u32 s31, s5, -1
	v_mov_b32_e32 v0, 0
	v_mov_b32_e32 v1, v36
	;; [unrolled: 1-line block ×4, first 2 shown]
.LBB45_56:                              ; =>This Inner Loop Header: Depth=1
	s_mov_b64 s[38:39], s[30:31]
	s_load_dwordx4 s[40:43], s[38:39], 0x18
	s_load_dwordx2 s[48:49], s[38:39], 0x28
	s_load_dwordx2 s[50:51], s[38:39], 0xe8
	s_load_dwordx4 s[44:47], s[38:39], 0xd8
	s_add_u32 s30, s38, 24
	s_waitcnt lgkmcnt(0)
	v_mul_hi_u32 v3, s41, v1
	v_add_u32_e32 v3, v1, v3
	v_lshrrev_b32_e32 v3, s42, v3
	v_mul_lo_u32 v5, v3, s40
	v_mul_hi_u32 v6, s48, v3
	v_sub_u32_e32 v1, v1, v5
	v_add_u32_e32 v5, v3, v6
	v_mul_lo_u32 v6, v1, s44
	v_mul_lo_u32 v7, v1, s45
	;; [unrolled: 1-line block ×3, first 2 shown]
	v_lshrrev_b32_e32 v1, s49, v5
	v_mul_lo_u32 v5, v1, s43
	v_sub_u32_e32 v3, v3, v5
	s_addc_u32 s31, s39, 0
	s_add_i32 s37, s37, -2
	v_mul_lo_u32 v5, v3, s47
	v_mul_lo_u32 v9, v3, s50
	;; [unrolled: 1-line block ×3, first 2 shown]
	s_cmp_eq_u32 s37, 0
	v_add3_u32 v0, v6, v0, v5
	v_add3_u32 v2, v8, v2, v3
	v_add3_u32 v4, v7, v4, v9
	s_cbranch_scc0 .LBB45_56
; %bb.57:
	s_bitcmp1_b32 s35, 0
	s_cselect_b64 s[38:39], -1, 0
	s_and_b64 vcc, exec, s[38:39]
	s_cbranch_vccnz .LBB45_59
; %bb.58:
	s_load_dwordx2 s[38:39], s[30:31], 0x18
	s_load_dword s37, s[30:31], 0x20
	s_load_dword s42, s[30:31], 0xe0
	s_load_dwordx2 s[40:41], s[30:31], 0xd8
	s_waitcnt lgkmcnt(0)
	v_mul_hi_u32 v3, s39, v1
	v_add_u32_e32 v3, v1, v3
	v_lshrrev_b32_e32 v3, s37, v3
	v_mul_lo_u32 v3, v3, s38
	v_sub_u32_e32 v3, v1, v3
	v_mad_u64_u32 v[0:1], s[30:31], v3, s40, v[0:1]
	v_mad_u64_u32 v[4:5], s[30:31], v3, s41, v[4:5]
	;; [unrolled: 1-line block ×3, first 2 shown]
.LBB45_59:
	s_cbranch_execz .LBB45_61
	s_branch .LBB45_63
.LBB45_60:
                                        ; implicit-def: $vgpr2
                                        ; implicit-def: $vgpr4
                                        ; implicit-def: $vgpr0
.LBB45_61:
	s_waitcnt lgkmcnt(0)
	v_mul_hi_u32 v0, s13, v36
	v_add_u32_e32 v0, v36, v0
	v_lshrrev_b32_e32 v1, s14, v0
	v_mul_lo_u32 v0, v1, s12
	v_sub_u32_e32 v3, v36, v0
	v_mul_lo_u32 v0, v3, s8
	v_mul_lo_u32 v2, v3, s10
	s_andn2_b64 vcc, exec, s[24:25]
	v_mul_lo_u32 v4, v3, s9
	s_cbranch_vccnz .LBB45_63
; %bb.62:
	v_mul_hi_u32 v3, s22, v1
	v_add_u32_e32 v3, v1, v3
	v_lshrrev_b32_e32 v3, s23, v3
	v_mul_lo_u32 v3, v3, s15
	v_sub_u32_e32 v3, v1, v3
	v_mad_u64_u32 v[0:1], s[30:31], v3, s11, v[0:1]
	v_mad_u64_u32 v[4:5], s[30:31], v3, s20, v[4:5]
	;; [unrolled: 1-line block ×3, first 2 shown]
.LBB45_63:
	s_waitcnt lgkmcnt(0)
	global_load_ushort v1, v4, s[2:3]
	global_load_ushort v3, v2, s[18:19]
	v_add_u32_e32 v36, 0x80, v36
	s_waitcnt vmcnt(1)
	v_and_b32_e32 v1, 0x7fff, v1
	s_waitcnt vmcnt(0)
	v_and_b32_e32 v2, 0xffff8000, v3
	v_or_b32_e32 v1, v2, v1
	global_store_short v0, v1, s[0:1]
	s_or_b64 exec, exec, s[28:29]
	v_cmp_gt_i32_e32 vcc, s36, v36
	s_and_saveexec_b64 s[28:29], vcc
	s_cbranch_execz .LBB45_7
.LBB45_64:
	s_andn2_b64 vcc, exec, s[6:7]
	s_cbranch_vccnz .LBB45_71
; %bb.65:
	s_andn2_b64 vcc, exec, s[26:27]
	v_mov_b32_e32 v2, 0
	v_mov_b32_e32 v4, 0
	;; [unrolled: 1-line block ×3, first 2 shown]
	s_cbranch_vccnz .LBB45_70
; %bb.66:
	s_add_i32 s30, s35, 1
	s_and_b32 s37, s30, 30
	s_add_u32 s30, s4, 0xffffffec
	s_addc_u32 s31, s5, -1
	v_mov_b32_e32 v0, 0
	v_mov_b32_e32 v1, v36
	;; [unrolled: 1-line block ×4, first 2 shown]
.LBB45_67:                              ; =>This Inner Loop Header: Depth=1
	s_mov_b64 s[38:39], s[30:31]
	s_load_dwordx4 s[40:43], s[38:39], 0x18
	s_load_dwordx2 s[48:49], s[38:39], 0x28
	s_load_dwordx2 s[50:51], s[38:39], 0xe8
	s_load_dwordx4 s[44:47], s[38:39], 0xd8
	s_add_u32 s30, s38, 24
	s_waitcnt lgkmcnt(0)
	v_mul_hi_u32 v3, s41, v1
	v_add_u32_e32 v3, v1, v3
	v_lshrrev_b32_e32 v3, s42, v3
	v_mul_lo_u32 v5, v3, s40
	v_mul_hi_u32 v6, s48, v3
	v_sub_u32_e32 v1, v1, v5
	v_add_u32_e32 v5, v3, v6
	v_mul_lo_u32 v6, v1, s44
	v_mul_lo_u32 v7, v1, s45
	v_mul_lo_u32 v8, v1, s46
	v_lshrrev_b32_e32 v1, s49, v5
	v_mul_lo_u32 v5, v1, s43
	v_sub_u32_e32 v3, v3, v5
	s_addc_u32 s31, s39, 0
	s_add_i32 s37, s37, -2
	v_mul_lo_u32 v5, v3, s47
	v_mul_lo_u32 v9, v3, s50
	;; [unrolled: 1-line block ×3, first 2 shown]
	s_cmp_eq_u32 s37, 0
	v_add3_u32 v0, v6, v0, v5
	v_add3_u32 v2, v8, v2, v3
	;; [unrolled: 1-line block ×3, first 2 shown]
	s_cbranch_scc0 .LBB45_67
; %bb.68:
	s_bitcmp1_b32 s35, 0
	s_cselect_b64 s[38:39], -1, 0
	s_and_b64 vcc, exec, s[38:39]
	s_cbranch_vccnz .LBB45_70
; %bb.69:
	s_load_dwordx2 s[38:39], s[30:31], 0x18
	s_load_dword s37, s[30:31], 0x20
	s_load_dword s42, s[30:31], 0xe0
	s_load_dwordx2 s[40:41], s[30:31], 0xd8
	s_waitcnt lgkmcnt(0)
	v_mul_hi_u32 v3, s39, v1
	v_add_u32_e32 v3, v1, v3
	v_lshrrev_b32_e32 v3, s37, v3
	v_mul_lo_u32 v3, v3, s38
	v_sub_u32_e32 v3, v1, v3
	v_mad_u64_u32 v[0:1], s[30:31], v3, s40, v[0:1]
	v_mad_u64_u32 v[4:5], s[30:31], v3, s41, v[4:5]
	;; [unrolled: 1-line block ×3, first 2 shown]
.LBB45_70:
	s_cbranch_execz .LBB45_72
	s_branch .LBB45_74
.LBB45_71:
                                        ; implicit-def: $vgpr2
                                        ; implicit-def: $vgpr4
                                        ; implicit-def: $vgpr0
.LBB45_72:
	s_waitcnt lgkmcnt(0)
	v_mul_hi_u32 v0, s13, v36
	v_add_u32_e32 v0, v36, v0
	v_lshrrev_b32_e32 v1, s14, v0
	v_mul_lo_u32 v0, v1, s12
	v_sub_u32_e32 v3, v36, v0
	v_mul_lo_u32 v0, v3, s8
	v_mul_lo_u32 v2, v3, s10
	s_andn2_b64 vcc, exec, s[24:25]
	v_mul_lo_u32 v4, v3, s9
	s_cbranch_vccnz .LBB45_74
; %bb.73:
	v_mul_hi_u32 v3, s22, v1
	v_add_u32_e32 v3, v1, v3
	v_lshrrev_b32_e32 v3, s23, v3
	v_mul_lo_u32 v3, v3, s15
	v_sub_u32_e32 v3, v1, v3
	v_mad_u64_u32 v[0:1], s[30:31], v3, s11, v[0:1]
	v_mad_u64_u32 v[4:5], s[30:31], v3, s20, v[4:5]
	;; [unrolled: 1-line block ×3, first 2 shown]
.LBB45_74:
	s_waitcnt lgkmcnt(0)
	global_load_ushort v1, v4, s[2:3]
	global_load_ushort v3, v2, s[18:19]
	v_add_u32_e32 v36, 0x80, v36
	s_waitcnt vmcnt(1)
	v_and_b32_e32 v1, 0x7fff, v1
	s_waitcnt vmcnt(0)
	v_and_b32_e32 v2, 0xffff8000, v3
	v_or_b32_e32 v1, v2, v1
	global_store_short v0, v1, s[0:1]
	s_or_b64 exec, exec, s[28:29]
	v_cmp_gt_i32_e32 vcc, s36, v36
	s_and_saveexec_b64 s[28:29], vcc
	s_cbranch_execz .LBB45_8
.LBB45_75:
	s_andn2_b64 vcc, exec, s[6:7]
	s_cbranch_vccnz .LBB45_82
; %bb.76:
	s_andn2_b64 vcc, exec, s[26:27]
	v_mov_b32_e32 v2, 0
	v_mov_b32_e32 v4, 0
	;; [unrolled: 1-line block ×3, first 2 shown]
	s_cbranch_vccnz .LBB45_81
; %bb.77:
	s_add_i32 s30, s35, 1
	s_and_b32 s37, s30, 30
	s_add_u32 s30, s4, 0xffffffec
	s_addc_u32 s31, s5, -1
	v_mov_b32_e32 v0, 0
	v_mov_b32_e32 v1, v36
	v_mov_b32_e32 v4, 0
	v_mov_b32_e32 v2, 0
.LBB45_78:                              ; =>This Inner Loop Header: Depth=1
	s_mov_b64 s[38:39], s[30:31]
	s_load_dwordx4 s[40:43], s[38:39], 0x18
	s_load_dwordx2 s[48:49], s[38:39], 0x28
	s_load_dwordx2 s[50:51], s[38:39], 0xe8
	s_load_dwordx4 s[44:47], s[38:39], 0xd8
	s_add_u32 s30, s38, 24
	s_waitcnt lgkmcnt(0)
	v_mul_hi_u32 v3, s41, v1
	v_add_u32_e32 v3, v1, v3
	v_lshrrev_b32_e32 v3, s42, v3
	v_mul_lo_u32 v5, v3, s40
	v_mul_hi_u32 v6, s48, v3
	v_sub_u32_e32 v1, v1, v5
	v_add_u32_e32 v5, v3, v6
	v_mul_lo_u32 v6, v1, s44
	v_mul_lo_u32 v7, v1, s45
	;; [unrolled: 1-line block ×3, first 2 shown]
	v_lshrrev_b32_e32 v1, s49, v5
	v_mul_lo_u32 v5, v1, s43
	v_sub_u32_e32 v3, v3, v5
	s_addc_u32 s31, s39, 0
	s_add_i32 s37, s37, -2
	v_mul_lo_u32 v5, v3, s47
	v_mul_lo_u32 v9, v3, s50
	;; [unrolled: 1-line block ×3, first 2 shown]
	s_cmp_eq_u32 s37, 0
	v_add3_u32 v0, v6, v0, v5
	v_add3_u32 v2, v8, v2, v3
	;; [unrolled: 1-line block ×3, first 2 shown]
	s_cbranch_scc0 .LBB45_78
; %bb.79:
	s_bitcmp1_b32 s35, 0
	s_cselect_b64 s[38:39], -1, 0
	s_and_b64 vcc, exec, s[38:39]
	s_cbranch_vccnz .LBB45_81
; %bb.80:
	s_load_dwordx2 s[38:39], s[30:31], 0x18
	s_load_dword s37, s[30:31], 0x20
	s_load_dword s42, s[30:31], 0xe0
	s_load_dwordx2 s[40:41], s[30:31], 0xd8
	s_waitcnt lgkmcnt(0)
	v_mul_hi_u32 v3, s39, v1
	v_add_u32_e32 v3, v1, v3
	v_lshrrev_b32_e32 v3, s37, v3
	v_mul_lo_u32 v3, v3, s38
	v_sub_u32_e32 v3, v1, v3
	v_mad_u64_u32 v[0:1], s[30:31], v3, s40, v[0:1]
	v_mad_u64_u32 v[4:5], s[30:31], v3, s41, v[4:5]
	;; [unrolled: 1-line block ×3, first 2 shown]
.LBB45_81:
	s_cbranch_execz .LBB45_83
	s_branch .LBB45_85
.LBB45_82:
                                        ; implicit-def: $vgpr2
                                        ; implicit-def: $vgpr4
                                        ; implicit-def: $vgpr0
.LBB45_83:
	s_waitcnt lgkmcnt(0)
	v_mul_hi_u32 v0, s13, v36
	v_add_u32_e32 v0, v36, v0
	v_lshrrev_b32_e32 v1, s14, v0
	v_mul_lo_u32 v0, v1, s12
	v_sub_u32_e32 v3, v36, v0
	v_mul_lo_u32 v0, v3, s8
	v_mul_lo_u32 v2, v3, s10
	s_andn2_b64 vcc, exec, s[24:25]
	v_mul_lo_u32 v4, v3, s9
	s_cbranch_vccnz .LBB45_85
; %bb.84:
	v_mul_hi_u32 v3, s22, v1
	v_add_u32_e32 v3, v1, v3
	v_lshrrev_b32_e32 v3, s23, v3
	v_mul_lo_u32 v3, v3, s15
	v_sub_u32_e32 v3, v1, v3
	v_mad_u64_u32 v[0:1], s[30:31], v3, s11, v[0:1]
	v_mad_u64_u32 v[4:5], s[30:31], v3, s20, v[4:5]
	;; [unrolled: 1-line block ×3, first 2 shown]
.LBB45_85:
	s_waitcnt lgkmcnt(0)
	global_load_ushort v1, v4, s[2:3]
	global_load_ushort v3, v2, s[18:19]
	v_add_u32_e32 v36, 0x80, v36
	s_waitcnt vmcnt(1)
	v_and_b32_e32 v1, 0x7fff, v1
	s_waitcnt vmcnt(0)
	v_and_b32_e32 v2, 0xffff8000, v3
	v_or_b32_e32 v1, v2, v1
	global_store_short v0, v1, s[0:1]
	s_or_b64 exec, exec, s[28:29]
	v_cmp_gt_i32_e32 vcc, s36, v36
	s_and_saveexec_b64 s[28:29], vcc
	s_cbranch_execz .LBB45_97
.LBB45_86:
	s_andn2_b64 vcc, exec, s[6:7]
	s_cbranch_vccnz .LBB45_93
; %bb.87:
	s_andn2_b64 vcc, exec, s[26:27]
	v_mov_b32_e32 v2, 0
	v_mov_b32_e32 v4, 0
	;; [unrolled: 1-line block ×3, first 2 shown]
	s_cbranch_vccnz .LBB45_92
; %bb.88:
	s_add_i32 s26, s35, 1
	s_and_b32 s30, s26, 30
	s_add_u32 s26, s4, 0xffffffec
	s_addc_u32 s27, s5, -1
	v_mov_b32_e32 v0, 0
	v_mov_b32_e32 v1, v36
	v_mov_b32_e32 v4, 0
	v_mov_b32_e32 v2, 0
.LBB45_89:                              ; =>This Inner Loop Header: Depth=1
	s_mov_b64 s[44:45], s[26:27]
	s_load_dwordx4 s[36:39], s[44:45], 0x18
	s_load_dwordx2 s[46:47], s[44:45], 0x28
	s_load_dwordx2 s[48:49], s[44:45], 0xe8
	s_load_dwordx4 s[40:43], s[44:45], 0xd8
	s_add_u32 s26, s44, 24
	s_waitcnt lgkmcnt(0)
	v_mul_hi_u32 v3, s37, v1
	v_add_u32_e32 v3, v1, v3
	v_lshrrev_b32_e32 v3, s38, v3
	v_mul_lo_u32 v5, v3, s36
	v_mul_hi_u32 v6, s46, v3
	v_sub_u32_e32 v1, v1, v5
	v_add_u32_e32 v5, v3, v6
	v_mul_lo_u32 v6, v1, s40
	v_mul_lo_u32 v7, v1, s41
	;; [unrolled: 1-line block ×3, first 2 shown]
	v_lshrrev_b32_e32 v1, s47, v5
	v_mul_lo_u32 v5, v1, s39
	v_sub_u32_e32 v3, v3, v5
	s_addc_u32 s27, s45, 0
	s_add_i32 s30, s30, -2
	v_mul_lo_u32 v5, v3, s43
	v_mul_lo_u32 v9, v3, s48
	;; [unrolled: 1-line block ×3, first 2 shown]
	s_cmp_eq_u32 s30, 0
	v_add3_u32 v0, v6, v0, v5
	v_add3_u32 v2, v8, v2, v3
	;; [unrolled: 1-line block ×3, first 2 shown]
	s_cbranch_scc0 .LBB45_89
; %bb.90:
	s_bitcmp1_b32 s35, 0
	s_cselect_b64 s[30:31], -1, 0
	s_and_b64 vcc, exec, s[30:31]
	s_cbranch_vccnz .LBB45_92
; %bb.91:
	s_load_dwordx2 s[30:31], s[26:27], 0x18
	s_load_dword s35, s[26:27], 0x20
	s_load_dword s38, s[26:27], 0xe0
	s_load_dwordx2 s[36:37], s[26:27], 0xd8
	s_waitcnt lgkmcnt(0)
	v_mul_hi_u32 v3, s31, v1
	v_add_u32_e32 v3, v1, v3
	v_lshrrev_b32_e32 v3, s35, v3
	v_mul_lo_u32 v3, v3, s30
	v_sub_u32_e32 v3, v1, v3
	v_mad_u64_u32 v[0:1], s[26:27], v3, s36, v[0:1]
	v_mad_u64_u32 v[4:5], s[26:27], v3, s37, v[4:5]
	;; [unrolled: 1-line block ×3, first 2 shown]
.LBB45_92:
	s_cbranch_execz .LBB45_94
	s_branch .LBB45_96
.LBB45_93:
                                        ; implicit-def: $vgpr2
                                        ; implicit-def: $vgpr4
                                        ; implicit-def: $vgpr0
.LBB45_94:
	s_waitcnt lgkmcnt(0)
	v_mul_hi_u32 v0, s13, v36
	v_add_u32_e32 v0, v36, v0
	v_lshrrev_b32_e32 v1, s14, v0
	v_mul_lo_u32 v0, v1, s12
	v_sub_u32_e32 v3, v36, v0
	v_mul_lo_u32 v0, v3, s8
	v_mul_lo_u32 v2, v3, s10
	s_andn2_b64 vcc, exec, s[24:25]
	v_mul_lo_u32 v4, v3, s9
	s_cbranch_vccnz .LBB45_96
; %bb.95:
	v_mul_hi_u32 v3, s22, v1
	v_add_u32_e32 v3, v1, v3
	v_lshrrev_b32_e32 v3, s23, v3
	v_mul_lo_u32 v3, v3, s15
	v_sub_u32_e32 v3, v1, v3
	v_mad_u64_u32 v[0:1], s[8:9], v3, s11, v[0:1]
	v_mad_u64_u32 v[4:5], s[8:9], v3, s20, v[4:5]
	;; [unrolled: 1-line block ×3, first 2 shown]
.LBB45_96:
	s_waitcnt lgkmcnt(0)
	global_load_ushort v1, v4, s[2:3]
	global_load_ushort v3, v2, s[18:19]
	s_waitcnt vmcnt(1)
	v_and_b32_e32 v1, 0x7fff, v1
	s_waitcnt vmcnt(0)
	v_and_b32_e32 v2, 0xffff8000, v3
	v_or_b32_e32 v1, v2, v1
	global_store_short v0, v1, s[0:1]
.LBB45_97:
	s_or_b64 exec, exec, s[28:29]
                                        ; implicit-def: $vgpr48
                                        ; implicit-def: $vgpr36
.LBB45_98:
	s_waitcnt lgkmcnt(0)
	s_andn2_saveexec_b64 s[0:1], s[16:17]
	s_cbranch_execz .LBB45_105
; %bb.99:
	v_cndmask_b32_e64 v0, 0, 1, s[6:7]
	v_cmp_ne_u32_e64 s[0:1], 1, v0
	s_andn2_b64 vcc, exec, s[6:7]
	s_cbranch_vccnz .LBB45_106
; %bb.100:
	s_cmp_lg_u32 s33, 0
	v_mov_b32_e32 v2, 0
	v_mov_b32_e32 v4, 0
	;; [unrolled: 1-line block ×3, first 2 shown]
	s_cbranch_scc0 .LBB45_107
; %bb.101:
	s_min_u32 s6, s34, 15
	s_add_i32 s2, s6, 1
	s_and_b32 s7, s2, 30
	s_add_u32 s2, s4, 0xffffffec
	s_addc_u32 s3, s5, -1
	v_mov_b32_e32 v0, 0
	v_mov_b32_e32 v1, v36
	v_mov_b32_e32 v4, 0
	v_mov_b32_e32 v2, 0
.LBB45_102:                             ; =>This Inner Loop Header: Depth=1
	s_mov_b64 s[16:17], s[2:3]
	s_load_dwordx4 s[8:11], s[16:17], 0x18
	s_load_dwordx2 s[18:19], s[16:17], 0x28
	s_load_dwordx2 s[20:21], s[16:17], 0xe8
	s_load_dwordx4 s[12:15], s[16:17], 0xd8
	s_add_u32 s2, s16, 24
	s_waitcnt lgkmcnt(0)
	v_mul_hi_u32 v3, s9, v1
	v_add_u32_e32 v3, v1, v3
	v_lshrrev_b32_e32 v3, s10, v3
	v_mul_lo_u32 v5, v3, s8
	v_mul_hi_u32 v6, s18, v3
	v_sub_u32_e32 v1, v1, v5
	v_add_u32_e32 v5, v3, v6
	v_mul_lo_u32 v6, v1, s12
	v_mul_lo_u32 v7, v1, s13
	v_mul_lo_u32 v8, v1, s14
	v_lshrrev_b32_e32 v1, s19, v5
	v_mul_lo_u32 v5, v1, s11
	v_sub_u32_e32 v3, v3, v5
	s_addc_u32 s3, s17, 0
	s_add_i32 s7, s7, -2
	v_mul_lo_u32 v5, v3, s15
	v_mul_lo_u32 v9, v3, s20
	;; [unrolled: 1-line block ×3, first 2 shown]
	s_cmp_lg_u32 s7, 0
	v_add3_u32 v0, v6, v0, v5
	v_add3_u32 v2, v8, v2, v3
	;; [unrolled: 1-line block ×3, first 2 shown]
	s_cbranch_scc1 .LBB45_102
; %bb.103:
	s_bitcmp1_b32 s6, 0
	s_cselect_b64 s[6:7], -1, 0
	s_and_b64 vcc, exec, s[6:7]
	s_cbranch_vccnz .LBB45_107
; %bb.104:
	s_load_dwordx2 s[6:7], s[2:3], 0x18
	s_load_dword s10, s[2:3], 0x20
	s_load_dword s11, s[2:3], 0xe0
	s_load_dwordx2 s[8:9], s[2:3], 0xd8
	s_waitcnt lgkmcnt(0)
	v_mul_hi_u32 v3, s7, v1
	v_add_u32_e32 v3, v1, v3
	v_lshrrev_b32_e32 v3, s10, v3
	v_mul_lo_u32 v3, v3, s6
	v_sub_u32_e32 v3, v1, v3
	v_mad_u64_u32 v[0:1], s[2:3], v3, s8, v[0:1]
	v_mad_u64_u32 v[4:5], s[2:3], v3, s9, v[4:5]
	;; [unrolled: 1-line block ×3, first 2 shown]
	s_cbranch_execz .LBB45_108
	s_branch .LBB45_110
.LBB45_105:
	s_endpgm
.LBB45_106:
                                        ; implicit-def: $vgpr2
                                        ; implicit-def: $vgpr4
                                        ; implicit-def: $vgpr0
	s_branch .LBB45_108
.LBB45_107:
	s_cbranch_execnz .LBB45_110
.LBB45_108:
	s_load_dwordx4 s[8:11], s[4:5], 0x4
	s_load_dwordx4 s[12:15], s[4:5], 0xc4
	s_cmp_lt_u32 s33, 2
	s_waitcnt lgkmcnt(0)
	v_mul_hi_u32 v0, s9, v36
	v_add_u32_e32 v0, v36, v0
	v_lshrrev_b32_e32 v1, s10, v0
	v_mul_lo_u32 v0, v1, s8
	v_sub_u32_e32 v3, v36, v0
	v_mul_lo_u32 v0, v3, s12
	v_mul_lo_u32 v2, v3, s14
	;; [unrolled: 1-line block ×3, first 2 shown]
	s_cbranch_scc1 .LBB45_110
; %bb.109:
	s_load_dwordx4 s[8:11], s[4:5], 0x10
	s_load_dwordx4 s[12:15], s[4:5], 0xd0
	s_waitcnt lgkmcnt(0)
	v_mul_hi_u32 v3, s9, v1
	v_add_u32_e32 v3, v1, v3
	v_lshrrev_b32_e32 v3, s10, v3
	v_mul_lo_u32 v3, v3, s8
	v_sub_u32_e32 v3, v1, v3
	v_mad_u64_u32 v[0:1], s[2:3], v3, s12, v[0:1]
	v_mad_u64_u32 v[4:5], s[2:3], v3, s13, v[4:5]
	;; [unrolled: 1-line block ×3, first 2 shown]
.LBB45_110:
	s_and_b64 vcc, exec, s[0:1]
	v_add_u32_e32 v1, 0x80, v36
	s_cbranch_vccnz .LBB45_116
; %bb.111:
	s_cmp_lg_u32 s33, 0
	v_mov_b32_e32 v8, 0
	v_mov_b32_e32 v10, 0
	;; [unrolled: 1-line block ×3, first 2 shown]
	s_cbranch_scc0 .LBB45_117
; %bb.112:
	s_min_u32 s6, s34, 15
	s_add_i32 s2, s6, 1
	s_and_b32 s7, s2, 30
	s_add_u32 s2, s4, 0xffffffec
	s_addc_u32 s3, s5, -1
	v_mov_b32_e32 v6, 0
	v_mov_b32_e32 v3, v1
	v_mov_b32_e32 v10, 0
	v_mov_b32_e32 v8, 0
.LBB45_113:                             ; =>This Inner Loop Header: Depth=1
	s_mov_b64 s[16:17], s[2:3]
	s_load_dwordx4 s[8:11], s[16:17], 0x18
	s_load_dwordx2 s[18:19], s[16:17], 0x28
	s_load_dwordx2 s[20:21], s[16:17], 0xe8
	s_load_dwordx4 s[12:15], s[16:17], 0xd8
	s_add_u32 s2, s16, 24
	s_waitcnt lgkmcnt(0)
	v_mul_hi_u32 v5, s9, v3
	v_add_u32_e32 v5, v3, v5
	v_lshrrev_b32_e32 v5, s10, v5
	v_mul_lo_u32 v7, v5, s8
	v_mul_hi_u32 v9, s18, v5
	v_sub_u32_e32 v3, v3, v7
	v_add_u32_e32 v7, v5, v9
	v_mul_lo_u32 v9, v3, s12
	v_mul_lo_u32 v11, v3, s13
	;; [unrolled: 1-line block ×3, first 2 shown]
	v_lshrrev_b32_e32 v3, s19, v7
	v_mul_lo_u32 v7, v3, s11
	v_sub_u32_e32 v5, v5, v7
	s_addc_u32 s3, s17, 0
	s_add_i32 s7, s7, -2
	v_mul_lo_u32 v7, v5, s15
	v_mul_lo_u32 v13, v5, s20
	;; [unrolled: 1-line block ×3, first 2 shown]
	s_cmp_lg_u32 s7, 0
	v_add3_u32 v6, v9, v6, v7
	v_add3_u32 v8, v12, v8, v5
	;; [unrolled: 1-line block ×3, first 2 shown]
	s_cbranch_scc1 .LBB45_113
; %bb.114:
	s_bitcmp1_b32 s6, 0
	s_cselect_b64 s[6:7], -1, 0
	s_and_b64 vcc, exec, s[6:7]
	s_cbranch_vccnz .LBB45_117
; %bb.115:
	s_load_dwordx2 s[6:7], s[2:3], 0x18
	s_load_dword s10, s[2:3], 0x20
	s_load_dword s11, s[2:3], 0xe0
	s_load_dwordx2 s[8:9], s[2:3], 0xd8
	s_waitcnt lgkmcnt(0)
	v_mul_hi_u32 v5, s7, v3
	v_add_u32_e32 v5, v3, v5
	v_lshrrev_b32_e32 v5, s10, v5
	v_mul_lo_u32 v5, v5, s6
	v_sub_u32_e32 v3, v3, v5
	v_mad_u64_u32 v[6:7], s[2:3], v3, s8, v[6:7]
	v_mad_u64_u32 v[10:11], s[2:3], v3, s9, v[10:11]
	;; [unrolled: 1-line block ×3, first 2 shown]
	s_cbranch_execz .LBB45_118
	s_branch .LBB45_120
.LBB45_116:
                                        ; implicit-def: $vgpr8
                                        ; implicit-def: $vgpr10
                                        ; implicit-def: $vgpr6
	s_branch .LBB45_118
.LBB45_117:
	s_cbranch_execnz .LBB45_120
.LBB45_118:
	s_load_dwordx4 s[8:11], s[4:5], 0x4
	s_load_dwordx4 s[12:15], s[4:5], 0xc4
	s_cmp_lt_u32 s33, 2
	s_waitcnt lgkmcnt(0)
	v_mul_hi_u32 v3, s9, v1
	v_add_u32_e32 v3, v1, v3
	v_lshrrev_b32_e32 v3, s10, v3
	v_mul_lo_u32 v5, v3, s8
	v_sub_u32_e32 v1, v1, v5
	v_mul_lo_u32 v6, v1, s12
	v_mul_lo_u32 v8, v1, s14
	;; [unrolled: 1-line block ×3, first 2 shown]
	s_cbranch_scc1 .LBB45_120
; %bb.119:
	s_load_dwordx4 s[8:11], s[4:5], 0x10
	s_load_dwordx4 s[12:15], s[4:5], 0xd0
	s_waitcnt lgkmcnt(0)
	v_mul_hi_u32 v1, s9, v3
	v_add_u32_e32 v1, v3, v1
	v_lshrrev_b32_e32 v1, s10, v1
	v_mul_lo_u32 v1, v1, s8
	v_sub_u32_e32 v1, v3, v1
	v_mad_u64_u32 v[6:7], s[2:3], v1, s12, v[6:7]
	v_mad_u64_u32 v[10:11], s[2:3], v1, s13, v[10:11]
	;; [unrolled: 1-line block ×3, first 2 shown]
.LBB45_120:
	s_and_b64 vcc, exec, s[0:1]
	v_add_u32_e32 v1, 0x100, v36
	s_cbranch_vccnz .LBB45_126
; %bb.121:
	s_cmp_lg_u32 s33, 0
	v_mov_b32_e32 v14, 0
	v_mov_b32_e32 v16, 0
	;; [unrolled: 1-line block ×3, first 2 shown]
	s_cbranch_scc0 .LBB45_127
; %bb.122:
	s_min_u32 s6, s34, 15
	s_add_i32 s2, s6, 1
	s_and_b32 s7, s2, 30
	s_add_u32 s2, s4, 0xffffffec
	s_addc_u32 s3, s5, -1
	v_mov_b32_e32 v12, 0
	v_mov_b32_e32 v3, v1
	;; [unrolled: 1-line block ×4, first 2 shown]
.LBB45_123:                             ; =>This Inner Loop Header: Depth=1
	s_mov_b64 s[16:17], s[2:3]
	s_load_dwordx4 s[8:11], s[16:17], 0x18
	s_load_dwordx2 s[18:19], s[16:17], 0x28
	s_load_dwordx2 s[20:21], s[16:17], 0xe8
	s_load_dwordx4 s[12:15], s[16:17], 0xd8
	s_add_u32 s2, s16, 24
	s_waitcnt lgkmcnt(0)
	v_mul_hi_u32 v5, s9, v3
	v_add_u32_e32 v5, v3, v5
	v_lshrrev_b32_e32 v5, s10, v5
	v_mul_lo_u32 v7, v5, s8
	v_mul_hi_u32 v9, s18, v5
	v_sub_u32_e32 v3, v3, v7
	v_add_u32_e32 v7, v5, v9
	v_mul_lo_u32 v9, v3, s12
	v_mul_lo_u32 v11, v3, s13
	;; [unrolled: 1-line block ×3, first 2 shown]
	v_lshrrev_b32_e32 v3, s19, v7
	v_mul_lo_u32 v7, v3, s11
	v_sub_u32_e32 v5, v5, v7
	s_addc_u32 s3, s17, 0
	s_add_i32 s7, s7, -2
	v_mul_lo_u32 v7, v5, s15
	v_mul_lo_u32 v15, v5, s20
	;; [unrolled: 1-line block ×3, first 2 shown]
	s_cmp_lg_u32 s7, 0
	v_add3_u32 v12, v9, v12, v7
	v_add3_u32 v14, v13, v14, v5
	;; [unrolled: 1-line block ×3, first 2 shown]
	s_cbranch_scc1 .LBB45_123
; %bb.124:
	s_bitcmp1_b32 s6, 0
	s_cselect_b64 s[6:7], -1, 0
	s_and_b64 vcc, exec, s[6:7]
	s_cbranch_vccnz .LBB45_127
; %bb.125:
	s_load_dwordx2 s[6:7], s[2:3], 0x18
	s_load_dword s10, s[2:3], 0x20
	s_load_dword s11, s[2:3], 0xe0
	s_load_dwordx2 s[8:9], s[2:3], 0xd8
	s_waitcnt lgkmcnt(0)
	v_mul_hi_u32 v5, s7, v3
	v_add_u32_e32 v5, v3, v5
	v_lshrrev_b32_e32 v5, s10, v5
	v_mul_lo_u32 v5, v5, s6
	v_sub_u32_e32 v3, v3, v5
	v_mad_u64_u32 v[12:13], s[2:3], v3, s8, v[12:13]
	v_mad_u64_u32 v[16:17], s[2:3], v3, s9, v[16:17]
	;; [unrolled: 1-line block ×3, first 2 shown]
	s_cbranch_execz .LBB45_128
	s_branch .LBB45_130
.LBB45_126:
                                        ; implicit-def: $vgpr14
                                        ; implicit-def: $vgpr16
                                        ; implicit-def: $vgpr12
	s_branch .LBB45_128
.LBB45_127:
	s_cbranch_execnz .LBB45_130
.LBB45_128:
	s_load_dwordx4 s[8:11], s[4:5], 0x4
	s_load_dwordx4 s[12:15], s[4:5], 0xc4
	s_cmp_lt_u32 s33, 2
	s_waitcnt lgkmcnt(0)
	v_mul_hi_u32 v3, s9, v1
	v_add_u32_e32 v3, v1, v3
	v_lshrrev_b32_e32 v3, s10, v3
	v_mul_lo_u32 v5, v3, s8
	v_sub_u32_e32 v1, v1, v5
	v_mul_lo_u32 v12, v1, s12
	v_mul_lo_u32 v14, v1, s14
	;; [unrolled: 1-line block ×3, first 2 shown]
	s_cbranch_scc1 .LBB45_130
; %bb.129:
	s_load_dwordx4 s[8:11], s[4:5], 0x10
	s_load_dwordx4 s[12:15], s[4:5], 0xd0
	s_waitcnt lgkmcnt(0)
	v_mul_hi_u32 v1, s9, v3
	v_add_u32_e32 v1, v3, v1
	v_lshrrev_b32_e32 v1, s10, v1
	v_mul_lo_u32 v1, v1, s8
	v_sub_u32_e32 v1, v3, v1
	v_mad_u64_u32 v[12:13], s[2:3], v1, s12, v[12:13]
	v_mad_u64_u32 v[16:17], s[2:3], v1, s13, v[16:17]
	;; [unrolled: 1-line block ×3, first 2 shown]
.LBB45_130:
	s_and_b64 vcc, exec, s[0:1]
	v_add_u32_e32 v1, 0x180, v36
	s_cbranch_vccnz .LBB45_136
; %bb.131:
	s_cmp_lg_u32 s33, 0
	v_mov_b32_e32 v20, 0
	v_mov_b32_e32 v22, 0
	;; [unrolled: 1-line block ×3, first 2 shown]
	s_cbranch_scc0 .LBB45_137
; %bb.132:
	s_min_u32 s6, s34, 15
	s_add_i32 s2, s6, 1
	s_and_b32 s7, s2, 30
	s_add_u32 s2, s4, 0xffffffec
	s_addc_u32 s3, s5, -1
	v_mov_b32_e32 v18, 0
	v_mov_b32_e32 v3, v1
	;; [unrolled: 1-line block ×4, first 2 shown]
.LBB45_133:                             ; =>This Inner Loop Header: Depth=1
	s_mov_b64 s[16:17], s[2:3]
	s_load_dwordx4 s[8:11], s[16:17], 0x18
	s_load_dwordx2 s[18:19], s[16:17], 0x28
	s_load_dwordx2 s[20:21], s[16:17], 0xe8
	s_load_dwordx4 s[12:15], s[16:17], 0xd8
	s_add_u32 s2, s16, 24
	s_waitcnt lgkmcnt(0)
	v_mul_hi_u32 v5, s9, v3
	v_add_u32_e32 v5, v3, v5
	v_lshrrev_b32_e32 v5, s10, v5
	v_mul_lo_u32 v7, v5, s8
	v_mul_hi_u32 v9, s18, v5
	v_sub_u32_e32 v3, v3, v7
	v_add_u32_e32 v7, v5, v9
	v_mul_lo_u32 v9, v3, s12
	v_mul_lo_u32 v11, v3, s13
	;; [unrolled: 1-line block ×3, first 2 shown]
	v_lshrrev_b32_e32 v3, s19, v7
	v_mul_lo_u32 v7, v3, s11
	v_sub_u32_e32 v5, v5, v7
	s_addc_u32 s3, s17, 0
	s_add_i32 s7, s7, -2
	v_mul_lo_u32 v7, v5, s15
	v_mul_lo_u32 v15, v5, s20
	;; [unrolled: 1-line block ×3, first 2 shown]
	s_cmp_lg_u32 s7, 0
	v_add3_u32 v18, v9, v18, v7
	v_add3_u32 v20, v13, v20, v5
	;; [unrolled: 1-line block ×3, first 2 shown]
	s_cbranch_scc1 .LBB45_133
; %bb.134:
	s_bitcmp1_b32 s6, 0
	s_cselect_b64 s[6:7], -1, 0
	s_and_b64 vcc, exec, s[6:7]
	s_cbranch_vccnz .LBB45_137
; %bb.135:
	s_load_dwordx2 s[6:7], s[2:3], 0x18
	s_load_dword s10, s[2:3], 0x20
	s_load_dword s11, s[2:3], 0xe0
	s_load_dwordx2 s[8:9], s[2:3], 0xd8
	s_waitcnt lgkmcnt(0)
	v_mul_hi_u32 v5, s7, v3
	v_add_u32_e32 v5, v3, v5
	v_lshrrev_b32_e32 v5, s10, v5
	v_mul_lo_u32 v5, v5, s6
	v_sub_u32_e32 v3, v3, v5
	v_mad_u64_u32 v[18:19], s[2:3], v3, s8, v[18:19]
	v_mad_u64_u32 v[22:23], s[2:3], v3, s9, v[22:23]
	;; [unrolled: 1-line block ×3, first 2 shown]
	s_cbranch_execz .LBB45_138
	s_branch .LBB45_140
.LBB45_136:
                                        ; implicit-def: $vgpr20
                                        ; implicit-def: $vgpr22
                                        ; implicit-def: $vgpr18
	s_branch .LBB45_138
.LBB45_137:
	s_cbranch_execnz .LBB45_140
.LBB45_138:
	s_load_dwordx4 s[8:11], s[4:5], 0x4
	s_load_dwordx4 s[12:15], s[4:5], 0xc4
	s_cmp_lt_u32 s33, 2
	s_waitcnt lgkmcnt(0)
	v_mul_hi_u32 v3, s9, v1
	v_add_u32_e32 v3, v1, v3
	v_lshrrev_b32_e32 v3, s10, v3
	v_mul_lo_u32 v5, v3, s8
	v_sub_u32_e32 v1, v1, v5
	v_mul_lo_u32 v18, v1, s12
	v_mul_lo_u32 v20, v1, s14
	;; [unrolled: 1-line block ×3, first 2 shown]
	s_cbranch_scc1 .LBB45_140
; %bb.139:
	s_load_dwordx4 s[8:11], s[4:5], 0x10
	s_load_dwordx4 s[12:15], s[4:5], 0xd0
	s_waitcnt lgkmcnt(0)
	v_mul_hi_u32 v1, s9, v3
	v_add_u32_e32 v1, v3, v1
	v_lshrrev_b32_e32 v1, s10, v1
	v_mul_lo_u32 v1, v1, s8
	v_sub_u32_e32 v1, v3, v1
	v_mad_u64_u32 v[18:19], s[2:3], v1, s12, v[18:19]
	v_mad_u64_u32 v[22:23], s[2:3], v1, s13, v[22:23]
	;; [unrolled: 1-line block ×3, first 2 shown]
.LBB45_140:
	s_and_b64 vcc, exec, s[0:1]
	v_add_u32_e32 v1, 0x200, v36
	s_cbranch_vccnz .LBB45_146
; %bb.141:
	s_cmp_lg_u32 s33, 0
	v_mov_b32_e32 v26, 0
	v_mov_b32_e32 v28, 0
	;; [unrolled: 1-line block ×3, first 2 shown]
	s_cbranch_scc0 .LBB45_147
; %bb.142:
	s_min_u32 s6, s34, 15
	s_add_i32 s2, s6, 1
	s_and_b32 s7, s2, 30
	s_add_u32 s2, s4, 0xffffffec
	s_addc_u32 s3, s5, -1
	v_mov_b32_e32 v24, 0
	v_mov_b32_e32 v3, v1
	v_mov_b32_e32 v28, 0
	v_mov_b32_e32 v26, 0
.LBB45_143:                             ; =>This Inner Loop Header: Depth=1
	s_mov_b64 s[16:17], s[2:3]
	s_load_dwordx4 s[8:11], s[16:17], 0x18
	s_load_dwordx2 s[18:19], s[16:17], 0x28
	s_load_dwordx2 s[20:21], s[16:17], 0xe8
	s_load_dwordx4 s[12:15], s[16:17], 0xd8
	s_add_u32 s2, s16, 24
	s_waitcnt lgkmcnt(0)
	v_mul_hi_u32 v5, s9, v3
	v_add_u32_e32 v5, v3, v5
	v_lshrrev_b32_e32 v5, s10, v5
	v_mul_lo_u32 v7, v5, s8
	v_mul_hi_u32 v9, s18, v5
	v_sub_u32_e32 v3, v3, v7
	v_add_u32_e32 v7, v5, v9
	v_mul_lo_u32 v9, v3, s12
	v_mul_lo_u32 v11, v3, s13
	;; [unrolled: 1-line block ×3, first 2 shown]
	v_lshrrev_b32_e32 v3, s19, v7
	v_mul_lo_u32 v7, v3, s11
	v_sub_u32_e32 v5, v5, v7
	s_addc_u32 s3, s17, 0
	s_add_i32 s7, s7, -2
	v_mul_lo_u32 v7, v5, s15
	v_mul_lo_u32 v15, v5, s20
	;; [unrolled: 1-line block ×3, first 2 shown]
	s_cmp_lg_u32 s7, 0
	v_add3_u32 v24, v9, v24, v7
	v_add3_u32 v26, v13, v26, v5
	;; [unrolled: 1-line block ×3, first 2 shown]
	s_cbranch_scc1 .LBB45_143
; %bb.144:
	s_bitcmp1_b32 s6, 0
	s_cselect_b64 s[6:7], -1, 0
	s_and_b64 vcc, exec, s[6:7]
	s_cbranch_vccnz .LBB45_147
; %bb.145:
	s_load_dwordx2 s[6:7], s[2:3], 0x18
	s_load_dword s10, s[2:3], 0x20
	s_load_dword s11, s[2:3], 0xe0
	s_load_dwordx2 s[8:9], s[2:3], 0xd8
	s_waitcnt lgkmcnt(0)
	v_mul_hi_u32 v5, s7, v3
	v_add_u32_e32 v5, v3, v5
	v_lshrrev_b32_e32 v5, s10, v5
	v_mul_lo_u32 v5, v5, s6
	v_sub_u32_e32 v3, v3, v5
	v_mad_u64_u32 v[24:25], s[2:3], v3, s8, v[24:25]
	v_mad_u64_u32 v[28:29], s[2:3], v3, s9, v[28:29]
	;; [unrolled: 1-line block ×3, first 2 shown]
	s_cbranch_execz .LBB45_148
	s_branch .LBB45_150
.LBB45_146:
                                        ; implicit-def: $vgpr26
                                        ; implicit-def: $vgpr28
                                        ; implicit-def: $vgpr24
	s_branch .LBB45_148
.LBB45_147:
	s_cbranch_execnz .LBB45_150
.LBB45_148:
	s_load_dwordx4 s[8:11], s[4:5], 0x4
	s_load_dwordx4 s[12:15], s[4:5], 0xc4
	s_cmp_lt_u32 s33, 2
	s_waitcnt lgkmcnt(0)
	v_mul_hi_u32 v3, s9, v1
	v_add_u32_e32 v3, v1, v3
	v_lshrrev_b32_e32 v3, s10, v3
	v_mul_lo_u32 v5, v3, s8
	v_sub_u32_e32 v1, v1, v5
	v_mul_lo_u32 v24, v1, s12
	v_mul_lo_u32 v26, v1, s14
	;; [unrolled: 1-line block ×3, first 2 shown]
	s_cbranch_scc1 .LBB45_150
; %bb.149:
	s_load_dwordx4 s[8:11], s[4:5], 0x10
	s_load_dwordx4 s[12:15], s[4:5], 0xd0
	s_waitcnt lgkmcnt(0)
	v_mul_hi_u32 v1, s9, v3
	v_add_u32_e32 v1, v3, v1
	v_lshrrev_b32_e32 v1, s10, v1
	v_mul_lo_u32 v1, v1, s8
	v_sub_u32_e32 v1, v3, v1
	v_mad_u64_u32 v[24:25], s[2:3], v1, s12, v[24:25]
	v_mad_u64_u32 v[28:29], s[2:3], v1, s13, v[28:29]
	;; [unrolled: 1-line block ×3, first 2 shown]
.LBB45_150:
	s_and_b64 vcc, exec, s[0:1]
	v_add_u32_e32 v1, 0x280, v36
	s_cbranch_vccnz .LBB45_156
; %bb.151:
	s_cmp_lg_u32 s33, 0
	v_mov_b32_e32 v32, 0
	v_mov_b32_e32 v34, 0
	;; [unrolled: 1-line block ×3, first 2 shown]
	s_cbranch_scc0 .LBB45_157
; %bb.152:
	s_min_u32 s6, s34, 15
	s_add_i32 s2, s6, 1
	s_and_b32 s7, s2, 30
	s_add_u32 s2, s4, 0xffffffec
	s_addc_u32 s3, s5, -1
	v_mov_b32_e32 v30, 0
	v_mov_b32_e32 v3, v1
	;; [unrolled: 1-line block ×4, first 2 shown]
.LBB45_153:                             ; =>This Inner Loop Header: Depth=1
	s_mov_b64 s[16:17], s[2:3]
	s_load_dwordx4 s[8:11], s[16:17], 0x18
	s_load_dwordx2 s[18:19], s[16:17], 0x28
	s_load_dwordx2 s[20:21], s[16:17], 0xe8
	s_load_dwordx4 s[12:15], s[16:17], 0xd8
	s_add_u32 s2, s16, 24
	s_waitcnt lgkmcnt(0)
	v_mul_hi_u32 v5, s9, v3
	v_add_u32_e32 v5, v3, v5
	v_lshrrev_b32_e32 v5, s10, v5
	v_mul_lo_u32 v7, v5, s8
	v_mul_hi_u32 v9, s18, v5
	v_sub_u32_e32 v3, v3, v7
	v_add_u32_e32 v7, v5, v9
	v_mul_lo_u32 v9, v3, s12
	v_mul_lo_u32 v11, v3, s13
	v_mul_lo_u32 v13, v3, s14
	v_lshrrev_b32_e32 v3, s19, v7
	v_mul_lo_u32 v7, v3, s11
	v_sub_u32_e32 v5, v5, v7
	s_addc_u32 s3, s17, 0
	s_add_i32 s7, s7, -2
	v_mul_lo_u32 v7, v5, s15
	v_mul_lo_u32 v15, v5, s20
	;; [unrolled: 1-line block ×3, first 2 shown]
	s_cmp_lg_u32 s7, 0
	v_add3_u32 v30, v9, v30, v7
	v_add3_u32 v32, v13, v32, v5
	;; [unrolled: 1-line block ×3, first 2 shown]
	s_cbranch_scc1 .LBB45_153
; %bb.154:
	s_bitcmp1_b32 s6, 0
	s_cselect_b64 s[6:7], -1, 0
	s_and_b64 vcc, exec, s[6:7]
	s_cbranch_vccnz .LBB45_157
; %bb.155:
	s_load_dwordx2 s[6:7], s[2:3], 0x18
	s_load_dword s10, s[2:3], 0x20
	s_load_dword s11, s[2:3], 0xe0
	s_load_dwordx2 s[8:9], s[2:3], 0xd8
	s_waitcnt lgkmcnt(0)
	v_mul_hi_u32 v5, s7, v3
	v_add_u32_e32 v5, v3, v5
	v_lshrrev_b32_e32 v5, s10, v5
	v_mul_lo_u32 v5, v5, s6
	v_sub_u32_e32 v3, v3, v5
	v_mad_u64_u32 v[30:31], s[2:3], v3, s8, v[30:31]
	v_mad_u64_u32 v[34:35], s[2:3], v3, s9, v[34:35]
	;; [unrolled: 1-line block ×3, first 2 shown]
	s_cbranch_execz .LBB45_158
	s_branch .LBB45_160
.LBB45_156:
                                        ; implicit-def: $vgpr32
                                        ; implicit-def: $vgpr34
                                        ; implicit-def: $vgpr30
	s_branch .LBB45_158
.LBB45_157:
	s_cbranch_execnz .LBB45_160
.LBB45_158:
	s_load_dwordx4 s[8:11], s[4:5], 0x4
	s_load_dwordx4 s[12:15], s[4:5], 0xc4
	s_cmp_lt_u32 s33, 2
	s_waitcnt lgkmcnt(0)
	v_mul_hi_u32 v3, s9, v1
	v_add_u32_e32 v3, v1, v3
	v_lshrrev_b32_e32 v3, s10, v3
	v_mul_lo_u32 v5, v3, s8
	v_sub_u32_e32 v1, v1, v5
	v_mul_lo_u32 v30, v1, s12
	v_mul_lo_u32 v32, v1, s14
	;; [unrolled: 1-line block ×3, first 2 shown]
	s_cbranch_scc1 .LBB45_160
; %bb.159:
	s_load_dwordx4 s[8:11], s[4:5], 0x10
	s_load_dwordx4 s[12:15], s[4:5], 0xd0
	s_waitcnt lgkmcnt(0)
	v_mul_hi_u32 v1, s9, v3
	v_add_u32_e32 v1, v3, v1
	v_lshrrev_b32_e32 v1, s10, v1
	v_mul_lo_u32 v1, v1, s8
	v_sub_u32_e32 v1, v3, v1
	v_mad_u64_u32 v[30:31], s[2:3], v1, s12, v[30:31]
	v_mad_u64_u32 v[34:35], s[2:3], v1, s13, v[34:35]
	v_mad_u64_u32 v[32:33], s[2:3], v1, s14, v[32:33]
.LBB45_160:
	s_and_b64 vcc, exec, s[0:1]
	v_add_u32_e32 v1, 0x300, v36
	s_cbranch_vccnz .LBB45_166
; %bb.161:
	s_cmp_lg_u32 s33, 0
	v_mov_b32_e32 v38, 0
	v_mov_b32_e32 v40, 0
	;; [unrolled: 1-line block ×3, first 2 shown]
	s_cbranch_scc0 .LBB45_167
; %bb.162:
	s_min_u32 s6, s34, 15
	s_add_i32 s2, s6, 1
	s_and_b32 s7, s2, 30
	s_add_u32 s2, s4, 0xffffffec
	s_addc_u32 s3, s5, -1
	v_mov_b32_e32 v36, 0
	v_mov_b32_e32 v3, v1
	;; [unrolled: 1-line block ×4, first 2 shown]
.LBB45_163:                             ; =>This Inner Loop Header: Depth=1
	s_mov_b64 s[16:17], s[2:3]
	s_load_dwordx4 s[8:11], s[16:17], 0x18
	s_load_dwordx2 s[18:19], s[16:17], 0x28
	s_load_dwordx2 s[20:21], s[16:17], 0xe8
	s_load_dwordx4 s[12:15], s[16:17], 0xd8
	s_add_u32 s2, s16, 24
	s_waitcnt lgkmcnt(0)
	v_mul_hi_u32 v5, s9, v3
	v_add_u32_e32 v5, v3, v5
	v_lshrrev_b32_e32 v5, s10, v5
	v_mul_lo_u32 v7, v5, s8
	v_mul_hi_u32 v9, s18, v5
	v_sub_u32_e32 v3, v3, v7
	v_add_u32_e32 v7, v5, v9
	v_mul_lo_u32 v9, v3, s12
	v_mul_lo_u32 v11, v3, s13
	;; [unrolled: 1-line block ×3, first 2 shown]
	v_lshrrev_b32_e32 v3, s19, v7
	v_mul_lo_u32 v7, v3, s11
	v_sub_u32_e32 v5, v5, v7
	s_addc_u32 s3, s17, 0
	s_add_i32 s7, s7, -2
	v_mul_lo_u32 v7, v5, s15
	v_mul_lo_u32 v15, v5, s20
	;; [unrolled: 1-line block ×3, first 2 shown]
	s_cmp_lg_u32 s7, 0
	v_add3_u32 v36, v9, v36, v7
	v_add3_u32 v38, v13, v38, v5
	;; [unrolled: 1-line block ×3, first 2 shown]
	s_cbranch_scc1 .LBB45_163
; %bb.164:
	s_bitcmp1_b32 s6, 0
	s_cselect_b64 s[6:7], -1, 0
	s_and_b64 vcc, exec, s[6:7]
	s_cbranch_vccnz .LBB45_167
; %bb.165:
	s_load_dwordx2 s[6:7], s[2:3], 0x18
	s_load_dword s10, s[2:3], 0x20
	s_load_dword s11, s[2:3], 0xe0
	s_load_dwordx2 s[8:9], s[2:3], 0xd8
	s_waitcnt lgkmcnt(0)
	v_mul_hi_u32 v5, s7, v3
	v_add_u32_e32 v5, v3, v5
	v_lshrrev_b32_e32 v5, s10, v5
	v_mul_lo_u32 v5, v5, s6
	v_sub_u32_e32 v3, v3, v5
	v_mad_u64_u32 v[36:37], s[2:3], v3, s8, v[36:37]
	v_mad_u64_u32 v[40:41], s[2:3], v3, s9, v[40:41]
	;; [unrolled: 1-line block ×3, first 2 shown]
	s_cbranch_execz .LBB45_168
	s_branch .LBB45_170
.LBB45_166:
                                        ; implicit-def: $vgpr38
                                        ; implicit-def: $vgpr40
                                        ; implicit-def: $vgpr36
	s_branch .LBB45_168
.LBB45_167:
	s_cbranch_execnz .LBB45_170
.LBB45_168:
	s_load_dwordx4 s[8:11], s[4:5], 0x4
	s_load_dwordx4 s[12:15], s[4:5], 0xc4
	s_cmp_lt_u32 s33, 2
	s_waitcnt lgkmcnt(0)
	v_mul_hi_u32 v3, s9, v1
	v_add_u32_e32 v3, v1, v3
	v_lshrrev_b32_e32 v3, s10, v3
	v_mul_lo_u32 v5, v3, s8
	v_sub_u32_e32 v1, v1, v5
	v_mul_lo_u32 v36, v1, s12
	v_mul_lo_u32 v38, v1, s14
	;; [unrolled: 1-line block ×3, first 2 shown]
	s_cbranch_scc1 .LBB45_170
; %bb.169:
	s_load_dwordx4 s[8:11], s[4:5], 0x10
	s_load_dwordx4 s[12:15], s[4:5], 0xd0
	s_waitcnt lgkmcnt(0)
	v_mul_hi_u32 v1, s9, v3
	v_add_u32_e32 v1, v3, v1
	v_lshrrev_b32_e32 v1, s10, v1
	v_mul_lo_u32 v1, v1, s8
	v_sub_u32_e32 v1, v3, v1
	v_mad_u64_u32 v[36:37], s[2:3], v1, s12, v[36:37]
	v_mad_u64_u32 v[40:41], s[2:3], v1, s13, v[40:41]
	;; [unrolled: 1-line block ×3, first 2 shown]
.LBB45_170:
	s_and_b64 vcc, exec, s[0:1]
	s_cbranch_vccnz .LBB45_176
; %bb.171:
	s_cmp_lg_u32 s33, 0
	v_mov_b32_e32 v44, 0
	v_mov_b32_e32 v46, 0
	;; [unrolled: 1-line block ×3, first 2 shown]
	s_cbranch_scc0 .LBB45_177
; %bb.172:
	s_min_u32 s2, s34, 15
	s_add_i32 s0, s2, 1
	s_and_b32 s3, s0, 30
	s_add_u32 s0, s4, 0xffffffec
	s_addc_u32 s1, s5, -1
	v_mov_b32_e32 v42, 0
	v_mov_b32_e32 v1, v48
	;; [unrolled: 1-line block ×4, first 2 shown]
.LBB45_173:                             ; =>This Inner Loop Header: Depth=1
	s_mov_b64 s[6:7], s[0:1]
	s_load_dwordx4 s[8:11], s[6:7], 0x18
	s_load_dwordx2 s[16:17], s[6:7], 0x28
	s_load_dwordx2 s[18:19], s[6:7], 0xe8
	s_load_dwordx4 s[12:15], s[6:7], 0xd8
	s_add_u32 s0, s6, 24
	s_waitcnt lgkmcnt(0)
	v_mul_hi_u32 v3, s9, v1
	v_add_u32_e32 v3, v1, v3
	v_lshrrev_b32_e32 v3, s10, v3
	v_mul_lo_u32 v5, v3, s8
	v_mul_hi_u32 v7, s16, v3
	v_sub_u32_e32 v1, v1, v5
	v_add_u32_e32 v5, v3, v7
	v_mul_lo_u32 v7, v1, s12
	v_mul_lo_u32 v9, v1, s13
	v_mul_lo_u32 v11, v1, s14
	v_lshrrev_b32_e32 v1, s17, v5
	v_mul_lo_u32 v5, v1, s11
	v_sub_u32_e32 v3, v3, v5
	s_addc_u32 s1, s7, 0
	s_add_i32 s3, s3, -2
	v_mul_lo_u32 v5, v3, s15
	v_mul_lo_u32 v13, v3, s18
	v_mul_lo_u32 v3, v3, s19
	s_cmp_lg_u32 s3, 0
	v_add3_u32 v42, v7, v42, v5
	v_add3_u32 v44, v11, v44, v3
	;; [unrolled: 1-line block ×3, first 2 shown]
	s_cbranch_scc1 .LBB45_173
; %bb.174:
	s_bitcmp1_b32 s2, 0
	s_cselect_b64 s[2:3], -1, 0
	s_and_b64 vcc, exec, s[2:3]
	s_cbranch_vccnz .LBB45_177
; %bb.175:
	s_load_dwordx2 s[2:3], s[0:1], 0x18
	s_load_dword s8, s[0:1], 0x20
	s_load_dword s9, s[0:1], 0xe0
	s_load_dwordx2 s[6:7], s[0:1], 0xd8
	s_waitcnt lgkmcnt(0)
	v_mul_hi_u32 v3, s3, v1
	v_add_u32_e32 v3, v1, v3
	v_lshrrev_b32_e32 v3, s8, v3
	v_mul_lo_u32 v3, v3, s2
	v_sub_u32_e32 v1, v1, v3
	v_mad_u64_u32 v[42:43], s[0:1], v1, s6, v[42:43]
	v_mad_u64_u32 v[46:47], s[0:1], v1, s7, v[46:47]
	;; [unrolled: 1-line block ×3, first 2 shown]
	s_cbranch_execz .LBB45_178
	s_branch .LBB45_180
.LBB45_176:
                                        ; implicit-def: $vgpr44
                                        ; implicit-def: $vgpr46
                                        ; implicit-def: $vgpr42
	s_branch .LBB45_178
.LBB45_177:
	s_cbranch_execnz .LBB45_180
.LBB45_178:
	s_load_dwordx4 s[0:3], s[4:5], 0x4
	s_load_dwordx4 s[8:11], s[4:5], 0xc4
	s_cmp_lt_u32 s33, 2
	s_waitcnt lgkmcnt(0)
	v_mul_hi_u32 v1, s1, v48
	v_add_u32_e32 v1, v48, v1
	v_lshrrev_b32_e32 v1, s2, v1
	v_mul_lo_u32 v3, v1, s0
	v_sub_u32_e32 v3, v48, v3
	v_mul_lo_u32 v42, v3, s8
	v_mul_lo_u32 v44, v3, s10
	;; [unrolled: 1-line block ×3, first 2 shown]
	s_cbranch_scc1 .LBB45_180
; %bb.179:
	s_load_dwordx4 s[0:3], s[4:5], 0x10
	s_load_dwordx4 s[8:11], s[4:5], 0xd0
	s_waitcnt lgkmcnt(0)
	v_mul_hi_u32 v3, s1, v1
	v_add_u32_e32 v3, v1, v3
	v_lshrrev_b32_e32 v3, s2, v3
	v_mul_lo_u32 v3, v3, s0
	v_sub_u32_e32 v1, v1, v3
	v_mad_u64_u32 v[42:43], s[0:1], v1, s8, v[42:43]
	v_mad_u64_u32 v[46:47], s[0:1], v1, s9, v[46:47]
	v_mad_u64_u32 v[44:45], s[0:1], v1, s10, v[44:45]
.LBB45_180:
	s_load_dwordx4 s[0:3], s[4:5], 0x188
	s_load_dwordx2 s[6:7], s[4:5], 0x198
	s_waitcnt lgkmcnt(0)
	global_load_ushort v1, v4, s[2:3]
	global_load_ushort v3, v2, s[6:7]
	;; [unrolled: 1-line block ×15, first 2 shown]
                                        ; kill: killed $vgpr22
                                        ; kill: killed $vgpr20
                                        ; kill: killed $vgpr28
                                        ; kill: killed $vgpr4
                                        ; kill: killed $vgpr26
                                        ; kill: killed $vgpr2
                                        ; kill: killed $vgpr34
                                        ; kill: killed $vgpr10
                                        ; kill: killed $sgpr2_sgpr3
                                        ; kill: killed $vgpr32
                                        ; kill: killed $vgpr8
                                        ; kill: killed $vgpr40
                                        ; kill: killed $vgpr16
                                        ; kill: killed $vgpr38
                                        ; kill: killed $vgpr14
                                        ; kill: killed $vgpr46
	global_load_ushort v2, v44, s[6:7]
	s_waitcnt vmcnt(15)
	v_and_b32_e32 v1, 0x7fff, v1
	s_waitcnt vmcnt(14)
	v_and_b32_e32 v3, 0xffff8000, v3
	;; [unrolled: 2-line block ×15, first 2 shown]
	v_or_b32_e32 v1, v3, v1
	v_or_b32_e32 v3, v5, v4
	;; [unrolled: 1-line block ×7, first 2 shown]
	s_waitcnt vmcnt(0)
	v_and_b32_e32 v2, 0xffff8000, v2
	v_or_b32_e32 v2, v2, v19
	global_store_short v0, v1, s[0:1]
	global_store_short v6, v3, s[0:1]
	;; [unrolled: 1-line block ×8, first 2 shown]
	s_endpgm
	.section	.rodata,"a",@progbits
	.p2align	6, 0x0
	.amdhsa_kernel _ZN2at6native32elementwise_kernel_manual_unrollILi128ELi8EZNS0_22gpu_kernel_impl_nocastINS0_13BinaryFunctorIN3c108BFloat16ES5_S5_ZNS0_20copysign_kernel_cudaERNS_18TensorIteratorBaseEEUlS5_S5_E_EEEEvS7_RKT_EUlibE_EEviT1_
		.amdhsa_group_segment_fixed_size 0
		.amdhsa_private_segment_fixed_size 0
		.amdhsa_kernarg_size 432
		.amdhsa_user_sgpr_count 6
		.amdhsa_user_sgpr_private_segment_buffer 1
		.amdhsa_user_sgpr_dispatch_ptr 0
		.amdhsa_user_sgpr_queue_ptr 0
		.amdhsa_user_sgpr_kernarg_segment_ptr 1
		.amdhsa_user_sgpr_dispatch_id 0
		.amdhsa_user_sgpr_flat_scratch_init 0
		.amdhsa_user_sgpr_kernarg_preload_length 0
		.amdhsa_user_sgpr_kernarg_preload_offset 0
		.amdhsa_user_sgpr_private_segment_size 0
		.amdhsa_uses_dynamic_stack 0
		.amdhsa_system_sgpr_private_segment_wavefront_offset 0
		.amdhsa_system_sgpr_workgroup_id_x 1
		.amdhsa_system_sgpr_workgroup_id_y 0
		.amdhsa_system_sgpr_workgroup_id_z 0
		.amdhsa_system_sgpr_workgroup_info 0
		.amdhsa_system_vgpr_workitem_id 0
		.amdhsa_next_free_vgpr 49
		.amdhsa_next_free_sgpr 52
		.amdhsa_accum_offset 52
		.amdhsa_reserve_vcc 1
		.amdhsa_reserve_flat_scratch 0
		.amdhsa_float_round_mode_32 0
		.amdhsa_float_round_mode_16_64 0
		.amdhsa_float_denorm_mode_32 3
		.amdhsa_float_denorm_mode_16_64 3
		.amdhsa_dx10_clamp 1
		.amdhsa_ieee_mode 1
		.amdhsa_fp16_overflow 0
		.amdhsa_tg_split 0
		.amdhsa_exception_fp_ieee_invalid_op 0
		.amdhsa_exception_fp_denorm_src 0
		.amdhsa_exception_fp_ieee_div_zero 0
		.amdhsa_exception_fp_ieee_overflow 0
		.amdhsa_exception_fp_ieee_underflow 0
		.amdhsa_exception_fp_ieee_inexact 0
		.amdhsa_exception_int_div_zero 0
	.end_amdhsa_kernel
	.section	.text._ZN2at6native32elementwise_kernel_manual_unrollILi128ELi8EZNS0_22gpu_kernel_impl_nocastINS0_13BinaryFunctorIN3c108BFloat16ES5_S5_ZNS0_20copysign_kernel_cudaERNS_18TensorIteratorBaseEEUlS5_S5_E_EEEEvS7_RKT_EUlibE_EEviT1_,"axG",@progbits,_ZN2at6native32elementwise_kernel_manual_unrollILi128ELi8EZNS0_22gpu_kernel_impl_nocastINS0_13BinaryFunctorIN3c108BFloat16ES5_S5_ZNS0_20copysign_kernel_cudaERNS_18TensorIteratorBaseEEUlS5_S5_E_EEEEvS7_RKT_EUlibE_EEviT1_,comdat
.Lfunc_end45:
	.size	_ZN2at6native32elementwise_kernel_manual_unrollILi128ELi8EZNS0_22gpu_kernel_impl_nocastINS0_13BinaryFunctorIN3c108BFloat16ES5_S5_ZNS0_20copysign_kernel_cudaERNS_18TensorIteratorBaseEEUlS5_S5_E_EEEEvS7_RKT_EUlibE_EEviT1_, .Lfunc_end45-_ZN2at6native32elementwise_kernel_manual_unrollILi128ELi8EZNS0_22gpu_kernel_impl_nocastINS0_13BinaryFunctorIN3c108BFloat16ES5_S5_ZNS0_20copysign_kernel_cudaERNS_18TensorIteratorBaseEEUlS5_S5_E_EEEEvS7_RKT_EUlibE_EEviT1_
                                        ; -- End function
	.section	.AMDGPU.csdata,"",@progbits
; Kernel info:
; codeLenInByte = 9468
; NumSgprs: 56
; NumVgprs: 49
; NumAgprs: 0
; TotalNumVgprs: 49
; ScratchSize: 0
; MemoryBound: 0
; FloatMode: 240
; IeeeMode: 1
; LDSByteSize: 0 bytes/workgroup (compile time only)
; SGPRBlocks: 6
; VGPRBlocks: 6
; NumSGPRsForWavesPerEU: 56
; NumVGPRsForWavesPerEU: 49
; AccumOffset: 52
; Occupancy: 8
; WaveLimiterHint : 1
; COMPUTE_PGM_RSRC2:SCRATCH_EN: 0
; COMPUTE_PGM_RSRC2:USER_SGPR: 6
; COMPUTE_PGM_RSRC2:TRAP_HANDLER: 0
; COMPUTE_PGM_RSRC2:TGID_X_EN: 1
; COMPUTE_PGM_RSRC2:TGID_Y_EN: 0
; COMPUTE_PGM_RSRC2:TGID_Z_EN: 0
; COMPUTE_PGM_RSRC2:TIDIG_COMP_CNT: 0
; COMPUTE_PGM_RSRC3_GFX90A:ACCUM_OFFSET: 12
; COMPUTE_PGM_RSRC3_GFX90A:TG_SPLIT: 0
	.section	.text._ZN2at6native32elementwise_kernel_manual_unrollILi128ELi4EZNS0_15gpu_kernel_implINS0_13BinaryFunctorIN3c108BFloat16ES5_S5_ZNS0_20copysign_kernel_cudaERNS_18TensorIteratorBaseEEUlS5_S5_E_EEEEvS7_RKT_EUlibE_EEviT1_,"axG",@progbits,_ZN2at6native32elementwise_kernel_manual_unrollILi128ELi4EZNS0_15gpu_kernel_implINS0_13BinaryFunctorIN3c108BFloat16ES5_S5_ZNS0_20copysign_kernel_cudaERNS_18TensorIteratorBaseEEUlS5_S5_E_EEEEvS7_RKT_EUlibE_EEviT1_,comdat
	.globl	_ZN2at6native32elementwise_kernel_manual_unrollILi128ELi4EZNS0_15gpu_kernel_implINS0_13BinaryFunctorIN3c108BFloat16ES5_S5_ZNS0_20copysign_kernel_cudaERNS_18TensorIteratorBaseEEUlS5_S5_E_EEEEvS7_RKT_EUlibE_EEviT1_ ; -- Begin function _ZN2at6native32elementwise_kernel_manual_unrollILi128ELi4EZNS0_15gpu_kernel_implINS0_13BinaryFunctorIN3c108BFloat16ES5_S5_ZNS0_20copysign_kernel_cudaERNS_18TensorIteratorBaseEEUlS5_S5_E_EEEEvS7_RKT_EUlibE_EEviT1_
	.p2align	8
	.type	_ZN2at6native32elementwise_kernel_manual_unrollILi128ELi4EZNS0_15gpu_kernel_implINS0_13BinaryFunctorIN3c108BFloat16ES5_S5_ZNS0_20copysign_kernel_cudaERNS_18TensorIteratorBaseEEUlS5_S5_E_EEEEvS7_RKT_EUlibE_EEviT1_,@function
_ZN2at6native32elementwise_kernel_manual_unrollILi128ELi4EZNS0_15gpu_kernel_implINS0_13BinaryFunctorIN3c108BFloat16ES5_S5_ZNS0_20copysign_kernel_cudaERNS_18TensorIteratorBaseEEUlS5_S5_E_EEEEvS7_RKT_EUlibE_EEviT1_: ; @_ZN2at6native32elementwise_kernel_manual_unrollILi128ELi4EZNS0_15gpu_kernel_implINS0_13BinaryFunctorIN3c108BFloat16ES5_S5_ZNS0_20copysign_kernel_cudaERNS_18TensorIteratorBaseEEUlS5_S5_E_EEEEvS7_RKT_EUlibE_EEviT1_
; %bb.0:
	v_mov_b32_e32 v1, 0
	global_load_ushort v2, v1, s[4:5] offset:45
	global_load_sbyte v4, v1, s[4:5] offset:47
	s_load_dword s33, s[4:5], 0x0
	s_load_dwordx4 s[8:11], s[4:5], 0x8
	s_load_dwordx2 s[2:3], s[4:5], 0x18
	s_load_dwordx4 s[12:15], s[4:5], 0x20
	v_lshl_or_b32 v3, s6, 9, v0
	v_or_b32_e32 v0, 0x180, v3
	s_mov_b64 s[16:17], 0
	s_waitcnt lgkmcnt(0)
	v_cmp_le_i32_e32 vcc, s33, v0
	s_mov_b64 s[6:7], 0
	s_waitcnt vmcnt(1)
	v_lshrrev_b32_e32 v5, 8, v2
	s_and_saveexec_b64 s[0:1], vcc
	s_xor_b64 s[4:5], exec, s[0:1]
	s_cbranch_execz .LBB46_1544
; %bb.1:
	v_cmp_gt_i32_e32 vcc, s33, v3
	s_mov_b64 s[0:1], -1
	s_mov_b64 s[26:27], 0
	s_mov_b64 s[20:21], 0
	;; [unrolled: 1-line block ×3, first 2 shown]
	s_and_saveexec_b64 s[22:23], vcc
	s_cbranch_execz .LBB46_383
; %bb.2:
	v_mul_lo_u32 v0, v3, s13
	v_ashrrev_i32_e32 v1, 31, v0
	v_mov_b32_e32 v6, s11
	v_add_co_u32_e32 v0, vcc, s10, v0
	v_addc_co_u32_e32 v1, vcc, v6, v1, vcc
	v_mov_b32_e32 v6, 11
	v_cmp_lt_i16_sdwa s[0:1], v5, v6 src0_sel:BYTE_0 src1_sel:DWORD
	s_and_b64 vcc, exec, s[0:1]
	s_cbranch_vccnz .LBB46_9
; %bb.3:
	v_mov_b32_e32 v6, 25
	v_cmp_gt_i16_sdwa s[0:1], v5, v6 src0_sel:BYTE_0 src1_sel:DWORD
	s_and_b64 vcc, exec, s[0:1]
	s_cbranch_vccz .LBB46_18
; %bb.4:
	v_mov_b32_e32 v6, 28
	v_cmp_gt_i16_sdwa s[0:1], v5, v6 src0_sel:BYTE_0 src1_sel:DWORD
	s_and_b64 vcc, exec, s[0:1]
	s_cbranch_vccz .LBB46_28
; %bb.5:
	v_mov_b32_e32 v6, 43
	v_cmp_gt_i16_sdwa s[0:1], v5, v6 src0_sel:BYTE_0 src1_sel:DWORD
	s_and_b64 vcc, exec, s[0:1]
	s_cbranch_vccz .LBB46_31
; %bb.6:
	v_mov_b32_e32 v6, 45
	v_cmp_gt_i16_sdwa s[0:1], v5, v6 src0_sel:BYTE_0 src1_sel:DWORD
	s_and_b64 vcc, exec, s[0:1]
	s_cbranch_vccz .LBB46_34
; %bb.7:
	v_mov_b32_e32 v6, 46
	v_cmp_eq_u16_sdwa s[0:1], v5, v6 src0_sel:BYTE_0 src1_sel:DWORD
	s_and_b64 vcc, exec, s[0:1]
	s_cbranch_vccz .LBB46_37
; %bb.8:
	global_load_dword v6, v[0:1], off
	s_mov_b64 s[0:1], -1
	s_branch .LBB46_39
.LBB46_9:
                                        ; implicit-def: $vgpr6
	s_mov_b64 s[0:1], 0
	s_cbranch_execnz .LBB46_105
.LBB46_10:
	s_andn2_b64 vcc, exec, s[0:1]
	s_cbranch_vccnz .LBB46_152
.LBB46_11:
	v_mul_lo_u32 v0, v3, s14
	v_ashrrev_i32_e32 v1, 31, v0
	v_mov_b32_e32 v7, s3
	v_add_co_u32_e32 v0, vcc, s2, v0
	v_addc_co_u32_e32 v1, vcc, v7, v1, vcc
	v_mov_b32_e32 v7, 11
	s_waitcnt vmcnt(0)
	v_cmp_lt_i16_sdwa s[0:1], v4, v7 src0_sel:BYTE_0 src1_sel:DWORD
	s_and_b64 vcc, exec, s[0:1]
	s_cbranch_vccnz .LBB46_19
; %bb.12:
	v_mov_b32_e32 v7, 25
	v_cmp_gt_i16_sdwa s[0:1], v4, v7 src0_sel:BYTE_0 src1_sel:DWORD
	s_and_b64 vcc, exec, s[0:1]
	s_cbranch_vccz .LBB46_29
; %bb.13:
	v_mov_b32_e32 v7, 28
	v_cmp_gt_i16_sdwa s[0:1], v4, v7 src0_sel:BYTE_0 src1_sel:DWORD
	s_and_b64 vcc, exec, s[0:1]
	s_cbranch_vccz .LBB46_32
; %bb.14:
	v_mov_b32_e32 v7, 43
	v_cmp_gt_i16_sdwa s[0:1], v4, v7 src0_sel:BYTE_0 src1_sel:DWORD
	s_and_b64 vcc, exec, s[0:1]
	s_cbranch_vccz .LBB46_35
; %bb.15:
	v_mov_b32_e32 v7, 45
	v_cmp_gt_i16_sdwa s[0:1], v4, v7 src0_sel:BYTE_0 src1_sel:DWORD
	s_and_b64 vcc, exec, s[0:1]
	s_cbranch_vccz .LBB46_42
; %bb.16:
	v_mov_b32_e32 v7, 46
	v_cmp_eq_u16_sdwa s[0:1], v4, v7 src0_sel:BYTE_0 src1_sel:DWORD
	s_mov_b64 s[6:7], 0
	s_and_b64 vcc, exec, s[0:1]
	s_cbranch_vccz .LBB46_153
; %bb.17:
	global_load_dword v8, v[0:1], off
	s_mov_b64 s[0:1], -1
	s_mov_b64 s[18:19], 0
	s_branch .LBB46_155
.LBB46_18:
	s_mov_b64 s[0:1], 0
                                        ; implicit-def: $vgpr6
	s_cbranch_execnz .LBB46_70
	s_branch .LBB46_104
.LBB46_19:
	s_mov_b64 s[18:19], 0
                                        ; implicit-def: $vgpr8
	s_mov_b64 s[0:1], 0
	s_cbranch_execnz .LBB46_332
.LBB46_20:
	s_andn2_b64 vcc, exec, s[0:1]
	s_cbranch_vccnz .LBB46_380
.LBB46_21:
	v_and_b32_e32 v7, 0x7fff, v6
	s_waitcnt vmcnt(0)
	v_and_b32_e32 v0, 0xffff8000, v8
	v_or_b32_e32 v6, v0, v7
	v_mul_lo_u32 v0, v3, s12
	v_ashrrev_i32_e32 v1, 31, v0
	v_mov_b32_e32 v8, s9
	v_add_co_u32_e32 v0, vcc, s8, v0
	v_addc_co_u32_e32 v1, vcc, v8, v1, vcc
	v_mov_b32_e32 v8, 11
	v_cmp_lt_i16_sdwa s[0:1], v2, v8 src0_sel:BYTE_0 src1_sel:DWORD
	s_and_b64 vcc, exec, s[0:1]
	s_cbranch_vccnz .LBB46_30
; %bb.22:
	v_mov_b32_e32 v8, 25
	v_cmp_gt_i16_sdwa s[0:1], v2, v8 src0_sel:BYTE_0 src1_sel:DWORD
	s_and_b64 vcc, exec, s[0:1]
	s_cbranch_vccz .LBB46_33
; %bb.23:
	v_mov_b32_e32 v8, 28
	v_cmp_gt_i16_sdwa s[0:1], v2, v8 src0_sel:BYTE_0 src1_sel:DWORD
	s_and_b64 vcc, exec, s[0:1]
	s_cbranch_vccz .LBB46_36
	;; [unrolled: 5-line block ×4, first 2 shown]
; %bb.26:
	v_mov_b32_e32 v8, 46
	v_cmp_eq_u16_sdwa s[6:7], v2, v8 src0_sel:BYTE_0 src1_sel:DWORD
	s_mov_b64 s[24:25], 0
	s_mov_b64 s[0:1], -1
	s_and_b64 vcc, exec, s[6:7]
	s_mov_b64 s[6:7], 0
	s_cbranch_vccz .LBB46_159
; %bb.27:
	v_and_b32_e32 v8, 0xffff, v6
	global_store_dword v[0:1], v8, off
	s_mov_b64 s[6:7], -1
	s_mov_b64 s[0:1], 0
	s_branch .LBB46_159
.LBB46_28:
	s_mov_b64 s[6:7], -1
	s_mov_b64 s[0:1], 0
                                        ; implicit-def: $vgpr6
	s_branch .LBB46_51
.LBB46_29:
	s_mov_b64 s[6:7], -1
	s_mov_b64 s[18:19], 0
	s_mov_b64 s[0:1], 0
                                        ; implicit-def: $vgpr8
	s_branch .LBB46_296
.LBB46_30:
	s_mov_b64 s[24:25], -1
	s_mov_b64 s[0:1], 0
	s_mov_b64 s[6:7], 0
	s_branch .LBB46_228
.LBB46_31:
	s_mov_b64 s[6:7], -1
	s_mov_b64 s[0:1], 0
                                        ; implicit-def: $vgpr6
	s_branch .LBB46_46
.LBB46_32:
	s_mov_b64 s[6:7], -1
	s_mov_b64 s[18:19], 0
	s_mov_b64 s[0:1], 0
                                        ; implicit-def: $vgpr8
	s_branch .LBB46_277
.LBB46_33:
	s_mov_b64 s[24:25], -1
	s_mov_b64 s[0:1], 0
	s_mov_b64 s[6:7], 0
	s_branch .LBB46_186
.LBB46_34:
	s_mov_b64 s[6:7], -1
	s_branch .LBB46_38
.LBB46_35:
	s_mov_b64 s[6:7], -1
	s_mov_b64 s[18:19], 0
	s_mov_b64 s[0:1], 0
                                        ; implicit-def: $vgpr8
	s_branch .LBB46_272
.LBB46_36:
	s_mov_b64 s[24:25], -1
	s_mov_b64 s[0:1], 0
	s_mov_b64 s[6:7], 0
	s_branch .LBB46_169
.LBB46_37:
	s_mov_b64 s[20:21], -1
.LBB46_38:
	s_mov_b64 s[0:1], 0
                                        ; implicit-def: $vgpr6
.LBB46_39:
	s_and_b64 vcc, exec, s[6:7]
	s_cbranch_vccz .LBB46_45
; %bb.40:
	s_waitcnt vmcnt(0)
	v_mov_b32_e32 v6, 44
	v_cmp_eq_u16_sdwa s[6:7], v5, v6 src0_sel:BYTE_0 src1_sel:DWORD
	s_and_b64 vcc, exec, s[6:7]
	s_cbranch_vccz .LBB46_44
; %bb.41:
	global_load_ubyte v6, v[0:1], off
	s_movk_i32 s6, 0xff
	v_mov_b32_e32 v7, 0x7f800001
	v_mov_b32_e32 v8, 0x400000
	;; [unrolled: 1-line block ×3, first 2 shown]
	s_mov_b64 s[0:1], -1
	s_mov_b64 s[20:21], 0
	s_waitcnt vmcnt(0)
	v_lshlrev_b32_e32 v10, 23, v6
	v_cmp_ne_u32_e32 vcc, s6, v6
	v_cndmask_b32_e32 v7, v7, v10, vcc
	v_cmp_ne_u32_e32 vcc, 0, v6
	v_cndmask_b32_e32 v6, v8, v7, vcc
	v_add_u32_e32 v7, 0x7fff, v6
	v_lshrrev_b32_e32 v7, 16, v7
	v_cmp_o_f32_e32 vcc, v6, v6
	v_cndmask_b32_e32 v6, v9, v7, vcc
	s_branch .LBB46_45
.LBB46_42:
	s_mov_b64 s[6:7], -1
	s_mov_b64 s[18:19], 0
	s_branch .LBB46_154
.LBB46_43:
	s_mov_b64 s[24:25], -1
	s_mov_b64 s[0:1], 0
	s_mov_b64 s[6:7], 0
	s_branch .LBB46_165
.LBB46_44:
	s_mov_b64 s[20:21], -1
                                        ; implicit-def: $vgpr6
.LBB46_45:
	s_mov_b64 s[6:7], 0
.LBB46_46:
	s_and_b64 vcc, exec, s[6:7]
	s_cbranch_vccz .LBB46_50
; %bb.47:
	s_waitcnt vmcnt(0)
	v_mov_b32_e32 v6, 29
	v_cmp_eq_u16_sdwa s[6:7], v5, v6 src0_sel:BYTE_0 src1_sel:DWORD
	s_and_b64 vcc, exec, s[6:7]
	s_cbranch_vccz .LBB46_49
; %bb.48:
	global_load_dwordx2 v[6:7], v[0:1], off
	s_movk_i32 s6, 0x7fff
	s_mov_b64 s[0:1], -1
	s_mov_b64 s[20:21], 0
	s_waitcnt vmcnt(0)
	v_ffbh_u32_e32 v8, v7
	v_min_u32_e32 v8, 32, v8
	v_lshlrev_b64 v[6:7], v8, v[6:7]
	v_min_u32_e32 v6, 1, v6
	v_or_b32_e32 v6, v7, v6
	v_cvt_f32_u32_e32 v6, v6
	v_sub_u32_e32 v7, 32, v8
	v_ldexp_f32 v6, v6, v7
	v_bfe_u32 v7, v6, 16, 1
	v_add3_u32 v6, v6, v7, s6
	v_lshrrev_b32_e32 v6, 16, v6
	s_branch .LBB46_50
.LBB46_49:
	s_mov_b64 s[20:21], -1
                                        ; implicit-def: $vgpr6
.LBB46_50:
	s_mov_b64 s[6:7], 0
.LBB46_51:
	s_and_b64 vcc, exec, s[6:7]
	s_cbranch_vccz .LBB46_69
; %bb.52:
	s_waitcnt vmcnt(0)
	v_mov_b32_e32 v6, 27
	v_cmp_lt_i16_sdwa s[0:1], v5, v6 src0_sel:BYTE_0 src1_sel:DWORD
	s_and_b64 vcc, exec, s[0:1]
	s_cbranch_vccnz .LBB46_55
; %bb.53:
	v_cmp_gt_i16_sdwa s[0:1], v5, v6 src0_sel:BYTE_0 src1_sel:DWORD
	s_and_b64 vcc, exec, s[0:1]
	s_cbranch_vccz .LBB46_56
; %bb.54:
	global_load_dword v6, v[0:1], off
	s_movk_i32 s0, 0x7fff
	s_waitcnt vmcnt(0)
	v_cvt_f32_u32_e32 v6, v6
	v_bfe_u32 v7, v6, 16, 1
	v_add3_u32 v6, v6, v7, s0
	v_lshrrev_b32_e32 v6, 16, v6
	s_mov_b64 s[0:1], 0
	s_branch .LBB46_57
.LBB46_55:
	s_mov_b64 s[0:1], -1
                                        ; implicit-def: $vgpr6
	s_branch .LBB46_60
.LBB46_56:
	s_mov_b64 s[0:1], -1
                                        ; implicit-def: $vgpr6
.LBB46_57:
	s_andn2_b64 vcc, exec, s[0:1]
	s_cbranch_vccnz .LBB46_59
; %bb.58:
	global_load_ushort v6, v[0:1], off
	s_movk_i32 s0, 0x7fff
	s_waitcnt vmcnt(0)
	v_cvt_f32_u32_e32 v6, v6
	v_bfe_u32 v7, v6, 16, 1
	v_add3_u32 v6, v6, v7, s0
	v_lshrrev_b32_e32 v6, 16, v6
.LBB46_59:
	s_mov_b64 s[0:1], 0
.LBB46_60:
	s_andn2_b64 vcc, exec, s[0:1]
	s_cbranch_vccnz .LBB46_68
; %bb.61:
	global_load_ubyte v6, v[0:1], off
	s_movk_i32 s0, 0x7f
                                        ; implicit-def: $sgpr15
	s_waitcnt vmcnt(0)
	v_cmp_lt_i16_e32 vcc, s0, v6
	s_mov_b64 s[0:1], 0
	s_and_saveexec_b64 s[6:7], vcc
	s_xor_b64 s[6:7], exec, s[6:7]
	s_cbranch_execz .LBB46_81
; %bb.62:
	s_movk_i32 s0, 0x80
	v_cmp_eq_u16_e32 vcc, s0, v6
	s_mov_b64 s[0:1], -1
                                        ; implicit-def: $sgpr15
	s_and_saveexec_b64 s[18:19], vcc
; %bb.63:
	s_mov_b32 s15, 0x7f800001
	s_xor_b64 s[0:1], exec, -1
; %bb.64:
	s_or_b64 exec, exec, s[18:19]
	s_and_b64 s[0:1], s[0:1], exec
	s_or_saveexec_b64 s[6:7], s[6:7]
	v_mov_b32_e32 v7, s15
	s_xor_b64 exec, exec, s[6:7]
	s_cbranch_execnz .LBB46_82
.LBB46_65:
	s_or_b64 exec, exec, s[6:7]
	s_and_saveexec_b64 s[6:7], s[0:1]
	s_cbranch_execz .LBB46_67
.LBB46_66:
	v_lshlrev_b32_e32 v7, 24, v6
	v_and_b32_e32 v6, 0xffff, v6
	v_and_b32_e32 v8, 7, v6
	v_ffbh_u32_e32 v10, v8
	v_min_u32_e32 v10, 32, v10
	v_subrev_u32_e32 v11, 28, v10
	v_bfe_u32 v9, v6, 3, 4
	v_lshlrev_b32_e32 v6, v11, v6
	v_sub_u32_e32 v10, 29, v10
	v_and_b32_e32 v6, 7, v6
	v_cmp_eq_u32_e32 vcc, 0, v9
	v_cndmask_b32_e32 v9, v9, v10, vcc
	v_cndmask_b32_e32 v6, v8, v6, vcc
	v_mov_b32_e32 v8, 0x3b800000
	v_lshlrev_b32_e32 v6, 20, v6
	v_and_b32_e32 v7, 0x80000000, v7
	v_lshl_add_u32 v8, v9, 23, v8
	v_or3_b32 v7, v7, v8, v6
.LBB46_67:
	s_or_b64 exec, exec, s[6:7]
	v_bfe_u32 v6, v7, 16, 1
	s_movk_i32 s0, 0x7fff
	v_add3_u32 v6, v7, v6, s0
	v_lshrrev_b32_e32 v6, 16, v6
	v_mov_b32_e32 v8, 0x7fc0
	v_cmp_o_f32_e32 vcc, v7, v7
	v_cndmask_b32_e32 v6, v8, v6, vcc
.LBB46_68:
	s_mov_b64 s[0:1], -1
.LBB46_69:
	s_branch .LBB46_104
.LBB46_70:
	s_waitcnt vmcnt(0)
	v_mov_b32_e32 v6, 22
	v_cmp_gt_i16_sdwa s[6:7], v5, v6 src0_sel:BYTE_0 src1_sel:DWORD
	s_and_b64 vcc, exec, s[6:7]
	s_cbranch_vccz .LBB46_80
; %bb.71:
	v_mov_b32_e32 v6, 24
	v_cmp_lt_i16_sdwa s[0:1], v5, v6 src0_sel:BYTE_0 src1_sel:DWORD
	s_and_b64 vcc, exec, s[0:1]
	s_cbranch_vccnz .LBB46_83
; %bb.72:
	v_cmp_gt_i16_sdwa s[0:1], v5, v6 src0_sel:BYTE_0 src1_sel:DWORD
	s_and_b64 vcc, exec, s[0:1]
	s_cbranch_vccz .LBB46_84
; %bb.73:
	global_load_ubyte v6, v[0:1], off
	s_movk_i32 s0, 0x7f
                                        ; implicit-def: $sgpr15
	s_waitcnt vmcnt(0)
	v_cmp_lt_i16_e32 vcc, s0, v6
	s_mov_b64 s[0:1], 0
	s_and_saveexec_b64 s[6:7], vcc
	s_xor_b64 s[6:7], exec, s[6:7]
	s_cbranch_execz .LBB46_96
; %bb.74:
	s_movk_i32 s0, 0x80
	v_cmp_eq_u16_e32 vcc, s0, v6
	s_mov_b64 s[0:1], -1
                                        ; implicit-def: $sgpr15
	s_and_saveexec_b64 s[18:19], vcc
; %bb.75:
	s_mov_b32 s15, 0x7f800001
	s_xor_b64 s[0:1], exec, -1
; %bb.76:
	s_or_b64 exec, exec, s[18:19]
	s_and_b64 s[0:1], s[0:1], exec
	s_or_saveexec_b64 s[6:7], s[6:7]
	v_mov_b32_e32 v7, s15
	s_xor_b64 exec, exec, s[6:7]
	s_cbranch_execnz .LBB46_97
.LBB46_77:
	s_or_b64 exec, exec, s[6:7]
	s_and_saveexec_b64 s[6:7], s[0:1]
	s_cbranch_execz .LBB46_79
.LBB46_78:
	v_lshlrev_b32_e32 v7, 24, v6
	v_and_b32_e32 v6, 0xffff, v6
	v_and_b32_e32 v8, 3, v6
	v_ffbh_u32_e32 v10, v8
	v_min_u32_e32 v10, 32, v10
	v_subrev_u32_e32 v11, 29, v10
	v_bfe_u32 v9, v6, 2, 5
	v_lshlrev_b32_e32 v6, v11, v6
	v_sub_u32_e32 v10, 30, v10
	v_and_b32_e32 v6, 3, v6
	v_cmp_eq_u32_e32 vcc, 0, v9
	v_cndmask_b32_e32 v9, v9, v10, vcc
	v_cndmask_b32_e32 v6, v8, v6, vcc
	v_mov_b32_e32 v8, 0x37800000
	v_lshlrev_b32_e32 v6, 21, v6
	v_and_b32_e32 v7, 0x80000000, v7
	v_lshl_add_u32 v8, v9, 23, v8
	v_or3_b32 v7, v7, v8, v6
.LBB46_79:
	s_or_b64 exec, exec, s[6:7]
	v_bfe_u32 v6, v7, 16, 1
	s_movk_i32 s0, 0x7fff
	v_add3_u32 v6, v7, v6, s0
	v_lshrrev_b32_e32 v6, 16, v6
	v_mov_b32_e32 v8, 0x7fc0
	v_cmp_o_f32_e32 vcc, v7, v7
	v_cndmask_b32_e32 v6, v8, v6, vcc
	s_mov_b64 s[0:1], 0
	s_branch .LBB46_85
.LBB46_80:
	s_mov_b64 s[6:7], -1
                                        ; implicit-def: $vgpr6
	s_branch .LBB46_91
.LBB46_81:
	s_or_saveexec_b64 s[6:7], s[6:7]
	v_mov_b32_e32 v7, s15
	s_xor_b64 exec, exec, s[6:7]
	s_cbranch_execz .LBB46_65
.LBB46_82:
	v_cmp_ne_u16_e32 vcc, 0, v6
	s_andn2_b64 s[0:1], s[0:1], exec
	s_and_b64 s[18:19], vcc, exec
	v_mov_b32_e32 v7, 0
	s_or_b64 s[0:1], s[0:1], s[18:19]
	s_or_b64 exec, exec, s[6:7]
	s_and_saveexec_b64 s[6:7], s[0:1]
	s_cbranch_execnz .LBB46_66
	s_branch .LBB46_67
.LBB46_83:
	s_mov_b64 s[0:1], -1
                                        ; implicit-def: $vgpr6
	s_branch .LBB46_88
.LBB46_84:
	s_mov_b64 s[0:1], -1
                                        ; implicit-def: $vgpr6
.LBB46_85:
	s_and_b64 vcc, exec, s[0:1]
	s_cbranch_vccz .LBB46_87
; %bb.86:
	global_load_ubyte v6, v[0:1], off
	s_mov_b32 s0, 0x7f800000
	s_brev_b32 s1, 1
	s_movk_i32 s6, 0x7fff
	v_mov_b32_e32 v7, 0x7fc0
	s_waitcnt vmcnt(0)
	v_lshlrev_b32_e32 v6, 24, v6
	v_and_b32_e32 v8, 0x7f000000, v6
	v_ffbh_u32_e32 v9, v8
	v_min_u32_e32 v9, 32, v9
	v_sub_u32_e64 v9, v9, 4 clamp
	v_lshlrev_b32_e32 v11, v9, v8
	v_lshlrev_b32_e32 v9, 23, v9
	v_lshrrev_b32_e32 v11, 4, v11
	v_add_u32_e32 v10, 0x1000000, v8
	v_sub_u32_e32 v9, v11, v9
	v_ashrrev_i32_e32 v10, 8, v10
	v_add_u32_e32 v9, 0x3c000000, v9
	v_and_or_b32 v9, v10, s0, v9
	v_cmp_ne_u32_e32 vcc, 0, v8
	v_cndmask_b32_e32 v8, 0, v9, vcc
	v_and_or_b32 v6, v6, s1, v8
	v_bfe_u32 v8, v8, 16, 1
	v_add3_u32 v8, v6, v8, s6
	v_lshrrev_b32_e32 v8, 16, v8
	v_cmp_o_f32_e32 vcc, v6, v6
	v_cndmask_b32_e32 v6, v7, v8, vcc
.LBB46_87:
	s_mov_b64 s[0:1], 0
.LBB46_88:
	s_andn2_b64 vcc, exec, s[0:1]
	s_cbranch_vccnz .LBB46_90
; %bb.89:
	global_load_ubyte v6, v[0:1], off
	s_movk_i32 s0, 0x7f00
	s_brev_b32 s1, 16
	s_brev_b32 s6, 1
	s_movk_i32 s7, 0x7fff
	v_mov_b32_e32 v7, 0x7fc0
	s_waitcnt vmcnt(0)
	v_lshlrev_b16_e32 v8, 8, v6
	v_lshlrev_b32_e32 v6, 25, v6
	v_lshrrev_b32_e32 v9, 4, v6
	v_and_or_b32 v10, v8, s0, 0.5
	v_or_b32_e32 v9, 0x70000000, v9
	v_add_f32_e32 v10, -0.5, v10
	v_mul_f32_e32 v9, 0x7800000, v9
	v_cmp_gt_u32_e32 vcc, s1, v6
	v_bfe_i32 v8, v8, 0, 16
	v_cndmask_b32_e32 v6, v9, v10, vcc
	v_and_or_b32 v8, v8, s6, v6
	v_bfe_u32 v6, v6, 16, 1
	v_add3_u32 v6, v8, v6, s7
	v_lshrrev_b32_e32 v6, 16, v6
	v_cmp_o_f32_e32 vcc, v8, v8
	v_cndmask_b32_e32 v6, v7, v6, vcc
.LBB46_90:
	s_mov_b64 s[6:7], 0
	s_mov_b64 s[0:1], -1
.LBB46_91:
	s_andn2_b64 vcc, exec, s[6:7]
	s_cbranch_vccnz .LBB46_104
; %bb.92:
	v_mov_b32_e32 v6, 14
	v_cmp_gt_i16_sdwa s[6:7], v5, v6 src0_sel:BYTE_0 src1_sel:DWORD
	s_and_b64 vcc, exec, s[6:7]
	s_cbranch_vccz .LBB46_95
; %bb.93:
	v_mov_b32_e32 v6, 15
	v_cmp_eq_u16_sdwa s[6:7], v5, v6 src0_sel:BYTE_0 src1_sel:DWORD
	s_and_b64 vcc, exec, s[6:7]
	s_cbranch_vccz .LBB46_98
; %bb.94:
	global_load_ushort v6, v[0:1], off
	s_mov_b64 s[0:1], -1
	s_mov_b64 s[20:21], 0
	s_branch .LBB46_99
.LBB46_95:
	s_mov_b64 s[6:7], -1
                                        ; implicit-def: $vgpr6
	s_branch .LBB46_100
.LBB46_96:
	s_or_saveexec_b64 s[6:7], s[6:7]
	v_mov_b32_e32 v7, s15
	s_xor_b64 exec, exec, s[6:7]
	s_cbranch_execz .LBB46_77
.LBB46_97:
	v_cmp_ne_u16_e32 vcc, 0, v6
	s_andn2_b64 s[0:1], s[0:1], exec
	s_and_b64 s[18:19], vcc, exec
	v_mov_b32_e32 v7, 0
	s_or_b64 s[0:1], s[0:1], s[18:19]
	s_or_b64 exec, exec, s[6:7]
	s_and_saveexec_b64 s[6:7], s[0:1]
	s_cbranch_execnz .LBB46_78
	s_branch .LBB46_79
.LBB46_98:
	s_mov_b64 s[20:21], -1
                                        ; implicit-def: $vgpr6
.LBB46_99:
	s_mov_b64 s[6:7], 0
.LBB46_100:
	s_and_b64 vcc, exec, s[6:7]
	s_cbranch_vccz .LBB46_104
; %bb.101:
	s_waitcnt vmcnt(0)
	v_mov_b32_e32 v6, 11
	v_cmp_eq_u16_sdwa s[6:7], v5, v6 src0_sel:BYTE_0 src1_sel:DWORD
	s_and_b64 vcc, exec, s[6:7]
	s_cbranch_vccz .LBB46_103
; %bb.102:
	global_load_ubyte v6, v[0:1], off
	s_mov_b64 s[0:1], -1
	s_mov_b64 s[20:21], 0
	s_waitcnt vmcnt(0)
	v_cmp_ne_u16_e32 vcc, 0, v6
	v_cndmask_b32_e64 v6, 0, 1.0, vcc
	v_lshrrev_b32_e32 v6, 16, v6
	s_branch .LBB46_104
.LBB46_103:
	s_mov_b64 s[20:21], -1
                                        ; implicit-def: $vgpr6
.LBB46_104:
	s_branch .LBB46_10
.LBB46_105:
	s_waitcnt vmcnt(0)
	v_mov_b32_e32 v6, 5
	v_cmp_lt_i16_sdwa s[0:1], v5, v6 src0_sel:BYTE_0 src1_sel:DWORD
	s_and_b64 vcc, exec, s[0:1]
	s_cbranch_vccnz .LBB46_110
; %bb.106:
	v_mov_b32_e32 v6, 8
	v_cmp_lt_i16_sdwa s[0:1], v5, v6 src0_sel:BYTE_0 src1_sel:DWORD
	s_and_b64 vcc, exec, s[0:1]
	s_cbranch_vccnz .LBB46_111
; %bb.107:
	;; [unrolled: 5-line block ×3, first 2 shown]
	v_cmp_gt_i16_sdwa s[0:1], v5, v6 src0_sel:BYTE_0 src1_sel:DWORD
	s_and_b64 vcc, exec, s[0:1]
	s_cbranch_vccz .LBB46_113
; %bb.109:
	global_load_dwordx2 v[6:7], v[0:1], off
	s_movk_i32 s0, 0x7fff
	v_mov_b32_e32 v8, 0x7fc0
	s_waitcnt vmcnt(0)
	v_cvt_f32_f64_e32 v6, v[6:7]
	v_bfe_u32 v7, v6, 16, 1
	v_add3_u32 v7, v6, v7, s0
	v_lshrrev_b32_e32 v7, 16, v7
	v_cmp_o_f32_e32 vcc, v6, v6
	v_cndmask_b32_e32 v6, v8, v7, vcc
	s_mov_b64 s[0:1], 0
	s_branch .LBB46_114
.LBB46_110:
                                        ; implicit-def: $vgpr6
	s_branch .LBB46_132
.LBB46_111:
	s_mov_b64 s[0:1], -1
                                        ; implicit-def: $vgpr6
	s_branch .LBB46_120
.LBB46_112:
	s_mov_b64 s[0:1], -1
                                        ; implicit-def: $vgpr6
	s_branch .LBB46_117
.LBB46_113:
	s_mov_b64 s[0:1], -1
                                        ; implicit-def: $vgpr6
.LBB46_114:
	s_andn2_b64 vcc, exec, s[0:1]
	s_cbranch_vccnz .LBB46_116
; %bb.115:
	global_load_dword v6, v[0:1], off
	s_movk_i32 s0, 0x7fff
	v_mov_b32_e32 v7, 0x7fc0
	s_waitcnt vmcnt(0)
	v_bfe_u32 v8, v6, 16, 1
	v_add3_u32 v8, v6, v8, s0
	v_lshrrev_b32_e32 v8, 16, v8
	v_cmp_o_f32_e32 vcc, v6, v6
	v_cndmask_b32_e32 v6, v7, v8, vcc
.LBB46_116:
	s_mov_b64 s[0:1], 0
.LBB46_117:
	s_andn2_b64 vcc, exec, s[0:1]
	s_cbranch_vccnz .LBB46_119
; %bb.118:
	global_load_dword v6, v[0:1], off
	s_movk_i32 s0, 0x7fff
	v_mov_b32_e32 v8, 0x7fc0
	s_waitcnt vmcnt(0)
	v_cvt_f32_f16_e32 v7, v6
	v_cmp_o_f16_e32 vcc, v6, v6
	v_bfe_u32 v9, v7, 16, 1
	v_add3_u32 v7, v7, v9, s0
	v_lshrrev_b32_e32 v7, 16, v7
	v_cndmask_b32_e32 v6, v8, v7, vcc
.LBB46_119:
	s_mov_b64 s[0:1], 0
.LBB46_120:
	s_andn2_b64 vcc, exec, s[0:1]
	s_cbranch_vccnz .LBB46_131
; %bb.121:
	v_mov_b32_e32 v6, 6
	v_cmp_lt_i16_sdwa s[0:1], v5, v6 src0_sel:BYTE_0 src1_sel:DWORD
	s_and_b64 vcc, exec, s[0:1]
	s_cbranch_vccnz .LBB46_124
; %bb.122:
	v_cmp_gt_i16_sdwa s[0:1], v5, v6 src0_sel:BYTE_0 src1_sel:DWORD
	s_and_b64 vcc, exec, s[0:1]
	s_cbranch_vccz .LBB46_125
; %bb.123:
	global_load_dwordx2 v[6:7], v[0:1], off
	s_movk_i32 s0, 0x7fff
	v_mov_b32_e32 v8, 0x7fc0
	s_waitcnt vmcnt(0)
	v_cvt_f32_f64_e32 v6, v[6:7]
	v_bfe_u32 v7, v6, 16, 1
	v_add3_u32 v7, v6, v7, s0
	v_lshrrev_b32_e32 v7, 16, v7
	v_cmp_o_f32_e32 vcc, v6, v6
	v_cndmask_b32_e32 v6, v8, v7, vcc
	s_mov_b64 s[0:1], 0
	s_branch .LBB46_126
.LBB46_124:
	s_mov_b64 s[0:1], -1
                                        ; implicit-def: $vgpr6
	s_branch .LBB46_129
.LBB46_125:
	s_mov_b64 s[0:1], -1
                                        ; implicit-def: $vgpr6
.LBB46_126:
	s_andn2_b64 vcc, exec, s[0:1]
	s_cbranch_vccnz .LBB46_128
; %bb.127:
	global_load_dword v6, v[0:1], off
	s_movk_i32 s0, 0x7fff
	v_mov_b32_e32 v7, 0x7fc0
	s_waitcnt vmcnt(0)
	v_bfe_u32 v8, v6, 16, 1
	v_add3_u32 v8, v6, v8, s0
	v_lshrrev_b32_e32 v8, 16, v8
	v_cmp_o_f32_e32 vcc, v6, v6
	v_cndmask_b32_e32 v6, v7, v8, vcc
.LBB46_128:
	s_mov_b64 s[0:1], 0
.LBB46_129:
	s_andn2_b64 vcc, exec, s[0:1]
	s_cbranch_vccnz .LBB46_131
; %bb.130:
	global_load_ushort v6, v[0:1], off
	s_movk_i32 s0, 0x7fff
	v_mov_b32_e32 v8, 0x7fc0
	s_waitcnt vmcnt(0)
	v_cvt_f32_f16_e32 v7, v6
	v_cmp_o_f16_e32 vcc, v6, v6
	v_bfe_u32 v9, v7, 16, 1
	v_add3_u32 v7, v7, v9, s0
	v_lshrrev_b32_e32 v7, 16, v7
	v_cndmask_b32_e32 v6, v8, v7, vcc
.LBB46_131:
	s_cbranch_execnz .LBB46_151
.LBB46_132:
	v_mov_b32_e32 v6, 2
	v_cmp_lt_i16_sdwa s[0:1], v5, v6 src0_sel:BYTE_0 src1_sel:DWORD
	s_and_b64 vcc, exec, s[0:1]
	s_cbranch_vccnz .LBB46_136
; %bb.133:
	v_mov_b32_e32 v6, 3
	v_cmp_lt_i16_sdwa s[0:1], v5, v6 src0_sel:BYTE_0 src1_sel:DWORD
	s_and_b64 vcc, exec, s[0:1]
	s_cbranch_vccnz .LBB46_137
; %bb.134:
	v_cmp_gt_i16_sdwa s[0:1], v5, v6 src0_sel:BYTE_0 src1_sel:DWORD
	s_and_b64 vcc, exec, s[0:1]
	s_cbranch_vccz .LBB46_138
; %bb.135:
	global_load_dwordx2 v[6:7], v[0:1], off
	s_movk_i32 s0, 0x7fff
	s_waitcnt vmcnt(0)
	v_xor_b32_e32 v9, v6, v7
	v_ffbh_i32_e32 v8, v7
	v_ashrrev_i32_e32 v9, 31, v9
	v_add_u32_e32 v8, -1, v8
	v_add_u32_e32 v9, 32, v9
	v_min_u32_e32 v8, v8, v9
	v_lshlrev_b64 v[6:7], v8, v[6:7]
	v_min_u32_e32 v6, 1, v6
	v_or_b32_e32 v6, v7, v6
	v_cvt_f32_i32_e32 v6, v6
	v_sub_u32_e32 v7, 32, v8
	v_ldexp_f32 v6, v6, v7
	v_bfe_u32 v7, v6, 16, 1
	v_add3_u32 v6, v6, v7, s0
	v_lshrrev_b32_e32 v6, 16, v6
	s_mov_b64 s[0:1], 0
	s_branch .LBB46_139
.LBB46_136:
	s_mov_b64 s[0:1], -1
                                        ; implicit-def: $vgpr6
	s_branch .LBB46_145
.LBB46_137:
	s_mov_b64 s[0:1], -1
                                        ; implicit-def: $vgpr6
	s_branch .LBB46_142
.LBB46_138:
	s_mov_b64 s[0:1], -1
                                        ; implicit-def: $vgpr6
.LBB46_139:
	s_andn2_b64 vcc, exec, s[0:1]
	s_cbranch_vccnz .LBB46_141
; %bb.140:
	global_load_dword v6, v[0:1], off
	s_movk_i32 s0, 0x7fff
	s_waitcnt vmcnt(0)
	v_cvt_f32_i32_e32 v6, v6
	v_bfe_u32 v7, v6, 16, 1
	v_add3_u32 v6, v6, v7, s0
	v_lshrrev_b32_e32 v6, 16, v6
.LBB46_141:
	s_mov_b64 s[0:1], 0
.LBB46_142:
	s_andn2_b64 vcc, exec, s[0:1]
	s_cbranch_vccnz .LBB46_144
; %bb.143:
	global_load_sshort v6, v[0:1], off
	s_movk_i32 s0, 0x7fff
	s_waitcnt vmcnt(0)
	v_cvt_f32_i32_e32 v6, v6
	v_bfe_u32 v7, v6, 16, 1
	v_add3_u32 v6, v6, v7, s0
	v_lshrrev_b32_e32 v6, 16, v6
.LBB46_144:
	s_mov_b64 s[0:1], 0
.LBB46_145:
	s_andn2_b64 vcc, exec, s[0:1]
	s_cbranch_vccnz .LBB46_151
; %bb.146:
	v_mov_b32_e32 v6, 0
	v_cmp_gt_i16_sdwa s[0:1], v5, v6 src0_sel:BYTE_0 src1_sel:DWORD
	s_and_b64 vcc, exec, s[0:1]
	s_cbranch_vccz .LBB46_148
; %bb.147:
	global_load_sbyte v6, v[0:1], off
	s_movk_i32 s0, 0x7fff
	s_waitcnt vmcnt(0)
	v_cvt_f32_i32_e32 v6, v6
	v_bfe_u32 v7, v6, 16, 1
	v_add3_u32 v6, v6, v7, s0
	v_lshrrev_b32_e32 v6, 16, v6
	s_mov_b64 s[0:1], 0
	s_branch .LBB46_149
.LBB46_148:
	s_mov_b64 s[0:1], -1
                                        ; implicit-def: $vgpr6
.LBB46_149:
	s_andn2_b64 vcc, exec, s[0:1]
	s_cbranch_vccnz .LBB46_151
; %bb.150:
	global_load_ubyte v0, v[0:1], off
	s_movk_i32 s0, 0x7fff
	s_waitcnt vmcnt(0)
	v_cvt_f32_ubyte0_e32 v0, v0
	v_bfe_u32 v1, v0, 16, 1
	v_add3_u32 v0, v0, v1, s0
	v_lshrrev_b32_e32 v6, 16, v0
.LBB46_151:
	s_branch .LBB46_11
.LBB46_152:
	s_mov_b64 s[0:1], 0
	s_mov_b64 s[18:19], 0
	s_branch .LBB46_381
.LBB46_153:
	s_mov_b64 s[18:19], -1
.LBB46_154:
	s_mov_b64 s[0:1], 0
                                        ; implicit-def: $vgpr8
.LBB46_155:
	s_and_b64 vcc, exec, s[6:7]
	s_cbranch_vccz .LBB46_271
; %bb.156:
	v_mov_b32_e32 v7, 44
	v_cmp_eq_u16_sdwa s[6:7], v4, v7 src0_sel:BYTE_0 src1_sel:DWORD
	s_and_b64 vcc, exec, s[6:7]
	s_cbranch_vccz .LBB46_270
; %bb.157:
	global_load_ubyte v7, v[0:1], off
	s_movk_i32 s6, 0xff
	s_waitcnt vmcnt(1)
	v_mov_b32_e32 v8, 0x7f800001
	v_mov_b32_e32 v9, 0x400000
	;; [unrolled: 1-line block ×3, first 2 shown]
	s_mov_b64 s[0:1], -1
	s_mov_b64 s[18:19], 0
	s_waitcnt vmcnt(0)
	v_lshlrev_b32_e32 v11, 23, v7
	v_cmp_ne_u32_e32 vcc, s6, v7
	v_cndmask_b32_e32 v8, v8, v11, vcc
	v_cmp_ne_u32_e32 vcc, 0, v7
	v_cndmask_b32_e32 v7, v9, v8, vcc
	v_add_u32_e32 v8, 0x7fff, v7
	v_lshrrev_b32_e32 v8, 16, v8
	v_cmp_o_f32_e32 vcc, v7, v7
	v_cndmask_b32_e32 v8, v10, v8, vcc
	s_branch .LBB46_271
.LBB46_158:
	s_mov_b64 s[24:25], -1
	s_mov_b64 s[0:1], 0
	s_mov_b64 s[6:7], 0
.LBB46_159:
	s_and_b64 vcc, exec, s[24:25]
	s_cbranch_vccz .LBB46_164
; %bb.160:
	v_mov_b32_e32 v8, 44
	v_cmp_eq_u16_sdwa s[24:25], v2, v8 src0_sel:BYTE_0 src1_sel:DWORD
	s_mov_b64 s[0:1], -1
	s_and_b64 vcc, exec, s[24:25]
	s_cbranch_vccz .LBB46_164
; %bb.161:
	v_and_b32_e32 v9, 0xffff, v6
	v_bfe_u32 v8, v9, 7, 8
	s_movk_i32 s0, 0xff
	v_cmp_ne_u32_e32 vcc, s0, v8
	v_mov_b32_e32 v10, 0xff
	s_and_saveexec_b64 s[6:7], vcc
; %bb.162:
	v_lshlrev_b32_e32 v11, 16, v9
	s_mov_b32 s0, 0x3f0000
	v_lshrrev_b32_e32 v10, 7, v9
	v_and_b32_e32 v9, 64, v9
	v_and_or_b32 v8, v11, s0, v8
	v_cmp_ne_u32_e32 vcc, 0, v9
	v_cmp_ne_u32_e64 s[0:1], 0, v8
	s_and_b64 s[0:1], vcc, s[0:1]
	v_cndmask_b32_e64 v8, 0, 1, s[0:1]
	v_add_u32_e32 v10, v10, v8
; %bb.163:
	s_or_b64 exec, exec, s[6:7]
	s_mov_b64 s[6:7], -1
	s_mov_b64 s[0:1], 0
	global_store_byte v[0:1], v10, off
.LBB46_164:
	s_mov_b64 s[24:25], 0
.LBB46_165:
	s_and_b64 vcc, exec, s[24:25]
	s_cbranch_vccz .LBB46_168
; %bb.166:
	v_mov_b32_e32 v8, 29
	v_cmp_eq_u16_sdwa s[24:25], v2, v8 src0_sel:BYTE_0 src1_sel:DWORD
	s_mov_b64 s[0:1], -1
	s_and_b64 vcc, exec, s[24:25]
	s_cbranch_vccz .LBB46_168
; %bb.167:
	v_lshlrev_b32_e32 v8, 16, v6
	v_trunc_f32_e32 v8, v8
	v_mul_f32_e32 v9, 0x2f800000, v8
	v_floor_f32_e32 v10, v9
	v_fmac_f32_e32 v8, 0xcf800000, v10
	v_cvt_u32_f32_e32 v9, v10
	v_cvt_u32_f32_e32 v8, v8
	s_mov_b64 s[6:7], -1
	s_mov_b64 s[0:1], 0
	s_mov_b64 s[24:25], 0
	global_store_dwordx2 v[0:1], v[8:9], off
	s_branch .LBB46_169
.LBB46_168:
	s_mov_b64 s[24:25], 0
.LBB46_169:
	s_and_b64 vcc, exec, s[24:25]
	s_cbranch_vccz .LBB46_185
; %bb.170:
	v_mov_b32_e32 v8, 27
	v_cmp_lt_i16_sdwa s[24:25], v2, v8 src0_sel:BYTE_0 src1_sel:DWORD
	s_mov_b64 s[6:7], -1
	s_and_b64 vcc, exec, s[24:25]
	s_cbranch_vccnz .LBB46_176
; %bb.171:
	v_cmp_gt_i16_sdwa s[24:25], v2, v8 src0_sel:BYTE_0 src1_sel:DWORD
	s_and_b64 vcc, exec, s[24:25]
	s_cbranch_vccz .LBB46_173
; %bb.172:
	v_lshlrev_b32_e32 v8, 16, v6
	v_cvt_u32_f32_e32 v8, v8
	s_mov_b64 s[6:7], 0
	global_store_dword v[0:1], v8, off
.LBB46_173:
	s_andn2_b64 vcc, exec, s[6:7]
	s_cbranch_vccnz .LBB46_175
; %bb.174:
	v_lshlrev_b32_e32 v8, 16, v6
	v_cvt_u32_f32_e32 v8, v8
	global_store_short v[0:1], v8, off
.LBB46_175:
	s_mov_b64 s[6:7], 0
.LBB46_176:
	s_andn2_b64 vcc, exec, s[6:7]
	s_cbranch_vccnz .LBB46_184
; %bb.177:
	v_lshlrev_b32_e32 v10, 16, v6
	v_and_b32_e32 v9, 0x7fffffff, v10
	s_mov_b32 s6, 0x43800000
	v_cmp_gt_u32_e32 vcc, s6, v9
	v_mov_b32_e32 v11, 0x80
	s_and_saveexec_b64 s[6:7], vcc
	s_cbranch_execz .LBB46_183
; %bb.178:
	s_mov_b32 s15, 0x3bffffff
	v_and_b32_e32 v8, 0xffff, v6
	v_cmp_lt_u32_e32 vcc, s15, v9
	s_mov_b64 s[24:25], 0
                                        ; implicit-def: $vgpr9
	s_and_saveexec_b64 s[28:29], vcc
	s_xor_b64 s[28:29], exec, s[28:29]
	s_cbranch_execz .LBB46_412
; %bb.179:
	v_bfe_u32 v9, v8, 4, 1
	s_mov_b32 s15, 0x487ffff
	v_add3_u32 v9, v10, v9, s15
	s_mov_b64 s[24:25], exec
	v_lshrrev_b32_e32 v9, 20, v9
                                        ; implicit-def: $vgpr10
	s_or_saveexec_b64 s[28:29], s[28:29]
                                        ; implicit-def: $sgpr15
	s_xor_b64 exec, exec, s[28:29]
	s_cbranch_execnz .LBB46_413
.LBB46_180:
	s_or_b64 exec, exec, s[28:29]
	v_mov_b32_e32 v11, s15
	s_and_saveexec_b64 s[28:29], s[24:25]
.LBB46_181:
	v_lshrrev_b32_e32 v8, 8, v8
	s_movk_i32 s15, 0x80
	v_and_or_b32 v11, v8, s15, v9
.LBB46_182:
	s_or_b64 exec, exec, s[28:29]
.LBB46_183:
	s_or_b64 exec, exec, s[6:7]
	global_store_byte v[0:1], v11, off
.LBB46_184:
	s_mov_b64 s[6:7], -1
.LBB46_185:
	s_mov_b64 s[24:25], 0
.LBB46_186:
	s_and_b64 vcc, exec, s[24:25]
	s_cbranch_vccz .LBB46_227
; %bb.187:
	v_mov_b32_e32 v8, 22
	v_cmp_gt_i16_sdwa s[28:29], v2, v8 src0_sel:BYTE_0 src1_sel:DWORD
	s_mov_b64 s[24:25], -1
	s_and_b64 vcc, exec, s[28:29]
	s_cbranch_vccz .LBB46_219
; %bb.188:
	v_mov_b32_e32 v8, 24
	v_cmp_lt_i16_sdwa s[24:25], v2, v8 src0_sel:BYTE_0 src1_sel:DWORD
	s_mov_b64 s[6:7], -1
	s_and_b64 vcc, exec, s[24:25]
	s_cbranch_vccnz .LBB46_208
; %bb.189:
	v_cmp_gt_i16_sdwa s[24:25], v2, v8 src0_sel:BYTE_0 src1_sel:DWORD
	s_and_b64 vcc, exec, s[24:25]
	s_cbranch_vccz .LBB46_197
; %bb.190:
	v_lshlrev_b32_e32 v10, 16, v6
	v_and_b32_e32 v9, 0x7fffffff, v10
	s_mov_b32 s6, 0x47800000
	v_cmp_gt_u32_e32 vcc, s6, v9
	v_mov_b32_e32 v11, 0x80
	s_and_saveexec_b64 s[6:7], vcc
	s_cbranch_execz .LBB46_196
; %bb.191:
	s_mov_b32 s15, 0x37ffffff
	v_and_b32_e32 v8, 0xffff, v6
	v_cmp_lt_u32_e32 vcc, s15, v9
	s_mov_b64 s[24:25], 0
                                        ; implicit-def: $vgpr9
	s_and_saveexec_b64 s[28:29], vcc
	s_xor_b64 s[28:29], exec, s[28:29]
	s_cbranch_execz .LBB46_531
; %bb.192:
	v_bfe_u32 v9, v8, 5, 1
	s_mov_b32 s15, 0x88fffff
	v_add3_u32 v9, v10, v9, s15
	s_mov_b64 s[24:25], exec
	v_lshrrev_b32_e32 v9, 21, v9
                                        ; implicit-def: $vgpr10
	s_or_saveexec_b64 s[28:29], s[28:29]
                                        ; implicit-def: $sgpr15
	s_xor_b64 exec, exec, s[28:29]
	s_cbranch_execnz .LBB46_532
.LBB46_193:
	s_or_b64 exec, exec, s[28:29]
	v_mov_b32_e32 v11, s15
	s_and_saveexec_b64 s[28:29], s[24:25]
.LBB46_194:
	v_lshrrev_b32_e32 v8, 8, v8
	s_movk_i32 s15, 0x80
	v_and_or_b32 v11, v8, s15, v9
.LBB46_195:
	s_or_b64 exec, exec, s[28:29]
.LBB46_196:
	s_or_b64 exec, exec, s[6:7]
	s_mov_b64 s[6:7], 0
	global_store_byte v[0:1], v11, off
.LBB46_197:
	s_and_b64 vcc, exec, s[6:7]
	s_cbranch_vccz .LBB46_207
; %bb.198:
	v_lshlrev_b32_e32 v10, 16, v6
	v_and_b32_e32 v11, 0x7fffffff, v10
	s_mov_b32 s6, 0x43f00000
	v_and_b32_e32 v8, 0xffff, v6
	v_cmp_gt_u32_e32 vcc, s6, v11
                                        ; implicit-def: $vgpr9
	s_and_saveexec_b64 s[6:7], vcc
	s_xor_b64 s[6:7], exec, s[6:7]
	s_cbranch_execz .LBB46_204
; %bb.199:
	s_mov_b32 s15, 0x3c7fffff
	v_cmp_lt_u32_e32 vcc, s15, v11
                                        ; implicit-def: $vgpr9
	s_and_saveexec_b64 s[24:25], vcc
	s_xor_b64 s[24:25], exec, s[24:25]
; %bb.200:
	v_bfe_u32 v9, v8, 4, 1
	s_mov_b32 s15, 0x407ffff
	v_add3_u32 v9, v10, v9, s15
	v_lshrrev_b32_e32 v10, 20, v9
	v_and_b32_e32 v9, 0xff00000, v9
	s_mov_b32 s15, 0x7f00000
	v_mov_b32_e32 v11, 0x7e
	v_cmp_ne_u32_e32 vcc, s15, v9
	v_cndmask_b32_e32 v9, v11, v10, vcc
                                        ; implicit-def: $vgpr10
; %bb.201:
	s_andn2_saveexec_b64 s[24:25], s[24:25]
; %bb.202:
	s_mov_b32 s15, 0x46800000
	v_add_f32_e64 v9, |v10|, s15
; %bb.203:
	s_or_b64 exec, exec, s[24:25]
                                        ; implicit-def: $vgpr11
.LBB46_204:
	s_andn2_saveexec_b64 s[6:7], s[6:7]
; %bb.205:
	s_mov_b32 s15, 0x7f800000
	v_mov_b32_e32 v9, 0x7e
	v_mov_b32_e32 v10, 0x7f
	v_cmp_lt_u32_e32 vcc, s15, v11
	v_cndmask_b32_e32 v9, v9, v10, vcc
; %bb.206:
	s_or_b64 exec, exec, s[6:7]
	v_lshrrev_b32_e32 v8, 8, v8
	s_movk_i32 s6, 0x80
	v_and_or_b32 v8, v8, s6, v9
	global_store_byte v[0:1], v8, off
.LBB46_207:
	s_mov_b64 s[6:7], 0
.LBB46_208:
	s_andn2_b64 vcc, exec, s[6:7]
	s_cbranch_vccnz .LBB46_218
; %bb.209:
	v_lshlrev_b32_e32 v10, 16, v6
	v_and_b32_e32 v11, 0x7fffffff, v10
	s_mov_b32 s6, 0x47800000
	v_and_b32_e32 v8, 0xffff, v6
	v_cmp_gt_u32_e32 vcc, s6, v11
                                        ; implicit-def: $vgpr9
	s_and_saveexec_b64 s[6:7], vcc
	s_xor_b64 s[6:7], exec, s[6:7]
	s_cbranch_execz .LBB46_215
; %bb.210:
	s_mov_b32 s15, 0x387fffff
	v_cmp_lt_u32_e32 vcc, s15, v11
                                        ; implicit-def: $vgpr9
	s_and_saveexec_b64 s[24:25], vcc
	s_xor_b64 s[24:25], exec, s[24:25]
; %bb.211:
	v_bfe_u32 v9, v8, 5, 1
	s_mov_b32 s15, 0x80fffff
	v_add3_u32 v9, v10, v9, s15
	v_lshrrev_b32_e32 v9, 21, v9
                                        ; implicit-def: $vgpr10
; %bb.212:
	s_andn2_saveexec_b64 s[24:25], s[24:25]
; %bb.213:
	s_mov_b32 s15, 0x43000000
	v_add_f32_e64 v9, |v10|, s15
; %bb.214:
	s_or_b64 exec, exec, s[24:25]
                                        ; implicit-def: $vgpr11
.LBB46_215:
	s_andn2_saveexec_b64 s[6:7], s[6:7]
; %bb.216:
	s_mov_b32 s15, 0x7f800000
	v_mov_b32_e32 v9, 0x7c
	v_mov_b32_e32 v10, 0x7f
	v_cmp_lt_u32_e32 vcc, s15, v11
	v_cndmask_b32_e32 v9, v9, v10, vcc
; %bb.217:
	s_or_b64 exec, exec, s[6:7]
	v_lshrrev_b32_e32 v8, 8, v8
	s_movk_i32 s6, 0x80
	v_and_or_b32 v8, v8, s6, v9
	global_store_byte v[0:1], v8, off
.LBB46_218:
	s_mov_b64 s[24:25], 0
	s_mov_b64 s[6:7], -1
.LBB46_219:
	s_andn2_b64 vcc, exec, s[24:25]
	s_cbranch_vccnz .LBB46_227
; %bb.220:
	v_mov_b32_e32 v8, 14
	v_cmp_gt_i16_sdwa s[28:29], v2, v8 src0_sel:BYTE_0 src1_sel:DWORD
	s_mov_b64 s[24:25], -1
	s_and_b64 vcc, exec, s[28:29]
	s_cbranch_vccz .LBB46_224
; %bb.221:
	v_mov_b32_e32 v8, 15
	v_cmp_eq_u16_sdwa s[24:25], v2, v8 src0_sel:BYTE_0 src1_sel:DWORD
	s_mov_b64 s[0:1], -1
	s_and_b64 vcc, exec, s[24:25]
	s_cbranch_vccz .LBB46_223
; %bb.222:
	global_store_short v[0:1], v6, off
	s_mov_b64 s[6:7], -1
	s_mov_b64 s[0:1], 0
.LBB46_223:
	s_mov_b64 s[24:25], 0
.LBB46_224:
	s_and_b64 vcc, exec, s[24:25]
	s_cbranch_vccz .LBB46_227
; %bb.225:
	v_mov_b32_e32 v8, 11
	v_cmp_eq_u16_sdwa s[24:25], v2, v8 src0_sel:BYTE_0 src1_sel:DWORD
	s_mov_b64 s[0:1], -1
	s_and_b64 vcc, exec, s[24:25]
	s_cbranch_vccz .LBB46_227
; %bb.226:
	v_cmp_ne_u16_e32 vcc, 0, v7
	v_cndmask_b32_e64 v7, 0, 1, vcc
	s_mov_b64 s[6:7], -1
	s_mov_b64 s[0:1], 0
	global_store_byte v[0:1], v7, off
.LBB46_227:
	s_mov_b64 s[24:25], 0
.LBB46_228:
	s_and_b64 vcc, exec, s[24:25]
	s_cbranch_vccz .LBB46_267
; %bb.229:
	v_mov_b32_e32 v7, 5
	v_cmp_lt_i16_sdwa s[24:25], v2, v7 src0_sel:BYTE_0 src1_sel:DWORD
	s_mov_b64 s[6:7], -1
	s_and_b64 vcc, exec, s[24:25]
	s_cbranch_vccnz .LBB46_250
; %bb.230:
	v_mov_b32_e32 v7, 8
	v_cmp_lt_i16_sdwa s[24:25], v2, v7 src0_sel:BYTE_0 src1_sel:DWORD
	s_and_b64 vcc, exec, s[24:25]
	s_cbranch_vccnz .LBB46_240
; %bb.231:
	v_mov_b32_e32 v7, 9
	v_cmp_lt_i16_sdwa s[24:25], v2, v7 src0_sel:BYTE_0 src1_sel:DWORD
	s_and_b64 vcc, exec, s[24:25]
	s_cbranch_vccnz .LBB46_237
; %bb.232:
	v_cmp_gt_i16_sdwa s[24:25], v2, v7 src0_sel:BYTE_0 src1_sel:DWORD
	s_and_b64 vcc, exec, s[24:25]
	s_cbranch_vccz .LBB46_234
; %bb.233:
	v_lshlrev_b32_e32 v7, 16, v6
	v_mov_b32_e32 v10, 0
	v_cvt_f64_f32_e32 v[8:9], v7
	v_mov_b32_e32 v11, v10
	global_store_dwordx4 v[0:1], v[8:11], off
	s_mov_b64 s[6:7], 0
.LBB46_234:
	s_andn2_b64 vcc, exec, s[6:7]
	s_cbranch_vccnz .LBB46_236
; %bb.235:
	v_lshlrev_b32_e32 v8, 16, v6
	v_mov_b32_e32 v9, 0
	global_store_dwordx2 v[0:1], v[8:9], off
.LBB46_236:
	s_mov_b64 s[6:7], 0
.LBB46_237:
	s_andn2_b64 vcc, exec, s[6:7]
	s_cbranch_vccnz .LBB46_239
; %bb.238:
	v_lshlrev_b32_e32 v7, 16, v6
	v_cvt_f16_f32_e32 v7, v7
	global_store_dword v[0:1], v7, off
.LBB46_239:
	s_mov_b64 s[6:7], 0
.LBB46_240:
	s_andn2_b64 vcc, exec, s[6:7]
	s_cbranch_vccnz .LBB46_249
; %bb.241:
	v_mov_b32_e32 v7, 6
	v_cmp_lt_i16_sdwa s[24:25], v2, v7 src0_sel:BYTE_0 src1_sel:DWORD
	s_mov_b64 s[6:7], -1
	s_and_b64 vcc, exec, s[24:25]
	s_cbranch_vccnz .LBB46_247
; %bb.242:
	v_cmp_gt_i16_sdwa s[24:25], v2, v7 src0_sel:BYTE_0 src1_sel:DWORD
	s_and_b64 vcc, exec, s[24:25]
	s_cbranch_vccz .LBB46_244
; %bb.243:
	v_lshlrev_b32_e32 v7, 16, v6
	v_cvt_f64_f32_e32 v[8:9], v7
	global_store_dwordx2 v[0:1], v[8:9], off
	s_mov_b64 s[6:7], 0
.LBB46_244:
	s_andn2_b64 vcc, exec, s[6:7]
	s_cbranch_vccnz .LBB46_246
; %bb.245:
	v_lshlrev_b32_e32 v7, 16, v6
	global_store_dword v[0:1], v7, off
.LBB46_246:
	s_mov_b64 s[6:7], 0
.LBB46_247:
	s_andn2_b64 vcc, exec, s[6:7]
	s_cbranch_vccnz .LBB46_249
; %bb.248:
	v_lshlrev_b32_e32 v7, 16, v6
	v_cvt_f16_f32_e32 v7, v7
	global_store_short v[0:1], v7, off
.LBB46_249:
	s_mov_b64 s[6:7], 0
.LBB46_250:
	s_andn2_b64 vcc, exec, s[6:7]
	s_cbranch_vccnz .LBB46_266
; %bb.251:
	v_mov_b32_e32 v7, 2
	v_cmp_lt_i16_sdwa s[24:25], v2, v7 src0_sel:BYTE_0 src1_sel:DWORD
	s_mov_b64 s[6:7], -1
	s_and_b64 vcc, exec, s[24:25]
	s_cbranch_vccnz .LBB46_261
; %bb.252:
	v_mov_b32_e32 v7, 3
	v_cmp_lt_i16_sdwa s[24:25], v2, v7 src0_sel:BYTE_0 src1_sel:DWORD
	s_and_b64 vcc, exec, s[24:25]
	s_cbranch_vccnz .LBB46_258
; %bb.253:
	v_cmp_gt_i16_sdwa s[24:25], v2, v7 src0_sel:BYTE_0 src1_sel:DWORD
	s_and_b64 vcc, exec, s[24:25]
	s_cbranch_vccz .LBB46_255
; %bb.254:
	v_lshlrev_b32_e32 v7, 16, v6
	v_trunc_f32_e32 v7, v7
	s_mov_b32 s6, 0x2f800000
	v_mul_f32_e64 v8, |v7|, s6
	v_floor_f32_e32 v8, v8
	s_mov_b32 s6, 0xcf800000
	v_cvt_u32_f32_e32 v9, v8
	v_fma_f32 v8, v8, s6, |v7|
	v_cvt_u32_f32_e32 v8, v8
	v_ashrrev_i32_e32 v7, 31, v7
	v_xor_b32_e32 v9, v9, v7
	s_mov_b64 s[6:7], 0
	v_xor_b32_e32 v8, v8, v7
	v_sub_co_u32_e32 v8, vcc, v8, v7
	v_subb_co_u32_e32 v9, vcc, v9, v7, vcc
	global_store_dwordx2 v[0:1], v[8:9], off
.LBB46_255:
	s_andn2_b64 vcc, exec, s[6:7]
	s_cbranch_vccnz .LBB46_257
; %bb.256:
	v_lshlrev_b32_e32 v7, 16, v6
	v_cvt_i32_f32_e32 v7, v7
	global_store_dword v[0:1], v7, off
.LBB46_257:
	s_mov_b64 s[6:7], 0
.LBB46_258:
	s_andn2_b64 vcc, exec, s[6:7]
	s_cbranch_vccnz .LBB46_260
; %bb.259:
	v_lshlrev_b32_e32 v7, 16, v6
	v_cvt_i32_f32_e32 v7, v7
	global_store_short v[0:1], v7, off
.LBB46_260:
	s_mov_b64 s[6:7], 0
.LBB46_261:
	s_andn2_b64 vcc, exec, s[6:7]
	s_cbranch_vccnz .LBB46_266
; %bb.262:
	v_mov_b32_e32 v7, 0
	v_cmp_gt_i16_sdwa s[24:25], v2, v7 src0_sel:BYTE_0 src1_sel:DWORD
	s_mov_b64 s[6:7], -1
	s_and_b64 vcc, exec, s[24:25]
	v_lshlrev_b32_e32 v6, 16, v6
	s_cbranch_vccz .LBB46_264
; %bb.263:
	v_cvt_i32_f32_e32 v7, v6
	s_mov_b64 s[6:7], 0
	global_store_byte v[0:1], v7, off
.LBB46_264:
	s_andn2_b64 vcc, exec, s[6:7]
	s_cbranch_vccnz .LBB46_266
; %bb.265:
	v_trunc_f32_e32 v6, v6
	s_mov_b32 s6, 0x2f800000
	v_mul_f32_e64 v7, |v6|, s6
	v_floor_f32_e32 v7, v7
	s_mov_b32 s6, 0xcf800000
	v_fma_f32 v7, v7, s6, |v6|
	v_cvt_u32_f32_e32 v7, v7
	v_ashrrev_i32_e32 v6, 31, v6
	v_xor_b32_e32 v7, v7, v6
	v_sub_u32_e32 v6, v7, v6
	global_store_byte v[0:1], v6, off
.LBB46_266:
	s_mov_b64 s[6:7], -1
.LBB46_267:
	s_andn2_b64 vcc, exec, s[6:7]
	s_cbranch_vccnz .LBB46_269
; %bb.268:
	v_add_u32_e32 v3, 0x80, v3
	s_mov_b64 s[24:25], -1
	s_branch .LBB46_382
.LBB46_269:
	s_mov_b64 s[24:25], 0
                                        ; implicit-def: $vgpr3
	s_branch .LBB46_382
.LBB46_270:
	s_mov_b64 s[18:19], -1
                                        ; implicit-def: $vgpr8
.LBB46_271:
	s_mov_b64 s[6:7], 0
.LBB46_272:
	s_and_b64 vcc, exec, s[6:7]
	s_cbranch_vccz .LBB46_276
; %bb.273:
	v_mov_b32_e32 v7, 29
	v_cmp_eq_u16_sdwa s[6:7], v4, v7 src0_sel:BYTE_0 src1_sel:DWORD
	s_and_b64 vcc, exec, s[6:7]
	s_cbranch_vccz .LBB46_275
; %bb.274:
	global_load_dwordx2 v[8:9], v[0:1], off
	s_movk_i32 s6, 0x7fff
	s_mov_b64 s[0:1], -1
	s_mov_b64 s[18:19], 0
	s_waitcnt vmcnt(0)
	v_ffbh_u32_e32 v7, v9
	v_min_u32_e32 v7, 32, v7
	v_lshlrev_b64 v[8:9], v7, v[8:9]
	v_min_u32_e32 v8, 1, v8
	v_or_b32_e32 v8, v9, v8
	v_cvt_f32_u32_e32 v8, v8
	v_sub_u32_e32 v7, 32, v7
	v_ldexp_f32 v7, v8, v7
	v_bfe_u32 v8, v7, 16, 1
	v_add3_u32 v7, v7, v8, s6
	v_lshrrev_b32_e32 v8, 16, v7
	s_branch .LBB46_276
.LBB46_275:
	s_mov_b64 s[18:19], -1
                                        ; implicit-def: $vgpr8
.LBB46_276:
	s_mov_b64 s[6:7], 0
.LBB46_277:
	s_and_b64 vcc, exec, s[6:7]
	s_cbranch_vccz .LBB46_295
; %bb.278:
	v_mov_b32_e32 v7, 27
	v_cmp_lt_i16_sdwa s[0:1], v4, v7 src0_sel:BYTE_0 src1_sel:DWORD
	s_and_b64 vcc, exec, s[0:1]
	s_cbranch_vccnz .LBB46_281
; %bb.279:
	v_cmp_gt_i16_sdwa s[0:1], v4, v7 src0_sel:BYTE_0 src1_sel:DWORD
	s_and_b64 vcc, exec, s[0:1]
	s_cbranch_vccz .LBB46_282
; %bb.280:
	global_load_dword v7, v[0:1], off
	s_movk_i32 s0, 0x7fff
	s_waitcnt vmcnt(0)
	v_cvt_f32_u32_e32 v7, v7
	v_bfe_u32 v8, v7, 16, 1
	v_add3_u32 v7, v7, v8, s0
	v_lshrrev_b32_e32 v8, 16, v7
	s_mov_b64 s[0:1], 0
	s_branch .LBB46_283
.LBB46_281:
	s_mov_b64 s[0:1], -1
                                        ; implicit-def: $vgpr8
	s_branch .LBB46_286
.LBB46_282:
	s_mov_b64 s[0:1], -1
                                        ; implicit-def: $vgpr8
.LBB46_283:
	s_andn2_b64 vcc, exec, s[0:1]
	s_cbranch_vccnz .LBB46_285
; %bb.284:
	global_load_ushort v7, v[0:1], off
	s_movk_i32 s0, 0x7fff
	s_waitcnt vmcnt(0)
	v_cvt_f32_u32_e32 v7, v7
	v_bfe_u32 v8, v7, 16, 1
	v_add3_u32 v7, v7, v8, s0
	v_lshrrev_b32_e32 v8, 16, v7
.LBB46_285:
	s_mov_b64 s[0:1], 0
.LBB46_286:
	s_andn2_b64 vcc, exec, s[0:1]
	s_cbranch_vccnz .LBB46_294
; %bb.287:
	global_load_ubyte v7, v[0:1], off
	s_movk_i32 s0, 0x7f
                                        ; implicit-def: $sgpr15
	s_waitcnt vmcnt(0)
	v_cmp_lt_i16_e32 vcc, s0, v7
	s_mov_b64 s[0:1], 0
	s_and_saveexec_b64 s[6:7], vcc
	s_xor_b64 s[6:7], exec, s[6:7]
	s_cbranch_execz .LBB46_308
; %bb.288:
	s_movk_i32 s0, 0x80
	v_cmp_eq_u16_e32 vcc, s0, v7
	s_mov_b64 s[0:1], -1
                                        ; implicit-def: $sgpr15
	s_and_saveexec_b64 s[24:25], vcc
; %bb.289:
	s_mov_b32 s15, 0x7f800001
	s_xor_b64 s[0:1], exec, -1
; %bb.290:
	s_or_b64 exec, exec, s[24:25]
	s_and_b64 s[0:1], s[0:1], exec
	s_or_saveexec_b64 s[6:7], s[6:7]
	v_mov_b32_e32 v8, s15
	s_xor_b64 exec, exec, s[6:7]
	s_cbranch_execnz .LBB46_309
.LBB46_291:
	s_or_b64 exec, exec, s[6:7]
	s_and_saveexec_b64 s[6:7], s[0:1]
	s_cbranch_execz .LBB46_293
.LBB46_292:
	v_lshlrev_b32_e32 v8, 24, v7
	v_and_b32_e32 v7, 0xffff, v7
	v_and_b32_e32 v9, 7, v7
	v_ffbh_u32_e32 v11, v9
	v_min_u32_e32 v11, 32, v11
	v_subrev_u32_e32 v12, 28, v11
	v_bfe_u32 v10, v7, 3, 4
	v_lshlrev_b32_e32 v7, v12, v7
	v_sub_u32_e32 v11, 29, v11
	v_and_b32_e32 v7, 7, v7
	v_cmp_eq_u32_e32 vcc, 0, v10
	v_cndmask_b32_e32 v10, v10, v11, vcc
	v_cndmask_b32_e32 v7, v9, v7, vcc
	v_mov_b32_e32 v9, 0x3b800000
	v_lshlrev_b32_e32 v7, 20, v7
	v_and_b32_e32 v8, 0x80000000, v8
	v_lshl_add_u32 v9, v10, 23, v9
	v_or3_b32 v8, v8, v9, v7
.LBB46_293:
	s_or_b64 exec, exec, s[6:7]
	v_bfe_u32 v7, v8, 16, 1
	s_movk_i32 s0, 0x7fff
	v_add3_u32 v7, v8, v7, s0
	v_lshrrev_b32_e32 v7, 16, v7
	v_mov_b32_e32 v9, 0x7fc0
	v_cmp_o_f32_e32 vcc, v8, v8
	v_cndmask_b32_e32 v8, v9, v7, vcc
.LBB46_294:
	s_mov_b64 s[0:1], -1
.LBB46_295:
	s_mov_b64 s[6:7], 0
.LBB46_296:
	s_and_b64 vcc, exec, s[6:7]
	s_cbranch_vccz .LBB46_331
; %bb.297:
	v_mov_b32_e32 v7, 22
	v_cmp_gt_i16_sdwa s[6:7], v4, v7 src0_sel:BYTE_0 src1_sel:DWORD
	s_and_b64 vcc, exec, s[6:7]
	s_cbranch_vccz .LBB46_307
; %bb.298:
	v_mov_b32_e32 v7, 24
	v_cmp_lt_i16_sdwa s[0:1], v4, v7 src0_sel:BYTE_0 src1_sel:DWORD
	s_and_b64 vcc, exec, s[0:1]
	s_cbranch_vccnz .LBB46_310
; %bb.299:
	v_cmp_gt_i16_sdwa s[0:1], v4, v7 src0_sel:BYTE_0 src1_sel:DWORD
	s_and_b64 vcc, exec, s[0:1]
	s_cbranch_vccz .LBB46_311
; %bb.300:
	global_load_ubyte v7, v[0:1], off
	s_movk_i32 s0, 0x7f
                                        ; implicit-def: $sgpr15
	s_waitcnt vmcnt(0)
	v_cmp_lt_i16_e32 vcc, s0, v7
	s_mov_b64 s[0:1], 0
	s_and_saveexec_b64 s[6:7], vcc
	s_xor_b64 s[6:7], exec, s[6:7]
	s_cbranch_execz .LBB46_323
; %bb.301:
	s_movk_i32 s0, 0x80
	v_cmp_eq_u16_e32 vcc, s0, v7
	s_mov_b64 s[0:1], -1
                                        ; implicit-def: $sgpr15
	s_and_saveexec_b64 s[24:25], vcc
; %bb.302:
	s_mov_b32 s15, 0x7f800001
	s_xor_b64 s[0:1], exec, -1
; %bb.303:
	s_or_b64 exec, exec, s[24:25]
	s_and_b64 s[0:1], s[0:1], exec
	s_or_saveexec_b64 s[6:7], s[6:7]
	v_mov_b32_e32 v8, s15
	s_xor_b64 exec, exec, s[6:7]
	s_cbranch_execnz .LBB46_324
.LBB46_304:
	s_or_b64 exec, exec, s[6:7]
	s_and_saveexec_b64 s[6:7], s[0:1]
	s_cbranch_execz .LBB46_306
.LBB46_305:
	v_lshlrev_b32_e32 v8, 24, v7
	v_and_b32_e32 v7, 0xffff, v7
	v_and_b32_e32 v9, 3, v7
	v_ffbh_u32_e32 v11, v9
	v_min_u32_e32 v11, 32, v11
	v_subrev_u32_e32 v12, 29, v11
	v_bfe_u32 v10, v7, 2, 5
	v_lshlrev_b32_e32 v7, v12, v7
	v_sub_u32_e32 v11, 30, v11
	v_and_b32_e32 v7, 3, v7
	v_cmp_eq_u32_e32 vcc, 0, v10
	v_cndmask_b32_e32 v10, v10, v11, vcc
	v_cndmask_b32_e32 v7, v9, v7, vcc
	v_mov_b32_e32 v9, 0x37800000
	v_lshlrev_b32_e32 v7, 21, v7
	v_and_b32_e32 v8, 0x80000000, v8
	v_lshl_add_u32 v9, v10, 23, v9
	v_or3_b32 v8, v8, v9, v7
.LBB46_306:
	s_or_b64 exec, exec, s[6:7]
	v_bfe_u32 v7, v8, 16, 1
	s_movk_i32 s0, 0x7fff
	v_add3_u32 v7, v8, v7, s0
	v_lshrrev_b32_e32 v7, 16, v7
	v_mov_b32_e32 v9, 0x7fc0
	v_cmp_o_f32_e32 vcc, v8, v8
	v_cndmask_b32_e32 v8, v9, v7, vcc
	s_mov_b64 s[0:1], 0
	s_branch .LBB46_312
.LBB46_307:
	s_mov_b64 s[6:7], -1
                                        ; implicit-def: $vgpr8
	s_branch .LBB46_318
.LBB46_308:
	s_or_saveexec_b64 s[6:7], s[6:7]
	v_mov_b32_e32 v8, s15
	s_xor_b64 exec, exec, s[6:7]
	s_cbranch_execz .LBB46_291
.LBB46_309:
	v_cmp_ne_u16_e32 vcc, 0, v7
	s_andn2_b64 s[0:1], s[0:1], exec
	s_and_b64 s[24:25], vcc, exec
	v_mov_b32_e32 v8, 0
	s_or_b64 s[0:1], s[0:1], s[24:25]
	s_or_b64 exec, exec, s[6:7]
	s_and_saveexec_b64 s[6:7], s[0:1]
	s_cbranch_execnz .LBB46_292
	s_branch .LBB46_293
.LBB46_310:
	s_mov_b64 s[0:1], -1
                                        ; implicit-def: $vgpr8
	s_branch .LBB46_315
.LBB46_311:
	s_mov_b64 s[0:1], -1
                                        ; implicit-def: $vgpr8
.LBB46_312:
	s_and_b64 vcc, exec, s[0:1]
	s_cbranch_vccz .LBB46_314
; %bb.313:
	global_load_ubyte v7, v[0:1], off
	s_mov_b32 s0, 0x7f800000
	s_brev_b32 s1, 1
	s_movk_i32 s6, 0x7fff
	s_waitcnt vmcnt(1)
	v_mov_b32_e32 v8, 0x7fc0
	s_waitcnt vmcnt(0)
	v_lshlrev_b32_e32 v7, 24, v7
	v_and_b32_e32 v9, 0x7f000000, v7
	v_ffbh_u32_e32 v10, v9
	v_min_u32_e32 v10, 32, v10
	v_sub_u32_e64 v10, v10, 4 clamp
	v_lshlrev_b32_e32 v12, v10, v9
	v_lshlrev_b32_e32 v10, 23, v10
	v_lshrrev_b32_e32 v12, 4, v12
	v_add_u32_e32 v11, 0x1000000, v9
	v_sub_u32_e32 v10, v12, v10
	v_ashrrev_i32_e32 v11, 8, v11
	v_add_u32_e32 v10, 0x3c000000, v10
	v_and_or_b32 v10, v11, s0, v10
	v_cmp_ne_u32_e32 vcc, 0, v9
	v_cndmask_b32_e32 v9, 0, v10, vcc
	v_and_or_b32 v7, v7, s1, v9
	v_bfe_u32 v9, v9, 16, 1
	v_add3_u32 v9, v7, v9, s6
	v_lshrrev_b32_e32 v9, 16, v9
	v_cmp_o_f32_e32 vcc, v7, v7
	v_cndmask_b32_e32 v8, v8, v9, vcc
.LBB46_314:
	s_mov_b64 s[0:1], 0
.LBB46_315:
	s_andn2_b64 vcc, exec, s[0:1]
	s_cbranch_vccnz .LBB46_317
; %bb.316:
	global_load_ubyte v7, v[0:1], off
	s_movk_i32 s0, 0x7f00
	s_brev_b32 s1, 16
	s_brev_b32 s6, 1
	s_movk_i32 s7, 0x7fff
	s_waitcnt vmcnt(1)
	v_mov_b32_e32 v8, 0x7fc0
	s_waitcnt vmcnt(0)
	v_lshlrev_b16_e32 v9, 8, v7
	v_lshlrev_b32_e32 v7, 25, v7
	v_lshrrev_b32_e32 v10, 4, v7
	v_and_or_b32 v11, v9, s0, 0.5
	v_or_b32_e32 v10, 0x70000000, v10
	v_add_f32_e32 v11, -0.5, v11
	v_mul_f32_e32 v10, 0x7800000, v10
	v_cmp_gt_u32_e32 vcc, s1, v7
	v_bfe_i32 v9, v9, 0, 16
	v_cndmask_b32_e32 v7, v10, v11, vcc
	v_and_or_b32 v9, v9, s6, v7
	v_bfe_u32 v7, v7, 16, 1
	v_add3_u32 v7, v9, v7, s7
	v_lshrrev_b32_e32 v7, 16, v7
	v_cmp_o_f32_e32 vcc, v9, v9
	v_cndmask_b32_e32 v8, v8, v7, vcc
.LBB46_317:
	s_mov_b64 s[6:7], 0
	s_mov_b64 s[0:1], -1
.LBB46_318:
	s_andn2_b64 vcc, exec, s[6:7]
	s_cbranch_vccnz .LBB46_331
; %bb.319:
	v_mov_b32_e32 v7, 14
	v_cmp_gt_i16_sdwa s[6:7], v4, v7 src0_sel:BYTE_0 src1_sel:DWORD
	s_and_b64 vcc, exec, s[6:7]
	s_cbranch_vccz .LBB46_322
; %bb.320:
	v_mov_b32_e32 v7, 15
	v_cmp_eq_u16_sdwa s[6:7], v4, v7 src0_sel:BYTE_0 src1_sel:DWORD
	s_and_b64 vcc, exec, s[6:7]
	s_cbranch_vccz .LBB46_325
; %bb.321:
	global_load_ushort v8, v[0:1], off
	s_mov_b64 s[0:1], -1
	s_mov_b64 s[18:19], 0
	s_branch .LBB46_326
.LBB46_322:
	s_mov_b64 s[6:7], -1
                                        ; implicit-def: $vgpr8
	s_branch .LBB46_327
.LBB46_323:
	s_or_saveexec_b64 s[6:7], s[6:7]
	v_mov_b32_e32 v8, s15
	s_xor_b64 exec, exec, s[6:7]
	s_cbranch_execz .LBB46_304
.LBB46_324:
	v_cmp_ne_u16_e32 vcc, 0, v7
	s_andn2_b64 s[0:1], s[0:1], exec
	s_and_b64 s[24:25], vcc, exec
	v_mov_b32_e32 v8, 0
	s_or_b64 s[0:1], s[0:1], s[24:25]
	s_or_b64 exec, exec, s[6:7]
	s_and_saveexec_b64 s[6:7], s[0:1]
	s_cbranch_execnz .LBB46_305
	s_branch .LBB46_306
.LBB46_325:
	s_mov_b64 s[18:19], -1
                                        ; implicit-def: $vgpr8
.LBB46_326:
	s_mov_b64 s[6:7], 0
.LBB46_327:
	s_and_b64 vcc, exec, s[6:7]
	s_cbranch_vccz .LBB46_331
; %bb.328:
	v_mov_b32_e32 v7, 11
	v_cmp_eq_u16_sdwa s[6:7], v4, v7 src0_sel:BYTE_0 src1_sel:DWORD
	s_and_b64 vcc, exec, s[6:7]
	s_cbranch_vccz .LBB46_330
; %bb.329:
	global_load_ubyte v7, v[0:1], off
	s_mov_b64 s[0:1], -1
	s_mov_b64 s[18:19], 0
	s_waitcnt vmcnt(0)
	v_cmp_ne_u16_e32 vcc, 0, v7
	v_cndmask_b32_e64 v7, 0, 1.0, vcc
	v_lshrrev_b32_e32 v8, 16, v7
	s_branch .LBB46_331
.LBB46_330:
	s_mov_b64 s[18:19], -1
                                        ; implicit-def: $vgpr8
.LBB46_331:
	s_branch .LBB46_20
.LBB46_332:
	v_mov_b32_e32 v7, 5
	v_cmp_lt_i16_sdwa s[0:1], v4, v7 src0_sel:BYTE_0 src1_sel:DWORD
	s_and_b64 vcc, exec, s[0:1]
	s_cbranch_vccnz .LBB46_337
; %bb.333:
	v_mov_b32_e32 v7, 8
	v_cmp_lt_i16_sdwa s[0:1], v4, v7 src0_sel:BYTE_0 src1_sel:DWORD
	s_and_b64 vcc, exec, s[0:1]
	s_cbranch_vccnz .LBB46_338
; %bb.334:
	;; [unrolled: 5-line block ×3, first 2 shown]
	v_cmp_gt_i16_sdwa s[0:1], v4, v7 src0_sel:BYTE_0 src1_sel:DWORD
	s_and_b64 vcc, exec, s[0:1]
	s_cbranch_vccz .LBB46_340
; %bb.336:
	global_load_dwordx2 v[8:9], v[0:1], off
	s_movk_i32 s0, 0x7fff
	v_mov_b32_e32 v7, 0x7fc0
	s_waitcnt vmcnt(0)
	v_cvt_f32_f64_e32 v8, v[8:9]
	v_bfe_u32 v9, v8, 16, 1
	v_add3_u32 v9, v8, v9, s0
	v_lshrrev_b32_e32 v9, 16, v9
	v_cmp_o_f32_e32 vcc, v8, v8
	v_cndmask_b32_e32 v8, v7, v9, vcc
	s_mov_b64 s[0:1], 0
	s_branch .LBB46_341
.LBB46_337:
	s_mov_b64 s[0:1], -1
                                        ; implicit-def: $vgpr8
	s_branch .LBB46_359
.LBB46_338:
	s_mov_b64 s[0:1], -1
                                        ; implicit-def: $vgpr8
	s_branch .LBB46_347
.LBB46_339:
	s_mov_b64 s[0:1], -1
                                        ; implicit-def: $vgpr8
	s_branch .LBB46_344
.LBB46_340:
	s_mov_b64 s[0:1], -1
                                        ; implicit-def: $vgpr8
.LBB46_341:
	s_andn2_b64 vcc, exec, s[0:1]
	s_cbranch_vccnz .LBB46_343
; %bb.342:
	global_load_dword v7, v[0:1], off
	s_movk_i32 s0, 0x7fff
	s_waitcnt vmcnt(1)
	v_mov_b32_e32 v8, 0x7fc0
	s_waitcnt vmcnt(0)
	v_bfe_u32 v9, v7, 16, 1
	v_add3_u32 v9, v7, v9, s0
	v_lshrrev_b32_e32 v9, 16, v9
	v_cmp_o_f32_e32 vcc, v7, v7
	v_cndmask_b32_e32 v8, v8, v9, vcc
.LBB46_343:
	s_mov_b64 s[0:1], 0
.LBB46_344:
	s_andn2_b64 vcc, exec, s[0:1]
	s_cbranch_vccnz .LBB46_346
; %bb.345:
	global_load_dword v7, v[0:1], off
	s_movk_i32 s0, 0x7fff
	v_mov_b32_e32 v9, 0x7fc0
	s_waitcnt vmcnt(0)
	v_cvt_f32_f16_e32 v8, v7
	v_cmp_o_f16_e32 vcc, v7, v7
	v_bfe_u32 v10, v8, 16, 1
	v_add3_u32 v8, v8, v10, s0
	v_lshrrev_b32_e32 v8, 16, v8
	v_cndmask_b32_e32 v8, v9, v8, vcc
.LBB46_346:
	s_mov_b64 s[0:1], 0
.LBB46_347:
	s_andn2_b64 vcc, exec, s[0:1]
	s_cbranch_vccnz .LBB46_358
; %bb.348:
	v_mov_b32_e32 v7, 6
	v_cmp_lt_i16_sdwa s[0:1], v4, v7 src0_sel:BYTE_0 src1_sel:DWORD
	s_and_b64 vcc, exec, s[0:1]
	s_cbranch_vccnz .LBB46_351
; %bb.349:
	v_cmp_gt_i16_sdwa s[0:1], v4, v7 src0_sel:BYTE_0 src1_sel:DWORD
	s_and_b64 vcc, exec, s[0:1]
	s_cbranch_vccz .LBB46_352
; %bb.350:
	global_load_dwordx2 v[8:9], v[0:1], off
	s_movk_i32 s0, 0x7fff
	v_mov_b32_e32 v7, 0x7fc0
	s_waitcnt vmcnt(0)
	v_cvt_f32_f64_e32 v8, v[8:9]
	v_bfe_u32 v9, v8, 16, 1
	v_add3_u32 v9, v8, v9, s0
	v_lshrrev_b32_e32 v9, 16, v9
	v_cmp_o_f32_e32 vcc, v8, v8
	v_cndmask_b32_e32 v8, v7, v9, vcc
	s_mov_b64 s[0:1], 0
	s_branch .LBB46_353
.LBB46_351:
	s_mov_b64 s[0:1], -1
                                        ; implicit-def: $vgpr8
	s_branch .LBB46_356
.LBB46_352:
	s_mov_b64 s[0:1], -1
                                        ; implicit-def: $vgpr8
.LBB46_353:
	s_andn2_b64 vcc, exec, s[0:1]
	s_cbranch_vccnz .LBB46_355
; %bb.354:
	global_load_dword v7, v[0:1], off
	s_movk_i32 s0, 0x7fff
	s_waitcnt vmcnt(1)
	v_mov_b32_e32 v8, 0x7fc0
	s_waitcnt vmcnt(0)
	v_bfe_u32 v9, v7, 16, 1
	v_add3_u32 v9, v7, v9, s0
	v_lshrrev_b32_e32 v9, 16, v9
	v_cmp_o_f32_e32 vcc, v7, v7
	v_cndmask_b32_e32 v8, v8, v9, vcc
.LBB46_355:
	s_mov_b64 s[0:1], 0
.LBB46_356:
	s_andn2_b64 vcc, exec, s[0:1]
	s_cbranch_vccnz .LBB46_358
; %bb.357:
	global_load_ushort v7, v[0:1], off
	s_movk_i32 s0, 0x7fff
	v_mov_b32_e32 v9, 0x7fc0
	s_waitcnt vmcnt(0)
	v_cvt_f32_f16_e32 v8, v7
	v_cmp_o_f16_e32 vcc, v7, v7
	v_bfe_u32 v10, v8, 16, 1
	v_add3_u32 v8, v8, v10, s0
	v_lshrrev_b32_e32 v8, 16, v8
	v_cndmask_b32_e32 v8, v9, v8, vcc
.LBB46_358:
	s_mov_b64 s[0:1], 0
.LBB46_359:
	s_andn2_b64 vcc, exec, s[0:1]
	s_cbranch_vccnz .LBB46_379
; %bb.360:
	v_mov_b32_e32 v7, 2
	v_cmp_lt_i16_sdwa s[0:1], v4, v7 src0_sel:BYTE_0 src1_sel:DWORD
	s_and_b64 vcc, exec, s[0:1]
	s_cbranch_vccnz .LBB46_364
; %bb.361:
	v_mov_b32_e32 v7, 3
	v_cmp_lt_i16_sdwa s[0:1], v4, v7 src0_sel:BYTE_0 src1_sel:DWORD
	s_and_b64 vcc, exec, s[0:1]
	s_cbranch_vccnz .LBB46_365
; %bb.362:
	v_cmp_gt_i16_sdwa s[0:1], v4, v7 src0_sel:BYTE_0 src1_sel:DWORD
	s_and_b64 vcc, exec, s[0:1]
	s_cbranch_vccz .LBB46_366
; %bb.363:
	global_load_dwordx2 v[8:9], v[0:1], off
	s_movk_i32 s0, 0x7fff
	s_waitcnt vmcnt(0)
	v_xor_b32_e32 v10, v8, v9
	v_ffbh_i32_e32 v7, v9
	v_ashrrev_i32_e32 v10, 31, v10
	v_add_u32_e32 v7, -1, v7
	v_add_u32_e32 v10, 32, v10
	v_min_u32_e32 v7, v7, v10
	v_lshlrev_b64 v[8:9], v7, v[8:9]
	v_min_u32_e32 v8, 1, v8
	v_or_b32_e32 v8, v9, v8
	v_cvt_f32_i32_e32 v8, v8
	v_sub_u32_e32 v7, 32, v7
	v_ldexp_f32 v7, v8, v7
	v_bfe_u32 v8, v7, 16, 1
	v_add3_u32 v7, v7, v8, s0
	v_lshrrev_b32_e32 v8, 16, v7
	s_mov_b64 s[0:1], 0
	s_branch .LBB46_367
.LBB46_364:
	s_mov_b64 s[0:1], -1
                                        ; implicit-def: $vgpr8
	s_branch .LBB46_373
.LBB46_365:
	s_mov_b64 s[0:1], -1
                                        ; implicit-def: $vgpr8
	s_branch .LBB46_370
.LBB46_366:
	s_mov_b64 s[0:1], -1
                                        ; implicit-def: $vgpr8
.LBB46_367:
	s_andn2_b64 vcc, exec, s[0:1]
	s_cbranch_vccnz .LBB46_369
; %bb.368:
	global_load_dword v7, v[0:1], off
	s_movk_i32 s0, 0x7fff
	s_waitcnt vmcnt(0)
	v_cvt_f32_i32_e32 v7, v7
	v_bfe_u32 v8, v7, 16, 1
	v_add3_u32 v7, v7, v8, s0
	v_lshrrev_b32_e32 v8, 16, v7
.LBB46_369:
	s_mov_b64 s[0:1], 0
.LBB46_370:
	s_andn2_b64 vcc, exec, s[0:1]
	s_cbranch_vccnz .LBB46_372
; %bb.371:
	global_load_sshort v7, v[0:1], off
	s_movk_i32 s0, 0x7fff
	s_waitcnt vmcnt(0)
	v_cvt_f32_i32_e32 v7, v7
	v_bfe_u32 v8, v7, 16, 1
	v_add3_u32 v7, v7, v8, s0
	v_lshrrev_b32_e32 v8, 16, v7
.LBB46_372:
	s_mov_b64 s[0:1], 0
.LBB46_373:
	s_andn2_b64 vcc, exec, s[0:1]
	s_cbranch_vccnz .LBB46_379
; %bb.374:
	v_mov_b32_e32 v7, 0
	v_cmp_gt_i16_sdwa s[0:1], v4, v7 src0_sel:BYTE_0 src1_sel:DWORD
	s_and_b64 vcc, exec, s[0:1]
	s_cbranch_vccz .LBB46_376
; %bb.375:
	global_load_sbyte v7, v[0:1], off
	s_movk_i32 s0, 0x7fff
	s_waitcnt vmcnt(0)
	v_cvt_f32_i32_e32 v7, v7
	v_bfe_u32 v8, v7, 16, 1
	v_add3_u32 v7, v7, v8, s0
	v_lshrrev_b32_e32 v8, 16, v7
	s_mov_b64 s[0:1], 0
	s_branch .LBB46_377
.LBB46_376:
	s_mov_b64 s[0:1], -1
                                        ; implicit-def: $vgpr8
.LBB46_377:
	s_andn2_b64 vcc, exec, s[0:1]
	s_cbranch_vccnz .LBB46_379
; %bb.378:
	global_load_ubyte v0, v[0:1], off
	s_movk_i32 s0, 0x7fff
	s_waitcnt vmcnt(0)
	v_cvt_f32_ubyte0_e32 v0, v0
	v_bfe_u32 v1, v0, 16, 1
	v_add3_u32 v0, v0, v1, s0
	v_lshrrev_b32_e32 v8, 16, v0
.LBB46_379:
	s_branch .LBB46_21
.LBB46_380:
	s_mov_b64 s[0:1], 0
.LBB46_381:
                                        ; implicit-def: $vgpr3
	s_mov_b64 s[24:25], 0
.LBB46_382:
	s_and_b64 s[6:7], s[0:1], exec
	s_and_b64 s[18:19], s[18:19], exec
	;; [unrolled: 1-line block ×3, first 2 shown]
	s_orn2_b64 s[0:1], s[24:25], exec
.LBB46_383:
	s_or_b64 exec, exec, s[22:23]
	s_mov_b64 s[30:31], 0
	s_mov_b64 s[28:29], 0
                                        ; implicit-def: $vgpr7
                                        ; implicit-def: $vgpr0_vgpr1
                                        ; implicit-def: $vgpr6
	s_and_saveexec_b64 s[22:23], s[0:1]
	s_cbranch_execz .LBB46_392
; %bb.384:
	v_cmp_gt_i32_e32 vcc, s33, v3
	s_mov_b64 s[0:1], -1
	s_mov_b64 s[24:25], s[20:21]
	s_mov_b64 s[26:27], s[18:19]
	;; [unrolled: 1-line block ×3, first 2 shown]
	s_and_saveexec_b64 s[30:31], vcc
	s_cbranch_execz .LBB46_773
; %bb.385:
	v_mul_lo_u32 v0, v3, s13
	v_ashrrev_i32_e32 v1, 31, v0
	s_waitcnt vmcnt(0)
	v_mov_b32_e32 v6, s11
	v_add_co_u32_e32 v0, vcc, s10, v0
	v_addc_co_u32_e32 v1, vcc, v6, v1, vcc
	v_mov_b32_e32 v6, 11
	v_cmp_lt_i16_sdwa s[0:1], v5, v6 src0_sel:BYTE_0 src1_sel:DWORD
	s_and_b64 vcc, exec, s[0:1]
	s_cbranch_vccnz .LBB46_395
; %bb.386:
	v_mov_b32_e32 v6, 25
	v_cmp_gt_i16_sdwa s[0:1], v5, v6 src0_sel:BYTE_0 src1_sel:DWORD
	s_and_b64 vcc, exec, s[0:1]
	s_cbranch_vccz .LBB46_404
; %bb.387:
	v_mov_b32_e32 v6, 28
	v_cmp_gt_i16_sdwa s[0:1], v5, v6 src0_sel:BYTE_0 src1_sel:DWORD
	s_and_b64 vcc, exec, s[0:1]
	s_cbranch_vccz .LBB46_406
	;; [unrolled: 5-line block ×4, first 2 shown]
; %bb.390:
	v_mov_b32_e32 v6, 46
	v_cmp_eq_u16_sdwa s[0:1], v5, v6 src0_sel:BYTE_0 src1_sel:DWORD
	s_mov_b64 s[26:27], 0
	s_and_b64 vcc, exec, s[0:1]
	s_cbranch_vccz .LBB46_414
; %bb.391:
	global_load_dword v6, v[0:1], off
	s_mov_b64 s[0:1], -1
	s_mov_b64 s[24:25], 0
	s_branch .LBB46_415
.LBB46_392:
	s_or_b64 exec, exec, s[22:23]
	s_mov_b64 s[22:23], 0
	s_and_saveexec_b64 s[0:1], s[20:21]
	s_cbranch_execnz .LBB46_1248
.LBB46_393:
	s_or_b64 exec, exec, s[0:1]
	s_and_saveexec_b64 s[0:1], s[26:27]
	s_xor_b64 s[0:1], exec, s[0:1]
	s_cbranch_execz .LBB46_1249
.LBB46_394:
	global_load_ubyte v5, v[0:1], off
	s_or_b64 s[28:29], s[28:29], exec
	s_waitcnt vmcnt(0)
	v_cmp_ne_u16_e32 vcc, 0, v5
	v_cndmask_b32_e64 v5, 0, 1.0, vcc
	v_lshrrev_b32_e32 v6, 16, v5
	s_or_b64 exec, exec, s[0:1]
	s_and_saveexec_b64 s[0:1], s[30:31]
	s_cbranch_execz .LBB46_1295
	s_branch .LBB46_1250
.LBB46_395:
	s_mov_b64 s[0:1], 0
                                        ; implicit-def: $vgpr6
	s_mov_b64 s[24:25], s[20:21]
	s_cbranch_execnz .LBB46_481
.LBB46_396:
	s_andn2_b64 vcc, exec, s[0:1]
	s_cbranch_vccnz .LBB46_529
.LBB46_397:
	v_mul_lo_u32 v0, v3, s14
	v_ashrrev_i32_e32 v1, 31, v0
	v_mov_b32_e32 v7, s3
	v_add_co_u32_e32 v0, vcc, s2, v0
	v_addc_co_u32_e32 v1, vcc, v7, v1, vcc
	v_mov_b32_e32 v7, 11
	v_cmp_lt_i16_sdwa s[0:1], v4, v7 src0_sel:BYTE_0 src1_sel:DWORD
	s_and_b64 vcc, exec, s[0:1]
	s_cbranch_vccnz .LBB46_405
; %bb.398:
	v_mov_b32_e32 v7, 25
	v_cmp_gt_i16_sdwa s[0:1], v4, v7 src0_sel:BYTE_0 src1_sel:DWORD
	s_and_b64 vcc, exec, s[0:1]
	s_cbranch_vccz .LBB46_407
; %bb.399:
	v_mov_b32_e32 v7, 28
	v_cmp_gt_i16_sdwa s[0:1], v4, v7 src0_sel:BYTE_0 src1_sel:DWORD
	s_and_b64 vcc, exec, s[0:1]
	s_cbranch_vccz .LBB46_409
	;; [unrolled: 5-line block ×4, first 2 shown]
; %bb.402:
	v_mov_b32_e32 v7, 46
	v_cmp_eq_u16_sdwa s[0:1], v4, v7 src0_sel:BYTE_0 src1_sel:DWORD
	s_mov_b64 s[28:29], 0
	s_and_b64 vcc, exec, s[0:1]
	s_cbranch_vccz .LBB46_533
; %bb.403:
	global_load_dword v8, v[0:1], off
	s_mov_b64 s[0:1], -1
	s_mov_b64 s[26:27], 0
	s_branch .LBB46_534
.LBB46_404:
	s_mov_b64 s[26:27], -1
	s_mov_b64 s[0:1], 0
	s_mov_b64 s[24:25], s[20:21]
                                        ; implicit-def: $vgpr6
	s_branch .LBB46_445
.LBB46_405:
	s_mov_b64 s[28:29], -1
	s_mov_b64 s[0:1], 0
                                        ; implicit-def: $vgpr8
	s_mov_b64 s[26:27], s[18:19]
	s_branch .LBB46_599
.LBB46_406:
	s_mov_b64 s[26:27], -1
	s_mov_b64 s[0:1], 0
	s_mov_b64 s[24:25], s[20:21]
                                        ; implicit-def: $vgpr6
	s_branch .LBB46_426
.LBB46_407:
	s_mov_b64 s[28:29], -1
	s_mov_b64 s[0:1], 0
	s_mov_b64 s[26:27], s[18:19]
                                        ; implicit-def: $vgpr8
	s_branch .LBB46_563
.LBB46_408:
	s_mov_b64 s[26:27], -1
	s_mov_b64 s[0:1], 0
	s_mov_b64 s[24:25], s[20:21]
                                        ; implicit-def: $vgpr6
	s_branch .LBB46_421
.LBB46_409:
	s_mov_b64 s[28:29], -1
	s_mov_b64 s[0:1], 0
	s_mov_b64 s[26:27], s[18:19]
                                        ; implicit-def: $vgpr8
	s_branch .LBB46_544
.LBB46_410:
	s_mov_b64 s[26:27], -1
	s_mov_b64 s[0:1], 0
	s_mov_b64 s[24:25], s[20:21]
                                        ; implicit-def: $vgpr6
	s_branch .LBB46_415
.LBB46_411:
	s_mov_b64 s[28:29], -1
	s_mov_b64 s[0:1], 0
	s_mov_b64 s[26:27], s[18:19]
                                        ; implicit-def: $vgpr8
	s_branch .LBB46_539
.LBB46_412:
	s_or_saveexec_b64 s[28:29], s[28:29]
                                        ; implicit-def: $sgpr15
	s_xor_b64 exec, exec, s[28:29]
	s_cbranch_execz .LBB46_180
.LBB46_413:
	s_mov_b32 s15, 0x46000000
	v_add_f32_e64 v9, |v10|, s15
	v_and_b32_e32 v9, 0xff, v9
	v_cmp_ne_u32_e32 vcc, 0, v9
	s_andn2_b64 s[24:25], s[24:25], exec
	s_and_b64 s[30:31], vcc, exec
	s_mov_b32 s15, 0
	s_or_b64 s[24:25], s[24:25], s[30:31]
	s_or_b64 exec, exec, s[28:29]
	v_mov_b32_e32 v11, s15
	s_and_saveexec_b64 s[28:29], s[24:25]
	s_cbranch_execnz .LBB46_181
	s_branch .LBB46_182
.LBB46_414:
	s_mov_b64 s[24:25], -1
                                        ; implicit-def: $vgpr6
	s_mov_b64 s[0:1], 0
.LBB46_415:
	s_and_b64 vcc, exec, s[26:27]
	s_cbranch_vccz .LBB46_420
; %bb.416:
	s_waitcnt vmcnt(0)
	v_mov_b32_e32 v6, 44
	v_cmp_eq_u16_sdwa s[24:25], v5, v6 src0_sel:BYTE_0 src1_sel:DWORD
	s_and_b64 vcc, exec, s[24:25]
	s_cbranch_vccz .LBB46_419
; %bb.417:
	global_load_ubyte v6, v[0:1], off
	s_movk_i32 s15, 0xff
	v_mov_b32_e32 v7, 0x7f800001
	v_mov_b32_e32 v8, 0x400000
	;; [unrolled: 1-line block ×3, first 2 shown]
	s_mov_b64 s[0:1], -1
	s_mov_b64 s[24:25], 0
	s_waitcnt vmcnt(0)
	v_lshlrev_b32_e32 v10, 23, v6
	v_cmp_ne_u32_e32 vcc, s15, v6
	v_cndmask_b32_e32 v7, v7, v10, vcc
	v_cmp_ne_u32_e32 vcc, 0, v6
	v_cndmask_b32_e32 v6, v8, v7, vcc
	v_add_u32_e32 v7, 0x7fff, v6
	v_lshrrev_b32_e32 v7, 16, v7
	v_cmp_o_f32_e32 vcc, v6, v6
	v_cndmask_b32_e32 v6, v9, v7, vcc
	s_branch .LBB46_420
.LBB46_418:
	s_mov_b64 s[28:29], -1
	s_mov_b64 s[0:1], 0
	s_mov_b64 s[26:27], s[18:19]
                                        ; implicit-def: $vgpr8
	s_branch .LBB46_534
.LBB46_419:
	s_mov_b64 s[24:25], -1
                                        ; implicit-def: $vgpr6
.LBB46_420:
	s_mov_b64 s[26:27], 0
.LBB46_421:
	s_and_b64 vcc, exec, s[26:27]
	s_cbranch_vccz .LBB46_425
; %bb.422:
	s_waitcnt vmcnt(0)
	v_mov_b32_e32 v6, 29
	v_cmp_eq_u16_sdwa s[24:25], v5, v6 src0_sel:BYTE_0 src1_sel:DWORD
	s_and_b64 vcc, exec, s[24:25]
	s_cbranch_vccz .LBB46_424
; %bb.423:
	global_load_dwordx2 v[6:7], v[0:1], off
	s_movk_i32 s15, 0x7fff
	s_mov_b64 s[0:1], -1
	s_mov_b64 s[24:25], 0
	s_mov_b64 s[26:27], 0
	s_waitcnt vmcnt(0)
	v_ffbh_u32_e32 v8, v7
	v_min_u32_e32 v8, 32, v8
	v_lshlrev_b64 v[6:7], v8, v[6:7]
	v_min_u32_e32 v6, 1, v6
	v_or_b32_e32 v6, v7, v6
	v_cvt_f32_u32_e32 v6, v6
	v_sub_u32_e32 v7, 32, v8
	v_ldexp_f32 v6, v6, v7
	v_bfe_u32 v7, v6, 16, 1
	v_add3_u32 v6, v6, v7, s15
	v_lshrrev_b32_e32 v6, 16, v6
	s_branch .LBB46_426
.LBB46_424:
	s_mov_b64 s[24:25], -1
                                        ; implicit-def: $vgpr6
.LBB46_425:
	s_mov_b64 s[26:27], 0
.LBB46_426:
	s_and_b64 vcc, exec, s[26:27]
	s_cbranch_vccz .LBB46_444
; %bb.427:
	s_waitcnt vmcnt(0)
	v_mov_b32_e32 v6, 27
	v_cmp_lt_i16_sdwa s[0:1], v5, v6 src0_sel:BYTE_0 src1_sel:DWORD
	s_and_b64 vcc, exec, s[0:1]
	s_cbranch_vccnz .LBB46_430
; %bb.428:
	v_cmp_gt_i16_sdwa s[0:1], v5, v6 src0_sel:BYTE_0 src1_sel:DWORD
	s_and_b64 vcc, exec, s[0:1]
	s_cbranch_vccz .LBB46_431
; %bb.429:
	global_load_dword v6, v[0:1], off
	s_movk_i32 s0, 0x7fff
	s_waitcnt vmcnt(0)
	v_cvt_f32_u32_e32 v6, v6
	v_bfe_u32 v7, v6, 16, 1
	v_add3_u32 v6, v6, v7, s0
	v_lshrrev_b32_e32 v6, 16, v6
	s_mov_b64 s[0:1], 0
	s_branch .LBB46_432
.LBB46_430:
	s_mov_b64 s[0:1], -1
                                        ; implicit-def: $vgpr6
	s_branch .LBB46_435
.LBB46_431:
	s_mov_b64 s[0:1], -1
                                        ; implicit-def: $vgpr6
.LBB46_432:
	s_andn2_b64 vcc, exec, s[0:1]
	s_cbranch_vccnz .LBB46_434
; %bb.433:
	global_load_ushort v6, v[0:1], off
	s_movk_i32 s0, 0x7fff
	s_waitcnt vmcnt(0)
	v_cvt_f32_u32_e32 v6, v6
	v_bfe_u32 v7, v6, 16, 1
	v_add3_u32 v6, v6, v7, s0
	v_lshrrev_b32_e32 v6, 16, v6
.LBB46_434:
	s_mov_b64 s[0:1], 0
.LBB46_435:
	s_andn2_b64 vcc, exec, s[0:1]
	s_cbranch_vccnz .LBB46_443
; %bb.436:
	global_load_ubyte v6, v[0:1], off
	s_movk_i32 s0, 0x7f
                                        ; implicit-def: $sgpr15
	s_waitcnt vmcnt(0)
	v_cmp_lt_i16_e32 vcc, s0, v6
	s_mov_b64 s[0:1], 0
	s_and_saveexec_b64 s[26:27], vcc
	s_xor_b64 s[26:27], exec, s[26:27]
	s_cbranch_execz .LBB46_457
; %bb.437:
	s_movk_i32 s0, 0x80
	v_cmp_eq_u16_e32 vcc, s0, v6
	s_mov_b64 s[0:1], -1
                                        ; implicit-def: $sgpr15
	s_and_saveexec_b64 s[28:29], vcc
; %bb.438:
	s_mov_b32 s15, 0x7f800001
	s_xor_b64 s[0:1], exec, -1
; %bb.439:
	s_or_b64 exec, exec, s[28:29]
	s_and_b64 s[0:1], s[0:1], exec
	s_or_saveexec_b64 s[26:27], s[26:27]
	v_mov_b32_e32 v7, s15
	s_xor_b64 exec, exec, s[26:27]
	s_cbranch_execnz .LBB46_458
.LBB46_440:
	s_or_b64 exec, exec, s[26:27]
	s_and_saveexec_b64 s[26:27], s[0:1]
	s_cbranch_execz .LBB46_442
.LBB46_441:
	v_lshlrev_b32_e32 v7, 24, v6
	v_and_b32_e32 v6, 0xffff, v6
	v_and_b32_e32 v8, 7, v6
	v_ffbh_u32_e32 v10, v8
	v_min_u32_e32 v10, 32, v10
	v_subrev_u32_e32 v11, 28, v10
	v_bfe_u32 v9, v6, 3, 4
	v_lshlrev_b32_e32 v6, v11, v6
	v_sub_u32_e32 v10, 29, v10
	v_and_b32_e32 v6, 7, v6
	v_cmp_eq_u32_e32 vcc, 0, v9
	v_cndmask_b32_e32 v9, v9, v10, vcc
	v_cndmask_b32_e32 v6, v8, v6, vcc
	v_mov_b32_e32 v8, 0x3b800000
	v_lshlrev_b32_e32 v6, 20, v6
	v_and_b32_e32 v7, 0x80000000, v7
	v_lshl_add_u32 v8, v9, 23, v8
	v_or3_b32 v7, v7, v8, v6
.LBB46_442:
	s_or_b64 exec, exec, s[26:27]
	v_bfe_u32 v6, v7, 16, 1
	s_movk_i32 s0, 0x7fff
	v_add3_u32 v6, v7, v6, s0
	v_lshrrev_b32_e32 v6, 16, v6
	v_mov_b32_e32 v8, 0x7fc0
	v_cmp_o_f32_e32 vcc, v7, v7
	v_cndmask_b32_e32 v6, v8, v6, vcc
.LBB46_443:
	s_mov_b64 s[0:1], -1
.LBB46_444:
	s_mov_b64 s[26:27], 0
.LBB46_445:
	s_and_b64 vcc, exec, s[26:27]
	s_cbranch_vccz .LBB46_480
; %bb.446:
	s_waitcnt vmcnt(0)
	v_mov_b32_e32 v6, 22
	v_cmp_gt_i16_sdwa s[26:27], v5, v6 src0_sel:BYTE_0 src1_sel:DWORD
	s_and_b64 vcc, exec, s[26:27]
	s_cbranch_vccz .LBB46_456
; %bb.447:
	v_mov_b32_e32 v6, 24
	v_cmp_lt_i16_sdwa s[0:1], v5, v6 src0_sel:BYTE_0 src1_sel:DWORD
	s_and_b64 vcc, exec, s[0:1]
	s_cbranch_vccnz .LBB46_459
; %bb.448:
	v_cmp_gt_i16_sdwa s[0:1], v5, v6 src0_sel:BYTE_0 src1_sel:DWORD
	s_and_b64 vcc, exec, s[0:1]
	s_cbranch_vccz .LBB46_460
; %bb.449:
	global_load_ubyte v6, v[0:1], off
	s_movk_i32 s0, 0x7f
                                        ; implicit-def: $sgpr15
	s_waitcnt vmcnt(0)
	v_cmp_lt_i16_e32 vcc, s0, v6
	s_mov_b64 s[0:1], 0
	s_and_saveexec_b64 s[26:27], vcc
	s_xor_b64 s[26:27], exec, s[26:27]
	s_cbranch_execz .LBB46_472
; %bb.450:
	s_movk_i32 s0, 0x80
	v_cmp_eq_u16_e32 vcc, s0, v6
	s_mov_b64 s[0:1], -1
                                        ; implicit-def: $sgpr15
	s_and_saveexec_b64 s[28:29], vcc
; %bb.451:
	s_mov_b32 s15, 0x7f800001
	s_xor_b64 s[0:1], exec, -1
; %bb.452:
	s_or_b64 exec, exec, s[28:29]
	s_and_b64 s[0:1], s[0:1], exec
	s_or_saveexec_b64 s[26:27], s[26:27]
	v_mov_b32_e32 v7, s15
	s_xor_b64 exec, exec, s[26:27]
	s_cbranch_execnz .LBB46_473
.LBB46_453:
	s_or_b64 exec, exec, s[26:27]
	s_and_saveexec_b64 s[26:27], s[0:1]
	s_cbranch_execz .LBB46_455
.LBB46_454:
	v_lshlrev_b32_e32 v7, 24, v6
	v_and_b32_e32 v6, 0xffff, v6
	v_and_b32_e32 v8, 3, v6
	v_ffbh_u32_e32 v10, v8
	v_min_u32_e32 v10, 32, v10
	v_subrev_u32_e32 v11, 29, v10
	v_bfe_u32 v9, v6, 2, 5
	v_lshlrev_b32_e32 v6, v11, v6
	v_sub_u32_e32 v10, 30, v10
	v_and_b32_e32 v6, 3, v6
	v_cmp_eq_u32_e32 vcc, 0, v9
	v_cndmask_b32_e32 v9, v9, v10, vcc
	v_cndmask_b32_e32 v6, v8, v6, vcc
	v_mov_b32_e32 v8, 0x37800000
	v_lshlrev_b32_e32 v6, 21, v6
	v_and_b32_e32 v7, 0x80000000, v7
	v_lshl_add_u32 v8, v9, 23, v8
	v_or3_b32 v7, v7, v8, v6
.LBB46_455:
	s_or_b64 exec, exec, s[26:27]
	v_bfe_u32 v6, v7, 16, 1
	s_movk_i32 s0, 0x7fff
	v_add3_u32 v6, v7, v6, s0
	v_lshrrev_b32_e32 v6, 16, v6
	v_mov_b32_e32 v8, 0x7fc0
	v_cmp_o_f32_e32 vcc, v7, v7
	v_cndmask_b32_e32 v6, v8, v6, vcc
	s_mov_b64 s[0:1], 0
	s_branch .LBB46_461
.LBB46_456:
	s_mov_b64 s[26:27], -1
                                        ; implicit-def: $vgpr6
	s_branch .LBB46_467
.LBB46_457:
	s_or_saveexec_b64 s[26:27], s[26:27]
	v_mov_b32_e32 v7, s15
	s_xor_b64 exec, exec, s[26:27]
	s_cbranch_execz .LBB46_440
.LBB46_458:
	v_cmp_ne_u16_e32 vcc, 0, v6
	s_andn2_b64 s[0:1], s[0:1], exec
	s_and_b64 s[28:29], vcc, exec
	v_mov_b32_e32 v7, 0
	s_or_b64 s[0:1], s[0:1], s[28:29]
	s_or_b64 exec, exec, s[26:27]
	s_and_saveexec_b64 s[26:27], s[0:1]
	s_cbranch_execnz .LBB46_441
	s_branch .LBB46_442
.LBB46_459:
	s_mov_b64 s[0:1], -1
                                        ; implicit-def: $vgpr6
	s_branch .LBB46_464
.LBB46_460:
	s_mov_b64 s[0:1], -1
                                        ; implicit-def: $vgpr6
.LBB46_461:
	s_and_b64 vcc, exec, s[0:1]
	s_cbranch_vccz .LBB46_463
; %bb.462:
	global_load_ubyte v6, v[0:1], off
	s_mov_b32 s0, 0x7f800000
	s_brev_b32 s1, 1
	s_movk_i32 s15, 0x7fff
	v_mov_b32_e32 v7, 0x7fc0
	s_waitcnt vmcnt(0)
	v_lshlrev_b32_e32 v6, 24, v6
	v_and_b32_e32 v8, 0x7f000000, v6
	v_ffbh_u32_e32 v9, v8
	v_min_u32_e32 v9, 32, v9
	v_sub_u32_e64 v9, v9, 4 clamp
	v_lshlrev_b32_e32 v11, v9, v8
	v_lshlrev_b32_e32 v9, 23, v9
	v_lshrrev_b32_e32 v11, 4, v11
	v_add_u32_e32 v10, 0x1000000, v8
	v_sub_u32_e32 v9, v11, v9
	v_ashrrev_i32_e32 v10, 8, v10
	v_add_u32_e32 v9, 0x3c000000, v9
	v_and_or_b32 v9, v10, s0, v9
	v_cmp_ne_u32_e32 vcc, 0, v8
	v_cndmask_b32_e32 v8, 0, v9, vcc
	v_and_or_b32 v6, v6, s1, v8
	v_bfe_u32 v8, v8, 16, 1
	v_add3_u32 v8, v6, v8, s15
	v_lshrrev_b32_e32 v8, 16, v8
	v_cmp_o_f32_e32 vcc, v6, v6
	v_cndmask_b32_e32 v6, v7, v8, vcc
.LBB46_463:
	s_mov_b64 s[0:1], 0
.LBB46_464:
	s_andn2_b64 vcc, exec, s[0:1]
	s_cbranch_vccnz .LBB46_466
; %bb.465:
	global_load_ubyte v6, v[0:1], off
	s_movk_i32 s0, 0x7f00
	s_brev_b32 s1, 16
	s_brev_b32 s15, 1
	s_movk_i32 s26, 0x7fff
	v_mov_b32_e32 v7, 0x7fc0
	s_waitcnt vmcnt(0)
	v_lshlrev_b16_e32 v8, 8, v6
	v_lshlrev_b32_e32 v6, 25, v6
	v_lshrrev_b32_e32 v9, 4, v6
	v_and_or_b32 v10, v8, s0, 0.5
	v_or_b32_e32 v9, 0x70000000, v9
	v_add_f32_e32 v10, -0.5, v10
	v_mul_f32_e32 v9, 0x7800000, v9
	v_cmp_gt_u32_e32 vcc, s1, v6
	v_bfe_i32 v8, v8, 0, 16
	v_cndmask_b32_e32 v6, v9, v10, vcc
	v_and_or_b32 v8, v8, s15, v6
	v_bfe_u32 v6, v6, 16, 1
	v_add3_u32 v6, v8, v6, s26
	v_lshrrev_b32_e32 v6, 16, v6
	v_cmp_o_f32_e32 vcc, v8, v8
	v_cndmask_b32_e32 v6, v7, v6, vcc
.LBB46_466:
	s_mov_b64 s[26:27], 0
	s_mov_b64 s[0:1], -1
.LBB46_467:
	s_andn2_b64 vcc, exec, s[26:27]
	s_cbranch_vccnz .LBB46_480
; %bb.468:
	v_mov_b32_e32 v6, 14
	v_cmp_gt_i16_sdwa s[26:27], v5, v6 src0_sel:BYTE_0 src1_sel:DWORD
	s_and_b64 vcc, exec, s[26:27]
	s_cbranch_vccz .LBB46_471
; %bb.469:
	v_mov_b32_e32 v6, 15
	v_cmp_eq_u16_sdwa s[24:25], v5, v6 src0_sel:BYTE_0 src1_sel:DWORD
	s_and_b64 vcc, exec, s[24:25]
	s_cbranch_vccz .LBB46_474
; %bb.470:
	global_load_ushort v6, v[0:1], off
	s_mov_b64 s[0:1], -1
	s_mov_b64 s[24:25], 0
	s_branch .LBB46_475
.LBB46_471:
	s_mov_b64 s[26:27], -1
                                        ; implicit-def: $vgpr6
	s_branch .LBB46_476
.LBB46_472:
	s_or_saveexec_b64 s[26:27], s[26:27]
	v_mov_b32_e32 v7, s15
	s_xor_b64 exec, exec, s[26:27]
	s_cbranch_execz .LBB46_453
.LBB46_473:
	v_cmp_ne_u16_e32 vcc, 0, v6
	s_andn2_b64 s[0:1], s[0:1], exec
	s_and_b64 s[28:29], vcc, exec
	v_mov_b32_e32 v7, 0
	s_or_b64 s[0:1], s[0:1], s[28:29]
	s_or_b64 exec, exec, s[26:27]
	s_and_saveexec_b64 s[26:27], s[0:1]
	s_cbranch_execnz .LBB46_454
	s_branch .LBB46_455
.LBB46_474:
	s_mov_b64 s[24:25], -1
                                        ; implicit-def: $vgpr6
.LBB46_475:
	s_mov_b64 s[26:27], 0
.LBB46_476:
	s_and_b64 vcc, exec, s[26:27]
	s_cbranch_vccz .LBB46_480
; %bb.477:
	s_waitcnt vmcnt(0)
	v_mov_b32_e32 v6, 11
	v_cmp_eq_u16_sdwa s[24:25], v5, v6 src0_sel:BYTE_0 src1_sel:DWORD
	s_and_b64 vcc, exec, s[24:25]
	s_cbranch_vccz .LBB46_479
; %bb.478:
	global_load_ubyte v6, v[0:1], off
	s_mov_b64 s[0:1], -1
	s_mov_b64 s[24:25], 0
	s_waitcnt vmcnt(0)
	v_cmp_ne_u16_e32 vcc, 0, v6
	v_cndmask_b32_e64 v6, 0, 1.0, vcc
	v_lshrrev_b32_e32 v6, 16, v6
	s_branch .LBB46_480
.LBB46_479:
	s_mov_b64 s[24:25], -1
                                        ; implicit-def: $vgpr6
.LBB46_480:
	s_branch .LBB46_396
.LBB46_481:
	s_waitcnt vmcnt(0)
	v_mov_b32_e32 v6, 5
	v_cmp_lt_i16_sdwa s[0:1], v5, v6 src0_sel:BYTE_0 src1_sel:DWORD
	s_and_b64 vcc, exec, s[0:1]
	s_cbranch_vccnz .LBB46_486
; %bb.482:
	v_mov_b32_e32 v6, 8
	v_cmp_lt_i16_sdwa s[0:1], v5, v6 src0_sel:BYTE_0 src1_sel:DWORD
	s_and_b64 vcc, exec, s[0:1]
	s_cbranch_vccnz .LBB46_487
; %bb.483:
	;; [unrolled: 5-line block ×3, first 2 shown]
	v_cmp_gt_i16_sdwa s[0:1], v5, v6 src0_sel:BYTE_0 src1_sel:DWORD
	s_and_b64 vcc, exec, s[0:1]
	s_cbranch_vccz .LBB46_489
; %bb.485:
	global_load_dwordx2 v[6:7], v[0:1], off
	s_movk_i32 s0, 0x7fff
	v_mov_b32_e32 v8, 0x7fc0
	s_waitcnt vmcnt(0)
	v_cvt_f32_f64_e32 v6, v[6:7]
	v_bfe_u32 v7, v6, 16, 1
	v_add3_u32 v7, v6, v7, s0
	v_lshrrev_b32_e32 v7, 16, v7
	v_cmp_o_f32_e32 vcc, v6, v6
	v_cndmask_b32_e32 v6, v8, v7, vcc
	s_mov_b64 s[0:1], 0
	s_branch .LBB46_490
.LBB46_486:
	s_mov_b64 s[0:1], -1
                                        ; implicit-def: $vgpr6
	s_branch .LBB46_508
.LBB46_487:
	s_mov_b64 s[0:1], -1
                                        ; implicit-def: $vgpr6
	s_branch .LBB46_496
.LBB46_488:
	s_mov_b64 s[0:1], -1
                                        ; implicit-def: $vgpr6
	s_branch .LBB46_493
.LBB46_489:
	s_mov_b64 s[0:1], -1
                                        ; implicit-def: $vgpr6
.LBB46_490:
	s_andn2_b64 vcc, exec, s[0:1]
	s_cbranch_vccnz .LBB46_492
; %bb.491:
	global_load_dword v6, v[0:1], off
	s_movk_i32 s0, 0x7fff
	v_mov_b32_e32 v7, 0x7fc0
	s_waitcnt vmcnt(0)
	v_bfe_u32 v8, v6, 16, 1
	v_add3_u32 v8, v6, v8, s0
	v_lshrrev_b32_e32 v8, 16, v8
	v_cmp_o_f32_e32 vcc, v6, v6
	v_cndmask_b32_e32 v6, v7, v8, vcc
.LBB46_492:
	s_mov_b64 s[0:1], 0
.LBB46_493:
	s_andn2_b64 vcc, exec, s[0:1]
	s_cbranch_vccnz .LBB46_495
; %bb.494:
	global_load_dword v6, v[0:1], off
	s_movk_i32 s0, 0x7fff
	v_mov_b32_e32 v8, 0x7fc0
	s_waitcnt vmcnt(0)
	v_cvt_f32_f16_e32 v7, v6
	v_cmp_o_f16_e32 vcc, v6, v6
	v_bfe_u32 v9, v7, 16, 1
	v_add3_u32 v7, v7, v9, s0
	v_lshrrev_b32_e32 v7, 16, v7
	v_cndmask_b32_e32 v6, v8, v7, vcc
.LBB46_495:
	s_mov_b64 s[0:1], 0
.LBB46_496:
	s_andn2_b64 vcc, exec, s[0:1]
	s_cbranch_vccnz .LBB46_507
; %bb.497:
	v_mov_b32_e32 v6, 6
	v_cmp_lt_i16_sdwa s[0:1], v5, v6 src0_sel:BYTE_0 src1_sel:DWORD
	s_and_b64 vcc, exec, s[0:1]
	s_cbranch_vccnz .LBB46_500
; %bb.498:
	v_cmp_gt_i16_sdwa s[0:1], v5, v6 src0_sel:BYTE_0 src1_sel:DWORD
	s_and_b64 vcc, exec, s[0:1]
	s_cbranch_vccz .LBB46_501
; %bb.499:
	global_load_dwordx2 v[6:7], v[0:1], off
	s_movk_i32 s0, 0x7fff
	v_mov_b32_e32 v8, 0x7fc0
	s_waitcnt vmcnt(0)
	v_cvt_f32_f64_e32 v6, v[6:7]
	v_bfe_u32 v7, v6, 16, 1
	v_add3_u32 v7, v6, v7, s0
	v_lshrrev_b32_e32 v7, 16, v7
	v_cmp_o_f32_e32 vcc, v6, v6
	v_cndmask_b32_e32 v6, v8, v7, vcc
	s_mov_b64 s[0:1], 0
	s_branch .LBB46_502
.LBB46_500:
	s_mov_b64 s[0:1], -1
                                        ; implicit-def: $vgpr6
	s_branch .LBB46_505
.LBB46_501:
	s_mov_b64 s[0:1], -1
                                        ; implicit-def: $vgpr6
.LBB46_502:
	s_andn2_b64 vcc, exec, s[0:1]
	s_cbranch_vccnz .LBB46_504
; %bb.503:
	global_load_dword v6, v[0:1], off
	s_movk_i32 s0, 0x7fff
	v_mov_b32_e32 v7, 0x7fc0
	s_waitcnt vmcnt(0)
	v_bfe_u32 v8, v6, 16, 1
	v_add3_u32 v8, v6, v8, s0
	v_lshrrev_b32_e32 v8, 16, v8
	v_cmp_o_f32_e32 vcc, v6, v6
	v_cndmask_b32_e32 v6, v7, v8, vcc
.LBB46_504:
	s_mov_b64 s[0:1], 0
.LBB46_505:
	s_andn2_b64 vcc, exec, s[0:1]
	s_cbranch_vccnz .LBB46_507
; %bb.506:
	global_load_ushort v6, v[0:1], off
	s_movk_i32 s0, 0x7fff
	v_mov_b32_e32 v8, 0x7fc0
	s_waitcnt vmcnt(0)
	v_cvt_f32_f16_e32 v7, v6
	v_cmp_o_f16_e32 vcc, v6, v6
	v_bfe_u32 v9, v7, 16, 1
	v_add3_u32 v7, v7, v9, s0
	v_lshrrev_b32_e32 v7, 16, v7
	v_cndmask_b32_e32 v6, v8, v7, vcc
.LBB46_507:
	s_mov_b64 s[0:1], 0
.LBB46_508:
	s_andn2_b64 vcc, exec, s[0:1]
	s_cbranch_vccnz .LBB46_528
; %bb.509:
	v_mov_b32_e32 v6, 2
	v_cmp_lt_i16_sdwa s[0:1], v5, v6 src0_sel:BYTE_0 src1_sel:DWORD
	s_and_b64 vcc, exec, s[0:1]
	s_cbranch_vccnz .LBB46_513
; %bb.510:
	v_mov_b32_e32 v6, 3
	v_cmp_lt_i16_sdwa s[0:1], v5, v6 src0_sel:BYTE_0 src1_sel:DWORD
	s_and_b64 vcc, exec, s[0:1]
	s_cbranch_vccnz .LBB46_514
; %bb.511:
	v_cmp_gt_i16_sdwa s[0:1], v5, v6 src0_sel:BYTE_0 src1_sel:DWORD
	s_and_b64 vcc, exec, s[0:1]
	s_cbranch_vccz .LBB46_515
; %bb.512:
	global_load_dwordx2 v[6:7], v[0:1], off
	s_movk_i32 s0, 0x7fff
	s_waitcnt vmcnt(0)
	v_xor_b32_e32 v9, v6, v7
	v_ffbh_i32_e32 v8, v7
	v_ashrrev_i32_e32 v9, 31, v9
	v_add_u32_e32 v8, -1, v8
	v_add_u32_e32 v9, 32, v9
	v_min_u32_e32 v8, v8, v9
	v_lshlrev_b64 v[6:7], v8, v[6:7]
	v_min_u32_e32 v6, 1, v6
	v_or_b32_e32 v6, v7, v6
	v_cvt_f32_i32_e32 v6, v6
	v_sub_u32_e32 v7, 32, v8
	v_ldexp_f32 v6, v6, v7
	v_bfe_u32 v7, v6, 16, 1
	v_add3_u32 v6, v6, v7, s0
	v_lshrrev_b32_e32 v6, 16, v6
	s_mov_b64 s[0:1], 0
	s_branch .LBB46_516
.LBB46_513:
	s_mov_b64 s[0:1], -1
                                        ; implicit-def: $vgpr6
	s_branch .LBB46_522
.LBB46_514:
	s_mov_b64 s[0:1], -1
                                        ; implicit-def: $vgpr6
	s_branch .LBB46_519
.LBB46_515:
	s_mov_b64 s[0:1], -1
                                        ; implicit-def: $vgpr6
.LBB46_516:
	s_andn2_b64 vcc, exec, s[0:1]
	s_cbranch_vccnz .LBB46_518
; %bb.517:
	global_load_dword v6, v[0:1], off
	s_movk_i32 s0, 0x7fff
	s_waitcnt vmcnt(0)
	v_cvt_f32_i32_e32 v6, v6
	v_bfe_u32 v7, v6, 16, 1
	v_add3_u32 v6, v6, v7, s0
	v_lshrrev_b32_e32 v6, 16, v6
.LBB46_518:
	s_mov_b64 s[0:1], 0
.LBB46_519:
	s_andn2_b64 vcc, exec, s[0:1]
	s_cbranch_vccnz .LBB46_521
; %bb.520:
	global_load_sshort v6, v[0:1], off
	s_movk_i32 s0, 0x7fff
	s_waitcnt vmcnt(0)
	v_cvt_f32_i32_e32 v6, v6
	v_bfe_u32 v7, v6, 16, 1
	v_add3_u32 v6, v6, v7, s0
	v_lshrrev_b32_e32 v6, 16, v6
.LBB46_521:
	s_mov_b64 s[0:1], 0
.LBB46_522:
	s_andn2_b64 vcc, exec, s[0:1]
	s_cbranch_vccnz .LBB46_528
; %bb.523:
	v_mov_b32_e32 v6, 0
	v_cmp_gt_i16_sdwa s[0:1], v5, v6 src0_sel:BYTE_0 src1_sel:DWORD
	s_and_b64 vcc, exec, s[0:1]
	s_cbranch_vccz .LBB46_525
; %bb.524:
	global_load_sbyte v6, v[0:1], off
	s_movk_i32 s0, 0x7fff
	s_waitcnt vmcnt(0)
	v_cvt_f32_i32_e32 v6, v6
	v_bfe_u32 v7, v6, 16, 1
	v_add3_u32 v6, v6, v7, s0
	v_lshrrev_b32_e32 v6, 16, v6
	s_mov_b64 s[0:1], 0
	s_branch .LBB46_526
.LBB46_525:
	s_mov_b64 s[0:1], -1
                                        ; implicit-def: $vgpr6
.LBB46_526:
	s_andn2_b64 vcc, exec, s[0:1]
	s_cbranch_vccnz .LBB46_528
; %bb.527:
	global_load_ubyte v0, v[0:1], off
	s_movk_i32 s0, 0x7fff
	s_waitcnt vmcnt(0)
	v_cvt_f32_ubyte0_e32 v0, v0
	v_bfe_u32 v1, v0, 16, 1
	v_add3_u32 v0, v0, v1, s0
	v_lshrrev_b32_e32 v6, 16, v0
.LBB46_528:
	s_branch .LBB46_397
.LBB46_529:
	s_mov_b64 s[34:35], 0
	s_mov_b64 s[0:1], s[6:7]
	;; [unrolled: 1-line block ×3, first 2 shown]
.LBB46_530:
                                        ; implicit-def: $vgpr3
	s_branch .LBB46_772
.LBB46_531:
	s_or_saveexec_b64 s[28:29], s[28:29]
                                        ; implicit-def: $sgpr15
	s_xor_b64 exec, exec, s[28:29]
	s_cbranch_execz .LBB46_193
.LBB46_532:
	s_mov_b32 s15, 0x42800000
	v_add_f32_e64 v9, |v10|, s15
	v_and_b32_e32 v9, 0xff, v9
	v_cmp_ne_u32_e32 vcc, 0, v9
	s_andn2_b64 s[24:25], s[24:25], exec
	s_and_b64 s[30:31], vcc, exec
	s_mov_b32 s15, 0
	s_or_b64 s[24:25], s[24:25], s[30:31]
	s_or_b64 exec, exec, s[28:29]
	v_mov_b32_e32 v11, s15
	s_and_saveexec_b64 s[28:29], s[24:25]
	s_cbranch_execnz .LBB46_194
	s_branch .LBB46_195
.LBB46_533:
	s_mov_b64 s[26:27], -1
                                        ; implicit-def: $vgpr8
	s_mov_b64 s[0:1], 0
.LBB46_534:
	s_and_b64 vcc, exec, s[28:29]
	s_cbranch_vccz .LBB46_538
; %bb.535:
	v_mov_b32_e32 v7, 44
	v_cmp_eq_u16_sdwa s[26:27], v4, v7 src0_sel:BYTE_0 src1_sel:DWORD
	s_and_b64 vcc, exec, s[26:27]
	s_cbranch_vccz .LBB46_537
; %bb.536:
	global_load_ubyte v7, v[0:1], off
	s_movk_i32 s15, 0xff
	s_waitcnt vmcnt(1)
	v_mov_b32_e32 v8, 0x7f800001
	v_mov_b32_e32 v9, 0x400000
	;; [unrolled: 1-line block ×3, first 2 shown]
	s_mov_b64 s[0:1], -1
	s_mov_b64 s[26:27], 0
	s_waitcnt vmcnt(0)
	v_lshlrev_b32_e32 v11, 23, v7
	v_cmp_ne_u32_e32 vcc, s15, v7
	v_cndmask_b32_e32 v8, v8, v11, vcc
	v_cmp_ne_u32_e32 vcc, 0, v7
	v_cndmask_b32_e32 v7, v9, v8, vcc
	v_add_u32_e32 v8, 0x7fff, v7
	v_lshrrev_b32_e32 v8, 16, v8
	v_cmp_o_f32_e32 vcc, v7, v7
	v_cndmask_b32_e32 v8, v10, v8, vcc
	s_branch .LBB46_538
.LBB46_537:
	s_mov_b64 s[26:27], -1
                                        ; implicit-def: $vgpr8
.LBB46_538:
	s_mov_b64 s[28:29], 0
.LBB46_539:
	s_and_b64 vcc, exec, s[28:29]
	s_cbranch_vccz .LBB46_543
; %bb.540:
	v_mov_b32_e32 v7, 29
	v_cmp_eq_u16_sdwa s[26:27], v4, v7 src0_sel:BYTE_0 src1_sel:DWORD
	s_and_b64 vcc, exec, s[26:27]
	s_cbranch_vccz .LBB46_542
; %bb.541:
	global_load_dwordx2 v[8:9], v[0:1], off
	s_movk_i32 s15, 0x7fff
	s_mov_b64 s[0:1], -1
	s_mov_b64 s[26:27], 0
	s_mov_b64 s[28:29], 0
	s_waitcnt vmcnt(0)
	v_ffbh_u32_e32 v7, v9
	v_min_u32_e32 v7, 32, v7
	v_lshlrev_b64 v[8:9], v7, v[8:9]
	v_min_u32_e32 v8, 1, v8
	v_or_b32_e32 v8, v9, v8
	v_cvt_f32_u32_e32 v8, v8
	v_sub_u32_e32 v7, 32, v7
	v_ldexp_f32 v7, v8, v7
	v_bfe_u32 v8, v7, 16, 1
	v_add3_u32 v7, v7, v8, s15
	v_lshrrev_b32_e32 v8, 16, v7
	s_branch .LBB46_544
.LBB46_542:
	s_mov_b64 s[26:27], -1
                                        ; implicit-def: $vgpr8
.LBB46_543:
	s_mov_b64 s[28:29], 0
.LBB46_544:
	s_and_b64 vcc, exec, s[28:29]
	s_cbranch_vccz .LBB46_562
; %bb.545:
	v_mov_b32_e32 v7, 27
	v_cmp_lt_i16_sdwa s[0:1], v4, v7 src0_sel:BYTE_0 src1_sel:DWORD
	s_and_b64 vcc, exec, s[0:1]
	s_cbranch_vccnz .LBB46_548
; %bb.546:
	v_cmp_gt_i16_sdwa s[0:1], v4, v7 src0_sel:BYTE_0 src1_sel:DWORD
	s_and_b64 vcc, exec, s[0:1]
	s_cbranch_vccz .LBB46_549
; %bb.547:
	global_load_dword v7, v[0:1], off
	s_movk_i32 s0, 0x7fff
	s_waitcnt vmcnt(0)
	v_cvt_f32_u32_e32 v7, v7
	v_bfe_u32 v8, v7, 16, 1
	v_add3_u32 v7, v7, v8, s0
	v_lshrrev_b32_e32 v8, 16, v7
	s_mov_b64 s[0:1], 0
	s_branch .LBB46_550
.LBB46_548:
	s_mov_b64 s[0:1], -1
                                        ; implicit-def: $vgpr8
	s_branch .LBB46_553
.LBB46_549:
	s_mov_b64 s[0:1], -1
                                        ; implicit-def: $vgpr8
.LBB46_550:
	s_andn2_b64 vcc, exec, s[0:1]
	s_cbranch_vccnz .LBB46_552
; %bb.551:
	global_load_ushort v7, v[0:1], off
	s_movk_i32 s0, 0x7fff
	s_waitcnt vmcnt(0)
	v_cvt_f32_u32_e32 v7, v7
	v_bfe_u32 v8, v7, 16, 1
	v_add3_u32 v7, v7, v8, s0
	v_lshrrev_b32_e32 v8, 16, v7
.LBB46_552:
	s_mov_b64 s[0:1], 0
.LBB46_553:
	s_andn2_b64 vcc, exec, s[0:1]
	s_cbranch_vccnz .LBB46_561
; %bb.554:
	global_load_ubyte v7, v[0:1], off
	s_movk_i32 s0, 0x7f
                                        ; implicit-def: $sgpr15
	s_waitcnt vmcnt(0)
	v_cmp_lt_i16_e32 vcc, s0, v7
	s_mov_b64 s[0:1], 0
	s_and_saveexec_b64 s[28:29], vcc
	s_xor_b64 s[28:29], exec, s[28:29]
	s_cbranch_execz .LBB46_575
; %bb.555:
	s_movk_i32 s0, 0x80
	v_cmp_eq_u16_e32 vcc, s0, v7
	s_mov_b64 s[0:1], -1
                                        ; implicit-def: $sgpr15
	s_and_saveexec_b64 s[34:35], vcc
; %bb.556:
	s_mov_b32 s15, 0x7f800001
	s_xor_b64 s[0:1], exec, -1
; %bb.557:
	s_or_b64 exec, exec, s[34:35]
	s_and_b64 s[0:1], s[0:1], exec
	s_or_saveexec_b64 s[28:29], s[28:29]
	v_mov_b32_e32 v8, s15
	s_xor_b64 exec, exec, s[28:29]
	s_cbranch_execnz .LBB46_576
.LBB46_558:
	s_or_b64 exec, exec, s[28:29]
	s_and_saveexec_b64 s[28:29], s[0:1]
	s_cbranch_execz .LBB46_560
.LBB46_559:
	v_lshlrev_b32_e32 v8, 24, v7
	v_and_b32_e32 v7, 0xffff, v7
	v_and_b32_e32 v9, 7, v7
	v_ffbh_u32_e32 v11, v9
	v_min_u32_e32 v11, 32, v11
	v_subrev_u32_e32 v12, 28, v11
	v_bfe_u32 v10, v7, 3, 4
	v_lshlrev_b32_e32 v7, v12, v7
	v_sub_u32_e32 v11, 29, v11
	v_and_b32_e32 v7, 7, v7
	v_cmp_eq_u32_e32 vcc, 0, v10
	v_cndmask_b32_e32 v10, v10, v11, vcc
	v_cndmask_b32_e32 v7, v9, v7, vcc
	v_mov_b32_e32 v9, 0x3b800000
	v_lshlrev_b32_e32 v7, 20, v7
	v_and_b32_e32 v8, 0x80000000, v8
	v_lshl_add_u32 v9, v10, 23, v9
	v_or3_b32 v8, v8, v9, v7
.LBB46_560:
	s_or_b64 exec, exec, s[28:29]
	v_bfe_u32 v7, v8, 16, 1
	s_movk_i32 s0, 0x7fff
	v_add3_u32 v7, v8, v7, s0
	v_lshrrev_b32_e32 v7, 16, v7
	v_mov_b32_e32 v9, 0x7fc0
	v_cmp_o_f32_e32 vcc, v8, v8
	v_cndmask_b32_e32 v8, v9, v7, vcc
.LBB46_561:
	s_mov_b64 s[0:1], -1
.LBB46_562:
	s_mov_b64 s[28:29], 0
.LBB46_563:
	s_and_b64 vcc, exec, s[28:29]
	s_cbranch_vccz .LBB46_598
; %bb.564:
	v_mov_b32_e32 v7, 22
	v_cmp_gt_i16_sdwa s[28:29], v4, v7 src0_sel:BYTE_0 src1_sel:DWORD
	s_and_b64 vcc, exec, s[28:29]
	s_cbranch_vccz .LBB46_574
; %bb.565:
	v_mov_b32_e32 v7, 24
	v_cmp_lt_i16_sdwa s[0:1], v4, v7 src0_sel:BYTE_0 src1_sel:DWORD
	s_and_b64 vcc, exec, s[0:1]
	s_cbranch_vccnz .LBB46_577
; %bb.566:
	v_cmp_gt_i16_sdwa s[0:1], v4, v7 src0_sel:BYTE_0 src1_sel:DWORD
	s_and_b64 vcc, exec, s[0:1]
	s_cbranch_vccz .LBB46_578
; %bb.567:
	global_load_ubyte v7, v[0:1], off
	s_movk_i32 s0, 0x7f
                                        ; implicit-def: $sgpr15
	s_waitcnt vmcnt(0)
	v_cmp_lt_i16_e32 vcc, s0, v7
	s_mov_b64 s[0:1], 0
	s_and_saveexec_b64 s[28:29], vcc
	s_xor_b64 s[28:29], exec, s[28:29]
	s_cbranch_execz .LBB46_590
; %bb.568:
	s_movk_i32 s0, 0x80
	v_cmp_eq_u16_e32 vcc, s0, v7
	s_mov_b64 s[0:1], -1
                                        ; implicit-def: $sgpr15
	s_and_saveexec_b64 s[34:35], vcc
; %bb.569:
	s_mov_b32 s15, 0x7f800001
	s_xor_b64 s[0:1], exec, -1
; %bb.570:
	s_or_b64 exec, exec, s[34:35]
	s_and_b64 s[0:1], s[0:1], exec
	s_or_saveexec_b64 s[28:29], s[28:29]
	v_mov_b32_e32 v8, s15
	s_xor_b64 exec, exec, s[28:29]
	s_cbranch_execnz .LBB46_591
.LBB46_571:
	s_or_b64 exec, exec, s[28:29]
	s_and_saveexec_b64 s[28:29], s[0:1]
	s_cbranch_execz .LBB46_573
.LBB46_572:
	v_lshlrev_b32_e32 v8, 24, v7
	v_and_b32_e32 v7, 0xffff, v7
	v_and_b32_e32 v9, 3, v7
	v_ffbh_u32_e32 v11, v9
	v_min_u32_e32 v11, 32, v11
	v_subrev_u32_e32 v12, 29, v11
	v_bfe_u32 v10, v7, 2, 5
	v_lshlrev_b32_e32 v7, v12, v7
	v_sub_u32_e32 v11, 30, v11
	v_and_b32_e32 v7, 3, v7
	v_cmp_eq_u32_e32 vcc, 0, v10
	v_cndmask_b32_e32 v10, v10, v11, vcc
	v_cndmask_b32_e32 v7, v9, v7, vcc
	v_mov_b32_e32 v9, 0x37800000
	v_lshlrev_b32_e32 v7, 21, v7
	v_and_b32_e32 v8, 0x80000000, v8
	v_lshl_add_u32 v9, v10, 23, v9
	v_or3_b32 v8, v8, v9, v7
.LBB46_573:
	s_or_b64 exec, exec, s[28:29]
	v_bfe_u32 v7, v8, 16, 1
	s_movk_i32 s0, 0x7fff
	v_add3_u32 v7, v8, v7, s0
	v_lshrrev_b32_e32 v7, 16, v7
	v_mov_b32_e32 v9, 0x7fc0
	v_cmp_o_f32_e32 vcc, v8, v8
	v_cndmask_b32_e32 v8, v9, v7, vcc
	s_mov_b64 s[0:1], 0
	s_branch .LBB46_579
.LBB46_574:
	s_mov_b64 s[28:29], -1
                                        ; implicit-def: $vgpr8
	s_branch .LBB46_585
.LBB46_575:
	s_or_saveexec_b64 s[28:29], s[28:29]
	v_mov_b32_e32 v8, s15
	s_xor_b64 exec, exec, s[28:29]
	s_cbranch_execz .LBB46_558
.LBB46_576:
	v_cmp_ne_u16_e32 vcc, 0, v7
	s_andn2_b64 s[0:1], s[0:1], exec
	s_and_b64 s[34:35], vcc, exec
	v_mov_b32_e32 v8, 0
	s_or_b64 s[0:1], s[0:1], s[34:35]
	s_or_b64 exec, exec, s[28:29]
	s_and_saveexec_b64 s[28:29], s[0:1]
	s_cbranch_execnz .LBB46_559
	s_branch .LBB46_560
.LBB46_577:
	s_mov_b64 s[0:1], -1
                                        ; implicit-def: $vgpr8
	s_branch .LBB46_582
.LBB46_578:
	s_mov_b64 s[0:1], -1
                                        ; implicit-def: $vgpr8
.LBB46_579:
	s_and_b64 vcc, exec, s[0:1]
	s_cbranch_vccz .LBB46_581
; %bb.580:
	global_load_ubyte v7, v[0:1], off
	s_mov_b32 s0, 0x7f800000
	s_brev_b32 s1, 1
	s_movk_i32 s15, 0x7fff
	s_waitcnt vmcnt(1)
	v_mov_b32_e32 v8, 0x7fc0
	s_waitcnt vmcnt(0)
	v_lshlrev_b32_e32 v7, 24, v7
	v_and_b32_e32 v9, 0x7f000000, v7
	v_ffbh_u32_e32 v10, v9
	v_min_u32_e32 v10, 32, v10
	v_sub_u32_e64 v10, v10, 4 clamp
	v_lshlrev_b32_e32 v12, v10, v9
	v_lshlrev_b32_e32 v10, 23, v10
	v_lshrrev_b32_e32 v12, 4, v12
	v_add_u32_e32 v11, 0x1000000, v9
	v_sub_u32_e32 v10, v12, v10
	v_ashrrev_i32_e32 v11, 8, v11
	v_add_u32_e32 v10, 0x3c000000, v10
	v_and_or_b32 v10, v11, s0, v10
	v_cmp_ne_u32_e32 vcc, 0, v9
	v_cndmask_b32_e32 v9, 0, v10, vcc
	v_and_or_b32 v7, v7, s1, v9
	v_bfe_u32 v9, v9, 16, 1
	v_add3_u32 v9, v7, v9, s15
	v_lshrrev_b32_e32 v9, 16, v9
	v_cmp_o_f32_e32 vcc, v7, v7
	v_cndmask_b32_e32 v8, v8, v9, vcc
.LBB46_581:
	s_mov_b64 s[0:1], 0
.LBB46_582:
	s_andn2_b64 vcc, exec, s[0:1]
	s_cbranch_vccnz .LBB46_584
; %bb.583:
	global_load_ubyte v7, v[0:1], off
	s_movk_i32 s0, 0x7f00
	s_brev_b32 s1, 16
	s_brev_b32 s15, 1
	s_movk_i32 s28, 0x7fff
	s_waitcnt vmcnt(1)
	v_mov_b32_e32 v8, 0x7fc0
	s_waitcnt vmcnt(0)
	v_lshlrev_b16_e32 v9, 8, v7
	v_lshlrev_b32_e32 v7, 25, v7
	v_lshrrev_b32_e32 v10, 4, v7
	v_and_or_b32 v11, v9, s0, 0.5
	v_or_b32_e32 v10, 0x70000000, v10
	v_add_f32_e32 v11, -0.5, v11
	v_mul_f32_e32 v10, 0x7800000, v10
	v_cmp_gt_u32_e32 vcc, s1, v7
	v_bfe_i32 v9, v9, 0, 16
	v_cndmask_b32_e32 v7, v10, v11, vcc
	v_and_or_b32 v9, v9, s15, v7
	v_bfe_u32 v7, v7, 16, 1
	v_add3_u32 v7, v9, v7, s28
	v_lshrrev_b32_e32 v7, 16, v7
	v_cmp_o_f32_e32 vcc, v9, v9
	v_cndmask_b32_e32 v8, v8, v7, vcc
.LBB46_584:
	s_mov_b64 s[28:29], 0
	s_mov_b64 s[0:1], -1
.LBB46_585:
	s_andn2_b64 vcc, exec, s[28:29]
	s_cbranch_vccnz .LBB46_598
; %bb.586:
	v_mov_b32_e32 v7, 14
	v_cmp_gt_i16_sdwa s[28:29], v4, v7 src0_sel:BYTE_0 src1_sel:DWORD
	s_and_b64 vcc, exec, s[28:29]
	s_cbranch_vccz .LBB46_589
; %bb.587:
	v_mov_b32_e32 v7, 15
	v_cmp_eq_u16_sdwa s[26:27], v4, v7 src0_sel:BYTE_0 src1_sel:DWORD
	s_and_b64 vcc, exec, s[26:27]
	s_cbranch_vccz .LBB46_592
; %bb.588:
	global_load_ushort v8, v[0:1], off
	s_mov_b64 s[0:1], -1
	s_mov_b64 s[26:27], 0
	s_branch .LBB46_593
.LBB46_589:
	s_mov_b64 s[28:29], -1
                                        ; implicit-def: $vgpr8
	s_branch .LBB46_594
.LBB46_590:
	s_or_saveexec_b64 s[28:29], s[28:29]
	v_mov_b32_e32 v8, s15
	s_xor_b64 exec, exec, s[28:29]
	s_cbranch_execz .LBB46_571
.LBB46_591:
	v_cmp_ne_u16_e32 vcc, 0, v7
	s_andn2_b64 s[0:1], s[0:1], exec
	s_and_b64 s[34:35], vcc, exec
	v_mov_b32_e32 v8, 0
	s_or_b64 s[0:1], s[0:1], s[34:35]
	s_or_b64 exec, exec, s[28:29]
	s_and_saveexec_b64 s[28:29], s[0:1]
	s_cbranch_execnz .LBB46_572
	s_branch .LBB46_573
.LBB46_592:
	s_mov_b64 s[26:27], -1
                                        ; implicit-def: $vgpr8
.LBB46_593:
	s_mov_b64 s[28:29], 0
.LBB46_594:
	s_and_b64 vcc, exec, s[28:29]
	s_cbranch_vccz .LBB46_598
; %bb.595:
	v_mov_b32_e32 v7, 11
	v_cmp_eq_u16_sdwa s[26:27], v4, v7 src0_sel:BYTE_0 src1_sel:DWORD
	s_and_b64 vcc, exec, s[26:27]
	s_cbranch_vccz .LBB46_597
; %bb.596:
	global_load_ubyte v7, v[0:1], off
	s_mov_b64 s[0:1], -1
	s_mov_b64 s[26:27], 0
	s_waitcnt vmcnt(0)
	v_cmp_ne_u16_e32 vcc, 0, v7
	v_cndmask_b32_e64 v7, 0, 1.0, vcc
	v_lshrrev_b32_e32 v8, 16, v7
	s_branch .LBB46_598
.LBB46_597:
	s_mov_b64 s[26:27], -1
                                        ; implicit-def: $vgpr8
.LBB46_598:
	s_mov_b64 s[28:29], 0
.LBB46_599:
	s_and_b64 vcc, exec, s[28:29]
	s_cbranch_vccz .LBB46_648
; %bb.600:
	v_mov_b32_e32 v7, 5
	v_cmp_lt_i16_sdwa s[0:1], v4, v7 src0_sel:BYTE_0 src1_sel:DWORD
	s_and_b64 vcc, exec, s[0:1]
	s_cbranch_vccnz .LBB46_605
; %bb.601:
	v_mov_b32_e32 v7, 8
	v_cmp_lt_i16_sdwa s[0:1], v4, v7 src0_sel:BYTE_0 src1_sel:DWORD
	s_and_b64 vcc, exec, s[0:1]
	s_cbranch_vccnz .LBB46_606
	;; [unrolled: 5-line block ×3, first 2 shown]
; %bb.603:
	v_cmp_gt_i16_sdwa s[0:1], v4, v7 src0_sel:BYTE_0 src1_sel:DWORD
	s_and_b64 vcc, exec, s[0:1]
	s_cbranch_vccz .LBB46_608
; %bb.604:
	global_load_dwordx2 v[8:9], v[0:1], off
	s_movk_i32 s0, 0x7fff
	v_mov_b32_e32 v7, 0x7fc0
	s_waitcnt vmcnt(0)
	v_cvt_f32_f64_e32 v8, v[8:9]
	v_bfe_u32 v9, v8, 16, 1
	v_add3_u32 v9, v8, v9, s0
	v_lshrrev_b32_e32 v9, 16, v9
	v_cmp_o_f32_e32 vcc, v8, v8
	v_cndmask_b32_e32 v8, v7, v9, vcc
	s_mov_b64 s[0:1], 0
	s_branch .LBB46_609
.LBB46_605:
	s_mov_b64 s[0:1], -1
                                        ; implicit-def: $vgpr8
	s_branch .LBB46_627
.LBB46_606:
	s_mov_b64 s[0:1], -1
                                        ; implicit-def: $vgpr8
	s_branch .LBB46_615
.LBB46_607:
	s_mov_b64 s[0:1], -1
                                        ; implicit-def: $vgpr8
	s_branch .LBB46_612
.LBB46_608:
	s_mov_b64 s[0:1], -1
                                        ; implicit-def: $vgpr8
.LBB46_609:
	s_andn2_b64 vcc, exec, s[0:1]
	s_cbranch_vccnz .LBB46_611
; %bb.610:
	global_load_dword v7, v[0:1], off
	s_movk_i32 s0, 0x7fff
	s_waitcnt vmcnt(1)
	v_mov_b32_e32 v8, 0x7fc0
	s_waitcnt vmcnt(0)
	v_bfe_u32 v9, v7, 16, 1
	v_add3_u32 v9, v7, v9, s0
	v_lshrrev_b32_e32 v9, 16, v9
	v_cmp_o_f32_e32 vcc, v7, v7
	v_cndmask_b32_e32 v8, v8, v9, vcc
.LBB46_611:
	s_mov_b64 s[0:1], 0
.LBB46_612:
	s_andn2_b64 vcc, exec, s[0:1]
	s_cbranch_vccnz .LBB46_614
; %bb.613:
	global_load_dword v7, v[0:1], off
	s_movk_i32 s0, 0x7fff
	v_mov_b32_e32 v9, 0x7fc0
	s_waitcnt vmcnt(0)
	v_cvt_f32_f16_e32 v8, v7
	v_cmp_o_f16_e32 vcc, v7, v7
	v_bfe_u32 v10, v8, 16, 1
	v_add3_u32 v8, v8, v10, s0
	v_lshrrev_b32_e32 v8, 16, v8
	v_cndmask_b32_e32 v8, v9, v8, vcc
.LBB46_614:
	s_mov_b64 s[0:1], 0
.LBB46_615:
	s_andn2_b64 vcc, exec, s[0:1]
	s_cbranch_vccnz .LBB46_626
; %bb.616:
	v_mov_b32_e32 v7, 6
	v_cmp_lt_i16_sdwa s[0:1], v4, v7 src0_sel:BYTE_0 src1_sel:DWORD
	s_and_b64 vcc, exec, s[0:1]
	s_cbranch_vccnz .LBB46_619
; %bb.617:
	v_cmp_gt_i16_sdwa s[0:1], v4, v7 src0_sel:BYTE_0 src1_sel:DWORD
	s_and_b64 vcc, exec, s[0:1]
	s_cbranch_vccz .LBB46_620
; %bb.618:
	global_load_dwordx2 v[8:9], v[0:1], off
	s_movk_i32 s0, 0x7fff
	v_mov_b32_e32 v7, 0x7fc0
	s_waitcnt vmcnt(0)
	v_cvt_f32_f64_e32 v8, v[8:9]
	v_bfe_u32 v9, v8, 16, 1
	v_add3_u32 v9, v8, v9, s0
	v_lshrrev_b32_e32 v9, 16, v9
	v_cmp_o_f32_e32 vcc, v8, v8
	v_cndmask_b32_e32 v8, v7, v9, vcc
	s_mov_b64 s[0:1], 0
	s_branch .LBB46_621
.LBB46_619:
	s_mov_b64 s[0:1], -1
                                        ; implicit-def: $vgpr8
	s_branch .LBB46_624
.LBB46_620:
	s_mov_b64 s[0:1], -1
                                        ; implicit-def: $vgpr8
.LBB46_621:
	s_andn2_b64 vcc, exec, s[0:1]
	s_cbranch_vccnz .LBB46_623
; %bb.622:
	global_load_dword v7, v[0:1], off
	s_movk_i32 s0, 0x7fff
	s_waitcnt vmcnt(1)
	v_mov_b32_e32 v8, 0x7fc0
	s_waitcnt vmcnt(0)
	v_bfe_u32 v9, v7, 16, 1
	v_add3_u32 v9, v7, v9, s0
	v_lshrrev_b32_e32 v9, 16, v9
	v_cmp_o_f32_e32 vcc, v7, v7
	v_cndmask_b32_e32 v8, v8, v9, vcc
.LBB46_623:
	s_mov_b64 s[0:1], 0
.LBB46_624:
	s_andn2_b64 vcc, exec, s[0:1]
	s_cbranch_vccnz .LBB46_626
; %bb.625:
	global_load_ushort v7, v[0:1], off
	s_movk_i32 s0, 0x7fff
	v_mov_b32_e32 v9, 0x7fc0
	s_waitcnt vmcnt(0)
	v_cvt_f32_f16_e32 v8, v7
	v_cmp_o_f16_e32 vcc, v7, v7
	v_bfe_u32 v10, v8, 16, 1
	v_add3_u32 v8, v8, v10, s0
	v_lshrrev_b32_e32 v8, 16, v8
	v_cndmask_b32_e32 v8, v9, v8, vcc
.LBB46_626:
	s_mov_b64 s[0:1], 0
.LBB46_627:
	s_andn2_b64 vcc, exec, s[0:1]
	s_cbranch_vccnz .LBB46_647
; %bb.628:
	v_mov_b32_e32 v7, 2
	v_cmp_lt_i16_sdwa s[0:1], v4, v7 src0_sel:BYTE_0 src1_sel:DWORD
	s_and_b64 vcc, exec, s[0:1]
	s_cbranch_vccnz .LBB46_632
; %bb.629:
	v_mov_b32_e32 v7, 3
	v_cmp_lt_i16_sdwa s[0:1], v4, v7 src0_sel:BYTE_0 src1_sel:DWORD
	s_and_b64 vcc, exec, s[0:1]
	s_cbranch_vccnz .LBB46_633
; %bb.630:
	v_cmp_gt_i16_sdwa s[0:1], v4, v7 src0_sel:BYTE_0 src1_sel:DWORD
	s_and_b64 vcc, exec, s[0:1]
	s_cbranch_vccz .LBB46_634
; %bb.631:
	global_load_dwordx2 v[8:9], v[0:1], off
	s_movk_i32 s0, 0x7fff
	s_waitcnt vmcnt(0)
	v_xor_b32_e32 v10, v8, v9
	v_ffbh_i32_e32 v7, v9
	v_ashrrev_i32_e32 v10, 31, v10
	v_add_u32_e32 v7, -1, v7
	v_add_u32_e32 v10, 32, v10
	v_min_u32_e32 v7, v7, v10
	v_lshlrev_b64 v[8:9], v7, v[8:9]
	v_min_u32_e32 v8, 1, v8
	v_or_b32_e32 v8, v9, v8
	v_cvt_f32_i32_e32 v8, v8
	v_sub_u32_e32 v7, 32, v7
	v_ldexp_f32 v7, v8, v7
	v_bfe_u32 v8, v7, 16, 1
	v_add3_u32 v7, v7, v8, s0
	v_lshrrev_b32_e32 v8, 16, v7
	s_mov_b64 s[0:1], 0
	s_branch .LBB46_635
.LBB46_632:
	s_mov_b64 s[0:1], -1
                                        ; implicit-def: $vgpr8
	s_branch .LBB46_641
.LBB46_633:
	s_mov_b64 s[0:1], -1
                                        ; implicit-def: $vgpr8
	s_branch .LBB46_638
.LBB46_634:
	s_mov_b64 s[0:1], -1
                                        ; implicit-def: $vgpr8
.LBB46_635:
	s_andn2_b64 vcc, exec, s[0:1]
	s_cbranch_vccnz .LBB46_637
; %bb.636:
	global_load_dword v7, v[0:1], off
	s_movk_i32 s0, 0x7fff
	s_waitcnt vmcnt(0)
	v_cvt_f32_i32_e32 v7, v7
	v_bfe_u32 v8, v7, 16, 1
	v_add3_u32 v7, v7, v8, s0
	v_lshrrev_b32_e32 v8, 16, v7
.LBB46_637:
	s_mov_b64 s[0:1], 0
.LBB46_638:
	s_andn2_b64 vcc, exec, s[0:1]
	s_cbranch_vccnz .LBB46_640
; %bb.639:
	global_load_sshort v7, v[0:1], off
	s_movk_i32 s0, 0x7fff
	s_waitcnt vmcnt(0)
	v_cvt_f32_i32_e32 v7, v7
	v_bfe_u32 v8, v7, 16, 1
	v_add3_u32 v7, v7, v8, s0
	v_lshrrev_b32_e32 v8, 16, v7
.LBB46_640:
	s_mov_b64 s[0:1], 0
.LBB46_641:
	s_andn2_b64 vcc, exec, s[0:1]
	s_cbranch_vccnz .LBB46_647
; %bb.642:
	v_mov_b32_e32 v7, 0
	v_cmp_gt_i16_sdwa s[0:1], v4, v7 src0_sel:BYTE_0 src1_sel:DWORD
	s_and_b64 vcc, exec, s[0:1]
	s_cbranch_vccz .LBB46_644
; %bb.643:
	global_load_sbyte v7, v[0:1], off
	s_movk_i32 s0, 0x7fff
	s_waitcnt vmcnt(0)
	v_cvt_f32_i32_e32 v7, v7
	v_bfe_u32 v8, v7, 16, 1
	v_add3_u32 v7, v7, v8, s0
	v_lshrrev_b32_e32 v8, 16, v7
	s_mov_b64 s[0:1], 0
	s_branch .LBB46_645
.LBB46_644:
	s_mov_b64 s[0:1], -1
                                        ; implicit-def: $vgpr8
.LBB46_645:
	s_andn2_b64 vcc, exec, s[0:1]
	s_cbranch_vccnz .LBB46_647
; %bb.646:
	global_load_ubyte v0, v[0:1], off
	s_movk_i32 s0, 0x7fff
	s_waitcnt vmcnt(0)
	v_cvt_f32_ubyte0_e32 v0, v0
	v_bfe_u32 v1, v0, 16, 1
	v_add3_u32 v0, v0, v1, s0
	v_lshrrev_b32_e32 v8, 16, v0
.LBB46_647:
	s_mov_b64 s[0:1], -1
.LBB46_648:
	s_andn2_b64 vcc, exec, s[0:1]
	s_cbranch_vccnz .LBB46_656
; %bb.649:
	s_waitcnt vmcnt(0)
	v_and_b32_e32 v7, 0x7fff, v6
	v_and_b32_e32 v0, 0xffff8000, v8
	v_or_b32_e32 v6, v0, v7
	v_mul_lo_u32 v0, v3, s12
	v_ashrrev_i32_e32 v1, 31, v0
	v_mov_b32_e32 v8, s9
	v_add_co_u32_e32 v0, vcc, s8, v0
	v_addc_co_u32_e32 v1, vcc, v8, v1, vcc
	v_mov_b32_e32 v8, 11
	v_cmp_lt_i16_sdwa s[0:1], v2, v8 src0_sel:BYTE_0 src1_sel:DWORD
	s_and_b64 vcc, exec, s[0:1]
	s_cbranch_vccnz .LBB46_657
; %bb.650:
	v_mov_b32_e32 v8, 25
	v_cmp_gt_i16_sdwa s[0:1], v2, v8 src0_sel:BYTE_0 src1_sel:DWORD
	s_and_b64 vcc, exec, s[0:1]
	s_cbranch_vccz .LBB46_658
; %bb.651:
	v_mov_b32_e32 v8, 28
	v_cmp_gt_i16_sdwa s[0:1], v2, v8 src0_sel:BYTE_0 src1_sel:DWORD
	s_and_b64 vcc, exec, s[0:1]
	s_cbranch_vccz .LBB46_659
	;; [unrolled: 5-line block ×4, first 2 shown]
; %bb.654:
	v_mov_b32_e32 v8, 46
	v_cmp_eq_u16_sdwa s[28:29], v2, v8 src0_sel:BYTE_0 src1_sel:DWORD
	s_mov_b64 s[34:35], 0
	s_mov_b64 s[0:1], -1
	s_and_b64 vcc, exec, s[28:29]
	s_mov_b64 s[28:29], 0
	s_cbranch_vccz .LBB46_662
; %bb.655:
	v_and_b32_e32 v8, 0xffff, v6
	global_store_dword v[0:1], v8, off
	s_mov_b64 s[28:29], -1
	s_mov_b64 s[0:1], 0
	s_branch .LBB46_662
.LBB46_656:
	s_mov_b64 s[34:35], 0
                                        ; implicit-def: $vgpr3
	s_mov_b64 s[0:1], s[6:7]
	s_branch .LBB46_772
.LBB46_657:
	s_mov_b64 s[34:35], -1
	s_mov_b64 s[28:29], 0
	s_mov_b64 s[0:1], s[6:7]
	s_branch .LBB46_731
.LBB46_658:
	s_mov_b64 s[34:35], -1
	s_mov_b64 s[28:29], 0
	s_mov_b64 s[0:1], s[6:7]
	s_branch .LBB46_689
.LBB46_659:
	s_mov_b64 s[34:35], -1
	s_mov_b64 s[28:29], 0
	s_mov_b64 s[0:1], s[6:7]
	s_branch .LBB46_672
.LBB46_660:
	s_mov_b64 s[34:35], -1
	s_mov_b64 s[28:29], 0
	s_mov_b64 s[0:1], s[6:7]
	s_branch .LBB46_668
.LBB46_661:
	s_mov_b64 s[34:35], -1
	s_mov_b64 s[28:29], 0
	s_mov_b64 s[0:1], s[6:7]
.LBB46_662:
	s_and_b64 vcc, exec, s[34:35]
	s_cbranch_vccz .LBB46_667
; %bb.663:
	v_mov_b32_e32 v8, 44
	v_cmp_eq_u16_sdwa s[34:35], v2, v8 src0_sel:BYTE_0 src1_sel:DWORD
	s_mov_b64 s[0:1], -1
	s_and_b64 vcc, exec, s[34:35]
	s_cbranch_vccz .LBB46_667
; %bb.664:
	v_and_b32_e32 v9, 0xffff, v6
	v_bfe_u32 v8, v9, 7, 8
	s_movk_i32 s0, 0xff
	v_cmp_ne_u32_e32 vcc, s0, v8
	v_mov_b32_e32 v10, 0xff
	s_and_saveexec_b64 s[28:29], vcc
; %bb.665:
	v_lshlrev_b32_e32 v11, 16, v9
	s_mov_b32 s0, 0x3f0000
	v_lshrrev_b32_e32 v10, 7, v9
	v_and_b32_e32 v9, 64, v9
	v_and_or_b32 v8, v11, s0, v8
	v_cmp_ne_u32_e32 vcc, 0, v9
	v_cmp_ne_u32_e64 s[0:1], 0, v8
	s_and_b64 s[0:1], vcc, s[0:1]
	v_cndmask_b32_e64 v8, 0, 1, s[0:1]
	v_add_u32_e32 v10, v10, v8
; %bb.666:
	s_or_b64 exec, exec, s[28:29]
	s_mov_b64 s[28:29], -1
	s_mov_b64 s[0:1], 0
	global_store_byte v[0:1], v10, off
.LBB46_667:
	s_mov_b64 s[34:35], 0
.LBB46_668:
	s_and_b64 vcc, exec, s[34:35]
	s_cbranch_vccz .LBB46_671
; %bb.669:
	v_mov_b32_e32 v8, 29
	v_cmp_eq_u16_sdwa s[34:35], v2, v8 src0_sel:BYTE_0 src1_sel:DWORD
	s_mov_b64 s[0:1], -1
	s_and_b64 vcc, exec, s[34:35]
	s_cbranch_vccz .LBB46_671
; %bb.670:
	v_lshlrev_b32_e32 v8, 16, v6
	v_trunc_f32_e32 v8, v8
	v_mul_f32_e32 v9, 0x2f800000, v8
	v_floor_f32_e32 v10, v9
	v_fmac_f32_e32 v8, 0xcf800000, v10
	v_cvt_u32_f32_e32 v9, v10
	v_cvt_u32_f32_e32 v8, v8
	s_mov_b64 s[28:29], -1
	s_mov_b64 s[0:1], 0
	s_mov_b64 s[34:35], 0
	global_store_dwordx2 v[0:1], v[8:9], off
	s_branch .LBB46_672
.LBB46_671:
	s_mov_b64 s[34:35], 0
.LBB46_672:
	s_and_b64 vcc, exec, s[34:35]
	s_cbranch_vccz .LBB46_688
; %bb.673:
	v_mov_b32_e32 v8, 27
	v_cmp_lt_i16_sdwa s[34:35], v2, v8 src0_sel:BYTE_0 src1_sel:DWORD
	s_mov_b64 s[28:29], -1
	s_and_b64 vcc, exec, s[34:35]
	s_cbranch_vccnz .LBB46_679
; %bb.674:
	v_cmp_gt_i16_sdwa s[34:35], v2, v8 src0_sel:BYTE_0 src1_sel:DWORD
	s_and_b64 vcc, exec, s[34:35]
	s_cbranch_vccz .LBB46_676
; %bb.675:
	v_lshlrev_b32_e32 v8, 16, v6
	v_cvt_u32_f32_e32 v8, v8
	s_mov_b64 s[28:29], 0
	global_store_dword v[0:1], v8, off
.LBB46_676:
	s_andn2_b64 vcc, exec, s[28:29]
	s_cbranch_vccnz .LBB46_678
; %bb.677:
	v_lshlrev_b32_e32 v8, 16, v6
	v_cvt_u32_f32_e32 v8, v8
	global_store_short v[0:1], v8, off
.LBB46_678:
	s_mov_b64 s[28:29], 0
.LBB46_679:
	s_andn2_b64 vcc, exec, s[28:29]
	s_cbranch_vccnz .LBB46_687
; %bb.680:
	v_lshlrev_b32_e32 v10, 16, v6
	v_and_b32_e32 v9, 0x7fffffff, v10
	s_mov_b32 s15, 0x43800000
	v_cmp_gt_u32_e32 vcc, s15, v9
	v_mov_b32_e32 v11, 0x80
	s_and_saveexec_b64 s[28:29], vcc
	s_cbranch_execz .LBB46_686
; %bb.681:
	s_mov_b32 s15, 0x3bffffff
	v_and_b32_e32 v8, 0xffff, v6
	v_cmp_lt_u32_e32 vcc, s15, v9
	s_mov_b64 s[34:35], 0
                                        ; implicit-def: $vgpr9
	s_and_saveexec_b64 s[36:37], vcc
	s_xor_b64 s[36:37], exec, s[36:37]
	s_cbranch_execz .LBB46_788
; %bb.682:
	v_bfe_u32 v9, v8, 4, 1
	s_mov_b32 s15, 0x487ffff
	v_add3_u32 v9, v10, v9, s15
	s_mov_b64 s[34:35], exec
	v_lshrrev_b32_e32 v9, 20, v9
                                        ; implicit-def: $vgpr10
	s_or_saveexec_b64 s[36:37], s[36:37]
                                        ; implicit-def: $sgpr15
	s_xor_b64 exec, exec, s[36:37]
	s_cbranch_execnz .LBB46_789
.LBB46_683:
	s_or_b64 exec, exec, s[36:37]
	v_mov_b32_e32 v11, s15
	s_and_saveexec_b64 s[36:37], s[34:35]
.LBB46_684:
	v_lshrrev_b32_e32 v8, 8, v8
	s_movk_i32 s15, 0x80
	v_and_or_b32 v11, v8, s15, v9
.LBB46_685:
	s_or_b64 exec, exec, s[36:37]
.LBB46_686:
	s_or_b64 exec, exec, s[28:29]
	global_store_byte v[0:1], v11, off
.LBB46_687:
	s_mov_b64 s[28:29], -1
.LBB46_688:
	s_mov_b64 s[34:35], 0
.LBB46_689:
	s_and_b64 vcc, exec, s[34:35]
	s_cbranch_vccz .LBB46_730
; %bb.690:
	v_mov_b32_e32 v8, 22
	v_cmp_gt_i16_sdwa s[36:37], v2, v8 src0_sel:BYTE_0 src1_sel:DWORD
	s_mov_b64 s[34:35], -1
	s_and_b64 vcc, exec, s[36:37]
	s_cbranch_vccz .LBB46_722
; %bb.691:
	v_mov_b32_e32 v8, 24
	v_cmp_lt_i16_sdwa s[34:35], v2, v8 src0_sel:BYTE_0 src1_sel:DWORD
	s_mov_b64 s[28:29], -1
	s_and_b64 vcc, exec, s[34:35]
	s_cbranch_vccnz .LBB46_711
; %bb.692:
	v_cmp_gt_i16_sdwa s[34:35], v2, v8 src0_sel:BYTE_0 src1_sel:DWORD
	s_and_b64 vcc, exec, s[34:35]
	s_cbranch_vccz .LBB46_700
; %bb.693:
	v_lshlrev_b32_e32 v10, 16, v6
	v_and_b32_e32 v9, 0x7fffffff, v10
	s_mov_b32 s15, 0x47800000
	v_cmp_gt_u32_e32 vcc, s15, v9
	v_mov_b32_e32 v11, 0x80
	s_and_saveexec_b64 s[28:29], vcc
	s_cbranch_execz .LBB46_699
; %bb.694:
	s_mov_b32 s15, 0x37ffffff
	v_and_b32_e32 v8, 0xffff, v6
	v_cmp_lt_u32_e32 vcc, s15, v9
	s_mov_b64 s[34:35], 0
                                        ; implicit-def: $vgpr9
	s_and_saveexec_b64 s[36:37], vcc
	s_xor_b64 s[36:37], exec, s[36:37]
	s_cbranch_execz .LBB46_920
; %bb.695:
	v_bfe_u32 v9, v8, 5, 1
	s_mov_b32 s15, 0x88fffff
	v_add3_u32 v9, v10, v9, s15
	s_mov_b64 s[34:35], exec
	v_lshrrev_b32_e32 v9, 21, v9
                                        ; implicit-def: $vgpr10
	s_or_saveexec_b64 s[36:37], s[36:37]
                                        ; implicit-def: $sgpr15
	s_xor_b64 exec, exec, s[36:37]
	s_cbranch_execnz .LBB46_921
.LBB46_696:
	s_or_b64 exec, exec, s[36:37]
	v_mov_b32_e32 v11, s15
	s_and_saveexec_b64 s[36:37], s[34:35]
.LBB46_697:
	v_lshrrev_b32_e32 v8, 8, v8
	s_movk_i32 s15, 0x80
	v_and_or_b32 v11, v8, s15, v9
.LBB46_698:
	s_or_b64 exec, exec, s[36:37]
.LBB46_699:
	s_or_b64 exec, exec, s[28:29]
	s_mov_b64 s[28:29], 0
	global_store_byte v[0:1], v11, off
.LBB46_700:
	s_and_b64 vcc, exec, s[28:29]
	s_cbranch_vccz .LBB46_710
; %bb.701:
	v_lshlrev_b32_e32 v10, 16, v6
	v_and_b32_e32 v11, 0x7fffffff, v10
	s_mov_b32 s15, 0x43f00000
	v_and_b32_e32 v8, 0xffff, v6
	v_cmp_gt_u32_e32 vcc, s15, v11
                                        ; implicit-def: $vgpr9
	s_and_saveexec_b64 s[28:29], vcc
	s_xor_b64 s[28:29], exec, s[28:29]
	s_cbranch_execz .LBB46_707
; %bb.702:
	s_mov_b32 s15, 0x3c7fffff
	v_cmp_lt_u32_e32 vcc, s15, v11
                                        ; implicit-def: $vgpr9
	s_and_saveexec_b64 s[34:35], vcc
	s_xor_b64 s[34:35], exec, s[34:35]
; %bb.703:
	v_bfe_u32 v9, v8, 4, 1
	s_mov_b32 s15, 0x407ffff
	v_add3_u32 v9, v10, v9, s15
	v_lshrrev_b32_e32 v10, 20, v9
	v_and_b32_e32 v9, 0xff00000, v9
	s_mov_b32 s15, 0x7f00000
	v_mov_b32_e32 v11, 0x7e
	v_cmp_ne_u32_e32 vcc, s15, v9
	v_cndmask_b32_e32 v9, v11, v10, vcc
                                        ; implicit-def: $vgpr10
; %bb.704:
	s_andn2_saveexec_b64 s[34:35], s[34:35]
; %bb.705:
	s_mov_b32 s15, 0x46800000
	v_add_f32_e64 v9, |v10|, s15
; %bb.706:
	s_or_b64 exec, exec, s[34:35]
                                        ; implicit-def: $vgpr11
.LBB46_707:
	s_andn2_saveexec_b64 s[28:29], s[28:29]
; %bb.708:
	s_mov_b32 s15, 0x7f800000
	v_mov_b32_e32 v9, 0x7e
	v_mov_b32_e32 v10, 0x7f
	v_cmp_lt_u32_e32 vcc, s15, v11
	v_cndmask_b32_e32 v9, v9, v10, vcc
; %bb.709:
	s_or_b64 exec, exec, s[28:29]
	v_lshrrev_b32_e32 v8, 8, v8
	s_movk_i32 s15, 0x80
	v_and_or_b32 v8, v8, s15, v9
	global_store_byte v[0:1], v8, off
.LBB46_710:
	s_mov_b64 s[28:29], 0
.LBB46_711:
	s_andn2_b64 vcc, exec, s[28:29]
	s_cbranch_vccnz .LBB46_721
; %bb.712:
	v_lshlrev_b32_e32 v10, 16, v6
	v_and_b32_e32 v11, 0x7fffffff, v10
	s_mov_b32 s15, 0x47800000
	v_and_b32_e32 v8, 0xffff, v6
	v_cmp_gt_u32_e32 vcc, s15, v11
                                        ; implicit-def: $vgpr9
	s_and_saveexec_b64 s[28:29], vcc
	s_xor_b64 s[28:29], exec, s[28:29]
	s_cbranch_execz .LBB46_718
; %bb.713:
	s_mov_b32 s15, 0x387fffff
	v_cmp_lt_u32_e32 vcc, s15, v11
                                        ; implicit-def: $vgpr9
	s_and_saveexec_b64 s[34:35], vcc
	s_xor_b64 s[34:35], exec, s[34:35]
; %bb.714:
	v_bfe_u32 v9, v8, 5, 1
	s_mov_b32 s15, 0x80fffff
	v_add3_u32 v9, v10, v9, s15
	v_lshrrev_b32_e32 v9, 21, v9
                                        ; implicit-def: $vgpr10
; %bb.715:
	s_andn2_saveexec_b64 s[34:35], s[34:35]
; %bb.716:
	s_mov_b32 s15, 0x43000000
	v_add_f32_e64 v9, |v10|, s15
; %bb.717:
	s_or_b64 exec, exec, s[34:35]
                                        ; implicit-def: $vgpr11
.LBB46_718:
	s_andn2_saveexec_b64 s[28:29], s[28:29]
; %bb.719:
	s_mov_b32 s15, 0x7f800000
	v_mov_b32_e32 v9, 0x7c
	v_mov_b32_e32 v10, 0x7f
	v_cmp_lt_u32_e32 vcc, s15, v11
	v_cndmask_b32_e32 v9, v9, v10, vcc
; %bb.720:
	s_or_b64 exec, exec, s[28:29]
	v_lshrrev_b32_e32 v8, 8, v8
	s_movk_i32 s15, 0x80
	v_and_or_b32 v8, v8, s15, v9
	global_store_byte v[0:1], v8, off
.LBB46_721:
	s_mov_b64 s[34:35], 0
	s_mov_b64 s[28:29], -1
.LBB46_722:
	s_andn2_b64 vcc, exec, s[34:35]
	s_cbranch_vccnz .LBB46_730
; %bb.723:
	v_mov_b32_e32 v8, 14
	v_cmp_gt_i16_sdwa s[36:37], v2, v8 src0_sel:BYTE_0 src1_sel:DWORD
	s_mov_b64 s[34:35], -1
	s_and_b64 vcc, exec, s[36:37]
	s_cbranch_vccz .LBB46_727
; %bb.724:
	v_mov_b32_e32 v8, 15
	v_cmp_eq_u16_sdwa s[34:35], v2, v8 src0_sel:BYTE_0 src1_sel:DWORD
	s_mov_b64 s[0:1], -1
	s_and_b64 vcc, exec, s[34:35]
	s_cbranch_vccz .LBB46_726
; %bb.725:
	global_store_short v[0:1], v6, off
	s_mov_b64 s[28:29], -1
	s_mov_b64 s[0:1], 0
.LBB46_726:
	s_mov_b64 s[34:35], 0
.LBB46_727:
	s_and_b64 vcc, exec, s[34:35]
	s_cbranch_vccz .LBB46_730
; %bb.728:
	v_mov_b32_e32 v8, 11
	v_cmp_eq_u16_sdwa s[34:35], v2, v8 src0_sel:BYTE_0 src1_sel:DWORD
	s_mov_b64 s[0:1], -1
	s_and_b64 vcc, exec, s[34:35]
	s_cbranch_vccz .LBB46_730
; %bb.729:
	v_cmp_ne_u16_e32 vcc, 0, v7
	v_cndmask_b32_e64 v7, 0, 1, vcc
	s_mov_b64 s[28:29], -1
	s_mov_b64 s[0:1], 0
	global_store_byte v[0:1], v7, off
.LBB46_730:
	s_mov_b64 s[34:35], 0
.LBB46_731:
	s_and_b64 vcc, exec, s[34:35]
	s_cbranch_vccz .LBB46_770
; %bb.732:
	v_mov_b32_e32 v7, 5
	v_cmp_lt_i16_sdwa s[34:35], v2, v7 src0_sel:BYTE_0 src1_sel:DWORD
	s_mov_b64 s[28:29], -1
	s_and_b64 vcc, exec, s[34:35]
	s_cbranch_vccnz .LBB46_753
; %bb.733:
	v_mov_b32_e32 v7, 8
	v_cmp_lt_i16_sdwa s[34:35], v2, v7 src0_sel:BYTE_0 src1_sel:DWORD
	s_and_b64 vcc, exec, s[34:35]
	s_cbranch_vccnz .LBB46_743
; %bb.734:
	v_mov_b32_e32 v7, 9
	v_cmp_lt_i16_sdwa s[34:35], v2, v7 src0_sel:BYTE_0 src1_sel:DWORD
	s_and_b64 vcc, exec, s[34:35]
	s_cbranch_vccnz .LBB46_740
; %bb.735:
	v_cmp_gt_i16_sdwa s[34:35], v2, v7 src0_sel:BYTE_0 src1_sel:DWORD
	s_and_b64 vcc, exec, s[34:35]
	s_cbranch_vccz .LBB46_737
; %bb.736:
	v_lshlrev_b32_e32 v7, 16, v6
	v_mov_b32_e32 v10, 0
	v_cvt_f64_f32_e32 v[8:9], v7
	v_mov_b32_e32 v11, v10
	s_mov_b64 s[28:29], 0
	global_store_dwordx4 v[0:1], v[8:11], off
.LBB46_737:
	s_andn2_b64 vcc, exec, s[28:29]
	s_cbranch_vccnz .LBB46_739
; %bb.738:
	v_lshlrev_b32_e32 v8, 16, v6
	v_mov_b32_e32 v9, 0
	global_store_dwordx2 v[0:1], v[8:9], off
.LBB46_739:
	s_mov_b64 s[28:29], 0
.LBB46_740:
	s_andn2_b64 vcc, exec, s[28:29]
	s_cbranch_vccnz .LBB46_742
; %bb.741:
	v_lshlrev_b32_e32 v7, 16, v6
	v_cvt_f16_f32_e32 v7, v7
	global_store_dword v[0:1], v7, off
.LBB46_742:
	s_mov_b64 s[28:29], 0
.LBB46_743:
	s_andn2_b64 vcc, exec, s[28:29]
	s_cbranch_vccnz .LBB46_752
; %bb.744:
	v_mov_b32_e32 v7, 6
	v_cmp_lt_i16_sdwa s[34:35], v2, v7 src0_sel:BYTE_0 src1_sel:DWORD
	s_mov_b64 s[28:29], -1
	s_and_b64 vcc, exec, s[34:35]
	s_cbranch_vccnz .LBB46_750
; %bb.745:
	v_cmp_gt_i16_sdwa s[34:35], v2, v7 src0_sel:BYTE_0 src1_sel:DWORD
	s_and_b64 vcc, exec, s[34:35]
	s_cbranch_vccz .LBB46_747
; %bb.746:
	v_lshlrev_b32_e32 v7, 16, v6
	v_cvt_f64_f32_e32 v[8:9], v7
	s_mov_b64 s[28:29], 0
	global_store_dwordx2 v[0:1], v[8:9], off
.LBB46_747:
	s_andn2_b64 vcc, exec, s[28:29]
	s_cbranch_vccnz .LBB46_749
; %bb.748:
	v_lshlrev_b32_e32 v7, 16, v6
	global_store_dword v[0:1], v7, off
.LBB46_749:
	s_mov_b64 s[28:29], 0
.LBB46_750:
	s_andn2_b64 vcc, exec, s[28:29]
	s_cbranch_vccnz .LBB46_752
; %bb.751:
	v_lshlrev_b32_e32 v7, 16, v6
	v_cvt_f16_f32_e32 v7, v7
	global_store_short v[0:1], v7, off
.LBB46_752:
	s_mov_b64 s[28:29], 0
.LBB46_753:
	s_andn2_b64 vcc, exec, s[28:29]
	s_cbranch_vccnz .LBB46_769
; %bb.754:
	v_mov_b32_e32 v7, 2
	v_cmp_lt_i16_sdwa s[34:35], v2, v7 src0_sel:BYTE_0 src1_sel:DWORD
	s_mov_b64 s[28:29], -1
	s_and_b64 vcc, exec, s[34:35]
	s_cbranch_vccnz .LBB46_764
; %bb.755:
	v_mov_b32_e32 v7, 3
	v_cmp_lt_i16_sdwa s[34:35], v2, v7 src0_sel:BYTE_0 src1_sel:DWORD
	s_and_b64 vcc, exec, s[34:35]
	s_cbranch_vccnz .LBB46_761
; %bb.756:
	v_cmp_gt_i16_sdwa s[34:35], v2, v7 src0_sel:BYTE_0 src1_sel:DWORD
	s_and_b64 vcc, exec, s[34:35]
	s_cbranch_vccz .LBB46_758
; %bb.757:
	v_lshlrev_b32_e32 v7, 16, v6
	v_trunc_f32_e32 v7, v7
	s_mov_b32 s15, 0x2f800000
	v_mul_f32_e64 v8, |v7|, s15
	v_floor_f32_e32 v8, v8
	s_mov_b32 s15, 0xcf800000
	v_cvt_u32_f32_e32 v9, v8
	v_fma_f32 v8, v8, s15, |v7|
	v_cvt_u32_f32_e32 v8, v8
	v_ashrrev_i32_e32 v7, 31, v7
	v_xor_b32_e32 v9, v9, v7
	s_mov_b64 s[28:29], 0
	v_xor_b32_e32 v8, v8, v7
	v_sub_co_u32_e32 v8, vcc, v8, v7
	v_subb_co_u32_e32 v9, vcc, v9, v7, vcc
	global_store_dwordx2 v[0:1], v[8:9], off
.LBB46_758:
	s_andn2_b64 vcc, exec, s[28:29]
	s_cbranch_vccnz .LBB46_760
; %bb.759:
	v_lshlrev_b32_e32 v7, 16, v6
	v_cvt_i32_f32_e32 v7, v7
	global_store_dword v[0:1], v7, off
.LBB46_760:
	s_mov_b64 s[28:29], 0
.LBB46_761:
	s_andn2_b64 vcc, exec, s[28:29]
	s_cbranch_vccnz .LBB46_763
; %bb.762:
	v_lshlrev_b32_e32 v7, 16, v6
	v_cvt_i32_f32_e32 v7, v7
	global_store_short v[0:1], v7, off
.LBB46_763:
	s_mov_b64 s[28:29], 0
.LBB46_764:
	s_andn2_b64 vcc, exec, s[28:29]
	s_cbranch_vccnz .LBB46_769
; %bb.765:
	v_mov_b32_e32 v7, 0
	v_cmp_gt_i16_sdwa s[34:35], v2, v7 src0_sel:BYTE_0 src1_sel:DWORD
	s_mov_b64 s[28:29], -1
	s_and_b64 vcc, exec, s[34:35]
	v_lshlrev_b32_e32 v6, 16, v6
	s_cbranch_vccz .LBB46_767
; %bb.766:
	v_cvt_i32_f32_e32 v7, v6
	s_mov_b64 s[28:29], 0
	global_store_byte v[0:1], v7, off
.LBB46_767:
	s_andn2_b64 vcc, exec, s[28:29]
	s_cbranch_vccnz .LBB46_769
; %bb.768:
	v_trunc_f32_e32 v6, v6
	s_mov_b32 s15, 0x2f800000
	v_mul_f32_e64 v7, |v6|, s15
	v_floor_f32_e32 v7, v7
	s_mov_b32 s15, 0xcf800000
	v_fma_f32 v7, v7, s15, |v6|
	v_cvt_u32_f32_e32 v7, v7
	v_ashrrev_i32_e32 v6, 31, v6
	v_xor_b32_e32 v7, v7, v6
	v_sub_u32_e32 v6, v7, v6
	global_store_byte v[0:1], v6, off
.LBB46_769:
	s_mov_b64 s[28:29], -1
.LBB46_770:
	s_andn2_b64 vcc, exec, s[28:29]
	s_cbranch_vccnz .LBB46_783
; %bb.771:
	v_add_u32_e32 v3, 0x80, v3
	s_mov_b64 s[34:35], -1
.LBB46_772:
	s_andn2_b64 s[28:29], s[6:7], exec
	s_and_b64 s[0:1], s[0:1], exec
	s_or_b64 s[28:29], s[28:29], s[0:1]
	s_andn2_b64 s[0:1], s[18:19], exec
	s_and_b64 s[26:27], s[26:27], exec
	s_or_b64 s[26:27], s[0:1], s[26:27]
	;; [unrolled: 3-line block ×3, first 2 shown]
	s_orn2_b64 s[0:1], s[34:35], exec
.LBB46_773:
	s_or_b64 exec, exec, s[30:31]
	s_mov_b64 s[34:35], 0
	s_mov_b64 s[36:37], 0
	;; [unrolled: 1-line block ×3, first 2 shown]
                                        ; implicit-def: $vgpr7
                                        ; implicit-def: $vgpr0_vgpr1
                                        ; implicit-def: $vgpr6
	s_and_saveexec_b64 s[30:31], s[0:1]
	s_cbranch_execz .LBB46_1247
; %bb.774:
	v_cmp_gt_i32_e32 vcc, s33, v3
	s_mov_b64 s[46:47], -1
	s_mov_b64 s[0:1], s[24:25]
	s_mov_b64 s[38:39], s[26:27]
	s_mov_b64 s[40:41], s[28:29]
	s_and_saveexec_b64 s[34:35], vcc
	s_cbranch_execz .LBB46_1162
; %bb.775:
	v_mul_lo_u32 v0, v3, s13
	v_ashrrev_i32_e32 v1, 31, v0
	s_waitcnt vmcnt(0)
	v_mov_b32_e32 v6, s11
	v_add_co_u32_e32 v0, vcc, s10, v0
	v_addc_co_u32_e32 v1, vcc, v6, v1, vcc
	v_mov_b32_e32 v6, 11
	v_cmp_lt_i16_sdwa s[0:1], v5, v6 src0_sel:BYTE_0 src1_sel:DWORD
	s_and_b64 vcc, exec, s[0:1]
	s_cbranch_vccnz .LBB46_782
; %bb.776:
	v_mov_b32_e32 v6, 25
	v_cmp_gt_i16_sdwa s[0:1], v5, v6 src0_sel:BYTE_0 src1_sel:DWORD
	s_and_b64 vcc, exec, s[0:1]
	s_cbranch_vccz .LBB46_784
; %bb.777:
	v_mov_b32_e32 v6, 28
	v_cmp_gt_i16_sdwa s[0:1], v5, v6 src0_sel:BYTE_0 src1_sel:DWORD
	s_and_b64 vcc, exec, s[0:1]
	s_cbranch_vccz .LBB46_785
	;; [unrolled: 5-line block ×4, first 2 shown]
; %bb.780:
	v_mov_b32_e32 v6, 46
	v_cmp_eq_u16_sdwa s[0:1], v5, v6 src0_sel:BYTE_0 src1_sel:DWORD
	s_mov_b64 s[38:39], 0
	s_and_b64 vcc, exec, s[0:1]
	s_cbranch_vccz .LBB46_790
; %bb.781:
	global_load_dword v6, v[0:1], off
	s_mov_b64 s[0:1], -1
	s_branch .LBB46_791
.LBB46_782:
	s_mov_b64 s[38:39], -1
	s_mov_b64 s[0:1], 0
                                        ; implicit-def: $vgpr6
	s_mov_b64 s[36:37], s[24:25]
	s_branch .LBB46_856
.LBB46_783:
	s_mov_b64 s[34:35], 0
	s_branch .LBB46_530
.LBB46_784:
	s_mov_b64 s[38:39], -1
	s_mov_b64 s[0:1], 0
	s_mov_b64 s[36:37], s[24:25]
                                        ; implicit-def: $vgpr6
	s_branch .LBB46_820
.LBB46_785:
	s_mov_b64 s[38:39], -1
	s_mov_b64 s[0:1], 0
	s_mov_b64 s[36:37], s[24:25]
                                        ; implicit-def: $vgpr6
	s_branch .LBB46_801
.LBB46_786:
	s_mov_b64 s[38:39], -1
	s_mov_b64 s[0:1], 0
	s_mov_b64 s[36:37], s[24:25]
                                        ; implicit-def: $vgpr6
	s_branch .LBB46_796
.LBB46_787:
	s_mov_b64 s[38:39], -1
	s_mov_b64 s[0:1], 0
	s_mov_b64 s[36:37], s[24:25]
                                        ; implicit-def: $vgpr6
	s_branch .LBB46_791
.LBB46_788:
	s_or_saveexec_b64 s[36:37], s[36:37]
                                        ; implicit-def: $sgpr15
	s_xor_b64 exec, exec, s[36:37]
	s_cbranch_execz .LBB46_683
.LBB46_789:
	s_mov_b32 s15, 0x46000000
	v_add_f32_e64 v9, |v10|, s15
	v_and_b32_e32 v9, 0xff, v9
	v_cmp_ne_u32_e32 vcc, 0, v9
	s_andn2_b64 s[34:35], s[34:35], exec
	s_and_b64 s[38:39], vcc, exec
	s_mov_b32 s15, 0
	s_or_b64 s[34:35], s[34:35], s[38:39]
	s_or_b64 exec, exec, s[36:37]
	v_mov_b32_e32 v11, s15
	s_and_saveexec_b64 s[36:37], s[34:35]
	s_cbranch_execnz .LBB46_684
	s_branch .LBB46_685
.LBB46_790:
	s_mov_b64 s[36:37], -1
                                        ; implicit-def: $vgpr6
	s_mov_b64 s[0:1], 0
.LBB46_791:
	s_and_b64 vcc, exec, s[38:39]
	s_cbranch_vccz .LBB46_795
; %bb.792:
	s_waitcnt vmcnt(0)
	v_mov_b32_e32 v6, 44
	v_cmp_eq_u16_sdwa s[36:37], v5, v6 src0_sel:BYTE_0 src1_sel:DWORD
	s_and_b64 vcc, exec, s[36:37]
	s_cbranch_vccz .LBB46_794
; %bb.793:
	global_load_ubyte v6, v[0:1], off
	s_movk_i32 s15, 0xff
	v_mov_b32_e32 v7, 0x7f800001
	v_mov_b32_e32 v8, 0x400000
	;; [unrolled: 1-line block ×3, first 2 shown]
	s_mov_b64 s[0:1], -1
	s_mov_b64 s[36:37], 0
	s_waitcnt vmcnt(0)
	v_lshlrev_b32_e32 v10, 23, v6
	v_cmp_ne_u32_e32 vcc, s15, v6
	v_cndmask_b32_e32 v7, v7, v10, vcc
	v_cmp_ne_u32_e32 vcc, 0, v6
	v_cndmask_b32_e32 v6, v8, v7, vcc
	v_add_u32_e32 v7, 0x7fff, v6
	v_lshrrev_b32_e32 v7, 16, v7
	v_cmp_o_f32_e32 vcc, v6, v6
	v_cndmask_b32_e32 v6, v9, v7, vcc
	s_branch .LBB46_795
.LBB46_794:
	s_mov_b64 s[36:37], -1
                                        ; implicit-def: $vgpr6
.LBB46_795:
	s_mov_b64 s[38:39], 0
.LBB46_796:
	s_and_b64 vcc, exec, s[38:39]
	s_cbranch_vccz .LBB46_800
; %bb.797:
	s_waitcnt vmcnt(0)
	v_mov_b32_e32 v6, 29
	v_cmp_eq_u16_sdwa s[36:37], v5, v6 src0_sel:BYTE_0 src1_sel:DWORD
	s_and_b64 vcc, exec, s[36:37]
	s_cbranch_vccz .LBB46_799
; %bb.798:
	global_load_dwordx2 v[6:7], v[0:1], off
	s_movk_i32 s15, 0x7fff
	s_mov_b64 s[0:1], -1
	s_mov_b64 s[36:37], 0
	s_mov_b64 s[38:39], 0
	s_waitcnt vmcnt(0)
	v_ffbh_u32_e32 v8, v7
	v_min_u32_e32 v8, 32, v8
	v_lshlrev_b64 v[6:7], v8, v[6:7]
	v_min_u32_e32 v6, 1, v6
	v_or_b32_e32 v6, v7, v6
	v_cvt_f32_u32_e32 v6, v6
	v_sub_u32_e32 v7, 32, v8
	v_ldexp_f32 v6, v6, v7
	v_bfe_u32 v7, v6, 16, 1
	v_add3_u32 v6, v6, v7, s15
	v_lshrrev_b32_e32 v6, 16, v6
	s_branch .LBB46_801
.LBB46_799:
	s_mov_b64 s[36:37], -1
                                        ; implicit-def: $vgpr6
.LBB46_800:
	s_mov_b64 s[38:39], 0
.LBB46_801:
	s_and_b64 vcc, exec, s[38:39]
	s_cbranch_vccz .LBB46_819
; %bb.802:
	s_waitcnt vmcnt(0)
	v_mov_b32_e32 v6, 27
	v_cmp_lt_i16_sdwa s[0:1], v5, v6 src0_sel:BYTE_0 src1_sel:DWORD
	s_and_b64 vcc, exec, s[0:1]
	s_cbranch_vccnz .LBB46_805
; %bb.803:
	v_cmp_gt_i16_sdwa s[0:1], v5, v6 src0_sel:BYTE_0 src1_sel:DWORD
	s_and_b64 vcc, exec, s[0:1]
	s_cbranch_vccz .LBB46_806
; %bb.804:
	global_load_dword v6, v[0:1], off
	s_movk_i32 s0, 0x7fff
	s_waitcnt vmcnt(0)
	v_cvt_f32_u32_e32 v6, v6
	v_bfe_u32 v7, v6, 16, 1
	v_add3_u32 v6, v6, v7, s0
	v_lshrrev_b32_e32 v6, 16, v6
	s_mov_b64 s[0:1], 0
	s_branch .LBB46_807
.LBB46_805:
	s_mov_b64 s[0:1], -1
                                        ; implicit-def: $vgpr6
	s_branch .LBB46_810
.LBB46_806:
	s_mov_b64 s[0:1], -1
                                        ; implicit-def: $vgpr6
.LBB46_807:
	s_andn2_b64 vcc, exec, s[0:1]
	s_cbranch_vccnz .LBB46_809
; %bb.808:
	global_load_ushort v6, v[0:1], off
	s_movk_i32 s0, 0x7fff
	s_waitcnt vmcnt(0)
	v_cvt_f32_u32_e32 v6, v6
	v_bfe_u32 v7, v6, 16, 1
	v_add3_u32 v6, v6, v7, s0
	v_lshrrev_b32_e32 v6, 16, v6
.LBB46_809:
	s_mov_b64 s[0:1], 0
.LBB46_810:
	s_andn2_b64 vcc, exec, s[0:1]
	s_cbranch_vccnz .LBB46_818
; %bb.811:
	global_load_ubyte v6, v[0:1], off
	s_movk_i32 s0, 0x7f
                                        ; implicit-def: $sgpr15
	s_waitcnt vmcnt(0)
	v_cmp_lt_i16_e32 vcc, s0, v6
	s_mov_b64 s[0:1], 0
	s_and_saveexec_b64 s[38:39], vcc
	s_xor_b64 s[38:39], exec, s[38:39]
	s_cbranch_execz .LBB46_832
; %bb.812:
	s_movk_i32 s0, 0x80
	v_cmp_eq_u16_e32 vcc, s0, v6
	s_mov_b64 s[0:1], -1
                                        ; implicit-def: $sgpr15
	s_and_saveexec_b64 s[40:41], vcc
; %bb.813:
	s_mov_b32 s15, 0x7f800001
	s_xor_b64 s[0:1], exec, -1
; %bb.814:
	s_or_b64 exec, exec, s[40:41]
	s_and_b64 s[0:1], s[0:1], exec
	s_or_saveexec_b64 s[38:39], s[38:39]
	v_mov_b32_e32 v7, s15
	s_xor_b64 exec, exec, s[38:39]
	s_cbranch_execnz .LBB46_833
.LBB46_815:
	s_or_b64 exec, exec, s[38:39]
	s_and_saveexec_b64 s[38:39], s[0:1]
	s_cbranch_execz .LBB46_817
.LBB46_816:
	v_lshlrev_b32_e32 v7, 24, v6
	v_and_b32_e32 v6, 0xffff, v6
	v_and_b32_e32 v8, 7, v6
	v_ffbh_u32_e32 v10, v8
	v_min_u32_e32 v10, 32, v10
	v_subrev_u32_e32 v11, 28, v10
	v_bfe_u32 v9, v6, 3, 4
	v_lshlrev_b32_e32 v6, v11, v6
	v_sub_u32_e32 v10, 29, v10
	v_and_b32_e32 v6, 7, v6
	v_cmp_eq_u32_e32 vcc, 0, v9
	v_cndmask_b32_e32 v9, v9, v10, vcc
	v_cndmask_b32_e32 v6, v8, v6, vcc
	v_mov_b32_e32 v8, 0x3b800000
	v_lshlrev_b32_e32 v6, 20, v6
	v_and_b32_e32 v7, 0x80000000, v7
	v_lshl_add_u32 v8, v9, 23, v8
	v_or3_b32 v7, v7, v8, v6
.LBB46_817:
	s_or_b64 exec, exec, s[38:39]
	v_bfe_u32 v6, v7, 16, 1
	s_movk_i32 s0, 0x7fff
	v_add3_u32 v6, v7, v6, s0
	v_lshrrev_b32_e32 v6, 16, v6
	v_mov_b32_e32 v8, 0x7fc0
	v_cmp_o_f32_e32 vcc, v7, v7
	v_cndmask_b32_e32 v6, v8, v6, vcc
.LBB46_818:
	s_mov_b64 s[0:1], -1
.LBB46_819:
	s_mov_b64 s[38:39], 0
.LBB46_820:
	s_and_b64 vcc, exec, s[38:39]
	s_cbranch_vccz .LBB46_855
; %bb.821:
	s_waitcnt vmcnt(0)
	v_mov_b32_e32 v6, 22
	v_cmp_gt_i16_sdwa s[38:39], v5, v6 src0_sel:BYTE_0 src1_sel:DWORD
	s_and_b64 vcc, exec, s[38:39]
	s_cbranch_vccz .LBB46_831
; %bb.822:
	v_mov_b32_e32 v6, 24
	v_cmp_lt_i16_sdwa s[0:1], v5, v6 src0_sel:BYTE_0 src1_sel:DWORD
	s_and_b64 vcc, exec, s[0:1]
	s_cbranch_vccnz .LBB46_834
; %bb.823:
	v_cmp_gt_i16_sdwa s[0:1], v5, v6 src0_sel:BYTE_0 src1_sel:DWORD
	s_and_b64 vcc, exec, s[0:1]
	s_cbranch_vccz .LBB46_835
; %bb.824:
	global_load_ubyte v6, v[0:1], off
	s_movk_i32 s0, 0x7f
                                        ; implicit-def: $sgpr15
	s_waitcnt vmcnt(0)
	v_cmp_lt_i16_e32 vcc, s0, v6
	s_mov_b64 s[0:1], 0
	s_and_saveexec_b64 s[38:39], vcc
	s_xor_b64 s[38:39], exec, s[38:39]
	s_cbranch_execz .LBB46_847
; %bb.825:
	s_movk_i32 s0, 0x80
	v_cmp_eq_u16_e32 vcc, s0, v6
	s_mov_b64 s[0:1], -1
                                        ; implicit-def: $sgpr15
	s_and_saveexec_b64 s[40:41], vcc
; %bb.826:
	s_mov_b32 s15, 0x7f800001
	s_xor_b64 s[0:1], exec, -1
; %bb.827:
	s_or_b64 exec, exec, s[40:41]
	s_and_b64 s[0:1], s[0:1], exec
	s_or_saveexec_b64 s[38:39], s[38:39]
	v_mov_b32_e32 v7, s15
	s_xor_b64 exec, exec, s[38:39]
	s_cbranch_execnz .LBB46_848
.LBB46_828:
	s_or_b64 exec, exec, s[38:39]
	s_and_saveexec_b64 s[38:39], s[0:1]
	s_cbranch_execz .LBB46_830
.LBB46_829:
	v_lshlrev_b32_e32 v7, 24, v6
	v_and_b32_e32 v6, 0xffff, v6
	v_and_b32_e32 v8, 3, v6
	v_ffbh_u32_e32 v10, v8
	v_min_u32_e32 v10, 32, v10
	v_subrev_u32_e32 v11, 29, v10
	v_bfe_u32 v9, v6, 2, 5
	v_lshlrev_b32_e32 v6, v11, v6
	v_sub_u32_e32 v10, 30, v10
	v_and_b32_e32 v6, 3, v6
	v_cmp_eq_u32_e32 vcc, 0, v9
	v_cndmask_b32_e32 v9, v9, v10, vcc
	v_cndmask_b32_e32 v6, v8, v6, vcc
	v_mov_b32_e32 v8, 0x37800000
	v_lshlrev_b32_e32 v6, 21, v6
	v_and_b32_e32 v7, 0x80000000, v7
	v_lshl_add_u32 v8, v9, 23, v8
	v_or3_b32 v7, v7, v8, v6
.LBB46_830:
	s_or_b64 exec, exec, s[38:39]
	v_bfe_u32 v6, v7, 16, 1
	s_movk_i32 s0, 0x7fff
	v_add3_u32 v6, v7, v6, s0
	v_lshrrev_b32_e32 v6, 16, v6
	v_mov_b32_e32 v8, 0x7fc0
	v_cmp_o_f32_e32 vcc, v7, v7
	v_cndmask_b32_e32 v6, v8, v6, vcc
	s_mov_b64 s[0:1], 0
	s_branch .LBB46_836
.LBB46_831:
	s_mov_b64 s[38:39], -1
                                        ; implicit-def: $vgpr6
	s_branch .LBB46_842
.LBB46_832:
	s_or_saveexec_b64 s[38:39], s[38:39]
	v_mov_b32_e32 v7, s15
	s_xor_b64 exec, exec, s[38:39]
	s_cbranch_execz .LBB46_815
.LBB46_833:
	v_cmp_ne_u16_e32 vcc, 0, v6
	s_andn2_b64 s[0:1], s[0:1], exec
	s_and_b64 s[40:41], vcc, exec
	v_mov_b32_e32 v7, 0
	s_or_b64 s[0:1], s[0:1], s[40:41]
	s_or_b64 exec, exec, s[38:39]
	s_and_saveexec_b64 s[38:39], s[0:1]
	s_cbranch_execnz .LBB46_816
	s_branch .LBB46_817
.LBB46_834:
	s_mov_b64 s[0:1], -1
                                        ; implicit-def: $vgpr6
	s_branch .LBB46_839
.LBB46_835:
	s_mov_b64 s[0:1], -1
                                        ; implicit-def: $vgpr6
.LBB46_836:
	s_and_b64 vcc, exec, s[0:1]
	s_cbranch_vccz .LBB46_838
; %bb.837:
	global_load_ubyte v6, v[0:1], off
	s_mov_b32 s0, 0x7f800000
	s_brev_b32 s1, 1
	s_movk_i32 s15, 0x7fff
	v_mov_b32_e32 v7, 0x7fc0
	s_waitcnt vmcnt(0)
	v_lshlrev_b32_e32 v6, 24, v6
	v_and_b32_e32 v8, 0x7f000000, v6
	v_ffbh_u32_e32 v9, v8
	v_min_u32_e32 v9, 32, v9
	v_sub_u32_e64 v9, v9, 4 clamp
	v_lshlrev_b32_e32 v11, v9, v8
	v_lshlrev_b32_e32 v9, 23, v9
	v_lshrrev_b32_e32 v11, 4, v11
	v_add_u32_e32 v10, 0x1000000, v8
	v_sub_u32_e32 v9, v11, v9
	v_ashrrev_i32_e32 v10, 8, v10
	v_add_u32_e32 v9, 0x3c000000, v9
	v_and_or_b32 v9, v10, s0, v9
	v_cmp_ne_u32_e32 vcc, 0, v8
	v_cndmask_b32_e32 v8, 0, v9, vcc
	v_and_or_b32 v6, v6, s1, v8
	v_bfe_u32 v8, v8, 16, 1
	v_add3_u32 v8, v6, v8, s15
	v_lshrrev_b32_e32 v8, 16, v8
	v_cmp_o_f32_e32 vcc, v6, v6
	v_cndmask_b32_e32 v6, v7, v8, vcc
.LBB46_838:
	s_mov_b64 s[0:1], 0
.LBB46_839:
	s_andn2_b64 vcc, exec, s[0:1]
	s_cbranch_vccnz .LBB46_841
; %bb.840:
	global_load_ubyte v6, v[0:1], off
	s_movk_i32 s0, 0x7f00
	s_brev_b32 s1, 16
	s_brev_b32 s15, 1
	s_movk_i32 s38, 0x7fff
	v_mov_b32_e32 v7, 0x7fc0
	s_waitcnt vmcnt(0)
	v_lshlrev_b16_e32 v8, 8, v6
	v_lshlrev_b32_e32 v6, 25, v6
	v_lshrrev_b32_e32 v9, 4, v6
	v_and_or_b32 v10, v8, s0, 0.5
	v_or_b32_e32 v9, 0x70000000, v9
	v_add_f32_e32 v10, -0.5, v10
	v_mul_f32_e32 v9, 0x7800000, v9
	v_cmp_gt_u32_e32 vcc, s1, v6
	v_bfe_i32 v8, v8, 0, 16
	v_cndmask_b32_e32 v6, v9, v10, vcc
	v_and_or_b32 v8, v8, s15, v6
	v_bfe_u32 v6, v6, 16, 1
	v_add3_u32 v6, v8, v6, s38
	v_lshrrev_b32_e32 v6, 16, v6
	v_cmp_o_f32_e32 vcc, v8, v8
	v_cndmask_b32_e32 v6, v7, v6, vcc
.LBB46_841:
	s_mov_b64 s[38:39], 0
	s_mov_b64 s[0:1], -1
.LBB46_842:
	s_andn2_b64 vcc, exec, s[38:39]
	s_cbranch_vccnz .LBB46_855
; %bb.843:
	v_mov_b32_e32 v6, 14
	v_cmp_gt_i16_sdwa s[38:39], v5, v6 src0_sel:BYTE_0 src1_sel:DWORD
	s_and_b64 vcc, exec, s[38:39]
	s_cbranch_vccz .LBB46_846
; %bb.844:
	v_mov_b32_e32 v6, 15
	v_cmp_eq_u16_sdwa s[36:37], v5, v6 src0_sel:BYTE_0 src1_sel:DWORD
	s_and_b64 vcc, exec, s[36:37]
	s_cbranch_vccz .LBB46_849
; %bb.845:
	global_load_ushort v6, v[0:1], off
	s_mov_b64 s[0:1], -1
	s_mov_b64 s[36:37], 0
	s_branch .LBB46_850
.LBB46_846:
	s_mov_b64 s[38:39], -1
                                        ; implicit-def: $vgpr6
	s_branch .LBB46_851
.LBB46_847:
	s_or_saveexec_b64 s[38:39], s[38:39]
	v_mov_b32_e32 v7, s15
	s_xor_b64 exec, exec, s[38:39]
	s_cbranch_execz .LBB46_828
.LBB46_848:
	v_cmp_ne_u16_e32 vcc, 0, v6
	s_andn2_b64 s[0:1], s[0:1], exec
	s_and_b64 s[40:41], vcc, exec
	v_mov_b32_e32 v7, 0
	s_or_b64 s[0:1], s[0:1], s[40:41]
	s_or_b64 exec, exec, s[38:39]
	s_and_saveexec_b64 s[38:39], s[0:1]
	s_cbranch_execnz .LBB46_829
	s_branch .LBB46_830
.LBB46_849:
	s_mov_b64 s[36:37], -1
                                        ; implicit-def: $vgpr6
.LBB46_850:
	s_mov_b64 s[38:39], 0
.LBB46_851:
	s_and_b64 vcc, exec, s[38:39]
	s_cbranch_vccz .LBB46_855
; %bb.852:
	s_waitcnt vmcnt(0)
	v_mov_b32_e32 v6, 11
	v_cmp_eq_u16_sdwa s[36:37], v5, v6 src0_sel:BYTE_0 src1_sel:DWORD
	s_and_b64 vcc, exec, s[36:37]
	s_cbranch_vccz .LBB46_854
; %bb.853:
	global_load_ubyte v6, v[0:1], off
	s_mov_b64 s[0:1], -1
	s_mov_b64 s[36:37], 0
	s_waitcnt vmcnt(0)
	v_cmp_ne_u16_e32 vcc, 0, v6
	v_cndmask_b32_e64 v6, 0, 1.0, vcc
	v_lshrrev_b32_e32 v6, 16, v6
	s_branch .LBB46_855
.LBB46_854:
	s_mov_b64 s[36:37], -1
                                        ; implicit-def: $vgpr6
.LBB46_855:
	s_mov_b64 s[38:39], 0
.LBB46_856:
	s_and_b64 vcc, exec, s[38:39]
	s_cbranch_vccz .LBB46_905
; %bb.857:
	s_waitcnt vmcnt(0)
	v_mov_b32_e32 v6, 5
	v_cmp_lt_i16_sdwa s[0:1], v5, v6 src0_sel:BYTE_0 src1_sel:DWORD
	s_and_b64 vcc, exec, s[0:1]
	s_cbranch_vccnz .LBB46_862
; %bb.858:
	v_mov_b32_e32 v6, 8
	v_cmp_lt_i16_sdwa s[0:1], v5, v6 src0_sel:BYTE_0 src1_sel:DWORD
	s_and_b64 vcc, exec, s[0:1]
	s_cbranch_vccnz .LBB46_863
; %bb.859:
	v_mov_b32_e32 v6, 9
	v_cmp_lt_i16_sdwa s[0:1], v5, v6 src0_sel:BYTE_0 src1_sel:DWORD
	s_and_b64 vcc, exec, s[0:1]
	s_cbranch_vccnz .LBB46_864
; %bb.860:
	v_cmp_gt_i16_sdwa s[0:1], v5, v6 src0_sel:BYTE_0 src1_sel:DWORD
	s_and_b64 vcc, exec, s[0:1]
	s_cbranch_vccz .LBB46_865
; %bb.861:
	global_load_dwordx2 v[6:7], v[0:1], off
	s_movk_i32 s0, 0x7fff
	v_mov_b32_e32 v8, 0x7fc0
	s_waitcnt vmcnt(0)
	v_cvt_f32_f64_e32 v6, v[6:7]
	v_bfe_u32 v7, v6, 16, 1
	v_add3_u32 v7, v6, v7, s0
	v_lshrrev_b32_e32 v7, 16, v7
	v_cmp_o_f32_e32 vcc, v6, v6
	v_cndmask_b32_e32 v6, v8, v7, vcc
	s_mov_b64 s[0:1], 0
	s_branch .LBB46_866
.LBB46_862:
	s_mov_b64 s[0:1], -1
                                        ; implicit-def: $vgpr6
	s_branch .LBB46_884
.LBB46_863:
	s_mov_b64 s[0:1], -1
                                        ; implicit-def: $vgpr6
	s_branch .LBB46_872
.LBB46_864:
	s_mov_b64 s[0:1], -1
                                        ; implicit-def: $vgpr6
	s_branch .LBB46_869
.LBB46_865:
	s_mov_b64 s[0:1], -1
                                        ; implicit-def: $vgpr6
.LBB46_866:
	s_andn2_b64 vcc, exec, s[0:1]
	s_cbranch_vccnz .LBB46_868
; %bb.867:
	global_load_dword v6, v[0:1], off
	s_movk_i32 s0, 0x7fff
	v_mov_b32_e32 v7, 0x7fc0
	s_waitcnt vmcnt(0)
	v_bfe_u32 v8, v6, 16, 1
	v_add3_u32 v8, v6, v8, s0
	v_lshrrev_b32_e32 v8, 16, v8
	v_cmp_o_f32_e32 vcc, v6, v6
	v_cndmask_b32_e32 v6, v7, v8, vcc
.LBB46_868:
	s_mov_b64 s[0:1], 0
.LBB46_869:
	s_andn2_b64 vcc, exec, s[0:1]
	s_cbranch_vccnz .LBB46_871
; %bb.870:
	global_load_dword v6, v[0:1], off
	s_movk_i32 s0, 0x7fff
	v_mov_b32_e32 v8, 0x7fc0
	s_waitcnt vmcnt(0)
	v_cvt_f32_f16_e32 v7, v6
	v_cmp_o_f16_e32 vcc, v6, v6
	v_bfe_u32 v9, v7, 16, 1
	v_add3_u32 v7, v7, v9, s0
	v_lshrrev_b32_e32 v7, 16, v7
	v_cndmask_b32_e32 v6, v8, v7, vcc
.LBB46_871:
	s_mov_b64 s[0:1], 0
.LBB46_872:
	s_andn2_b64 vcc, exec, s[0:1]
	s_cbranch_vccnz .LBB46_883
; %bb.873:
	v_mov_b32_e32 v6, 6
	v_cmp_lt_i16_sdwa s[0:1], v5, v6 src0_sel:BYTE_0 src1_sel:DWORD
	s_and_b64 vcc, exec, s[0:1]
	s_cbranch_vccnz .LBB46_876
; %bb.874:
	v_cmp_gt_i16_sdwa s[0:1], v5, v6 src0_sel:BYTE_0 src1_sel:DWORD
	s_and_b64 vcc, exec, s[0:1]
	s_cbranch_vccz .LBB46_877
; %bb.875:
	global_load_dwordx2 v[6:7], v[0:1], off
	s_movk_i32 s0, 0x7fff
	v_mov_b32_e32 v8, 0x7fc0
	s_waitcnt vmcnt(0)
	v_cvt_f32_f64_e32 v6, v[6:7]
	v_bfe_u32 v7, v6, 16, 1
	v_add3_u32 v7, v6, v7, s0
	v_lshrrev_b32_e32 v7, 16, v7
	v_cmp_o_f32_e32 vcc, v6, v6
	v_cndmask_b32_e32 v6, v8, v7, vcc
	s_mov_b64 s[0:1], 0
	s_branch .LBB46_878
.LBB46_876:
	s_mov_b64 s[0:1], -1
                                        ; implicit-def: $vgpr6
	s_branch .LBB46_881
.LBB46_877:
	s_mov_b64 s[0:1], -1
                                        ; implicit-def: $vgpr6
.LBB46_878:
	s_andn2_b64 vcc, exec, s[0:1]
	s_cbranch_vccnz .LBB46_880
; %bb.879:
	global_load_dword v6, v[0:1], off
	s_movk_i32 s0, 0x7fff
	v_mov_b32_e32 v7, 0x7fc0
	s_waitcnt vmcnt(0)
	v_bfe_u32 v8, v6, 16, 1
	v_add3_u32 v8, v6, v8, s0
	v_lshrrev_b32_e32 v8, 16, v8
	v_cmp_o_f32_e32 vcc, v6, v6
	v_cndmask_b32_e32 v6, v7, v8, vcc
.LBB46_880:
	s_mov_b64 s[0:1], 0
.LBB46_881:
	s_andn2_b64 vcc, exec, s[0:1]
	s_cbranch_vccnz .LBB46_883
; %bb.882:
	global_load_ushort v6, v[0:1], off
	s_movk_i32 s0, 0x7fff
	v_mov_b32_e32 v8, 0x7fc0
	s_waitcnt vmcnt(0)
	v_cvt_f32_f16_e32 v7, v6
	v_cmp_o_f16_e32 vcc, v6, v6
	v_bfe_u32 v9, v7, 16, 1
	v_add3_u32 v7, v7, v9, s0
	v_lshrrev_b32_e32 v7, 16, v7
	v_cndmask_b32_e32 v6, v8, v7, vcc
.LBB46_883:
	s_mov_b64 s[0:1], 0
.LBB46_884:
	s_andn2_b64 vcc, exec, s[0:1]
	s_cbranch_vccnz .LBB46_904
; %bb.885:
	v_mov_b32_e32 v6, 2
	v_cmp_lt_i16_sdwa s[0:1], v5, v6 src0_sel:BYTE_0 src1_sel:DWORD
	s_and_b64 vcc, exec, s[0:1]
	s_cbranch_vccnz .LBB46_889
; %bb.886:
	v_mov_b32_e32 v6, 3
	v_cmp_lt_i16_sdwa s[0:1], v5, v6 src0_sel:BYTE_0 src1_sel:DWORD
	s_and_b64 vcc, exec, s[0:1]
	s_cbranch_vccnz .LBB46_890
; %bb.887:
	v_cmp_gt_i16_sdwa s[0:1], v5, v6 src0_sel:BYTE_0 src1_sel:DWORD
	s_and_b64 vcc, exec, s[0:1]
	s_cbranch_vccz .LBB46_891
; %bb.888:
	global_load_dwordx2 v[6:7], v[0:1], off
	s_movk_i32 s0, 0x7fff
	s_waitcnt vmcnt(0)
	v_xor_b32_e32 v9, v6, v7
	v_ffbh_i32_e32 v8, v7
	v_ashrrev_i32_e32 v9, 31, v9
	v_add_u32_e32 v8, -1, v8
	v_add_u32_e32 v9, 32, v9
	v_min_u32_e32 v8, v8, v9
	v_lshlrev_b64 v[6:7], v8, v[6:7]
	v_min_u32_e32 v6, 1, v6
	v_or_b32_e32 v6, v7, v6
	v_cvt_f32_i32_e32 v6, v6
	v_sub_u32_e32 v7, 32, v8
	v_ldexp_f32 v6, v6, v7
	v_bfe_u32 v7, v6, 16, 1
	v_add3_u32 v6, v6, v7, s0
	v_lshrrev_b32_e32 v6, 16, v6
	s_mov_b64 s[0:1], 0
	s_branch .LBB46_892
.LBB46_889:
	s_mov_b64 s[0:1], -1
                                        ; implicit-def: $vgpr6
	s_branch .LBB46_898
.LBB46_890:
	s_mov_b64 s[0:1], -1
                                        ; implicit-def: $vgpr6
	s_branch .LBB46_895
.LBB46_891:
	s_mov_b64 s[0:1], -1
                                        ; implicit-def: $vgpr6
.LBB46_892:
	s_andn2_b64 vcc, exec, s[0:1]
	s_cbranch_vccnz .LBB46_894
; %bb.893:
	global_load_dword v6, v[0:1], off
	s_movk_i32 s0, 0x7fff
	s_waitcnt vmcnt(0)
	v_cvt_f32_i32_e32 v6, v6
	v_bfe_u32 v7, v6, 16, 1
	v_add3_u32 v6, v6, v7, s0
	v_lshrrev_b32_e32 v6, 16, v6
.LBB46_894:
	s_mov_b64 s[0:1], 0
.LBB46_895:
	s_andn2_b64 vcc, exec, s[0:1]
	s_cbranch_vccnz .LBB46_897
; %bb.896:
	global_load_sshort v6, v[0:1], off
	s_movk_i32 s0, 0x7fff
	s_waitcnt vmcnt(0)
	v_cvt_f32_i32_e32 v6, v6
	v_bfe_u32 v7, v6, 16, 1
	v_add3_u32 v6, v6, v7, s0
	v_lshrrev_b32_e32 v6, 16, v6
.LBB46_897:
	s_mov_b64 s[0:1], 0
.LBB46_898:
	s_andn2_b64 vcc, exec, s[0:1]
	s_cbranch_vccnz .LBB46_904
; %bb.899:
	v_mov_b32_e32 v6, 0
	v_cmp_gt_i16_sdwa s[0:1], v5, v6 src0_sel:BYTE_0 src1_sel:DWORD
	s_and_b64 vcc, exec, s[0:1]
	s_cbranch_vccz .LBB46_901
; %bb.900:
	global_load_sbyte v6, v[0:1], off
	s_movk_i32 s0, 0x7fff
	s_waitcnt vmcnt(0)
	v_cvt_f32_i32_e32 v6, v6
	v_bfe_u32 v7, v6, 16, 1
	v_add3_u32 v6, v6, v7, s0
	v_lshrrev_b32_e32 v6, 16, v6
	s_mov_b64 s[0:1], 0
	s_branch .LBB46_902
.LBB46_901:
	s_mov_b64 s[0:1], -1
                                        ; implicit-def: $vgpr6
.LBB46_902:
	s_andn2_b64 vcc, exec, s[0:1]
	s_cbranch_vccnz .LBB46_904
; %bb.903:
	global_load_ubyte v0, v[0:1], off
	s_movk_i32 s0, 0x7fff
	s_waitcnt vmcnt(0)
	v_cvt_f32_ubyte0_e32 v0, v0
	v_bfe_u32 v1, v0, 16, 1
	v_add3_u32 v0, v0, v1, s0
	v_lshrrev_b32_e32 v6, 16, v0
.LBB46_904:
	s_mov_b64 s[0:1], -1
.LBB46_905:
	s_andn2_b64 vcc, exec, s[0:1]
	s_cbranch_vccnz .LBB46_913
; %bb.906:
	v_mul_lo_u32 v0, v3, s14
	v_ashrrev_i32_e32 v1, 31, v0
	v_mov_b32_e32 v7, s3
	v_add_co_u32_e32 v0, vcc, s2, v0
	v_addc_co_u32_e32 v1, vcc, v7, v1, vcc
	v_mov_b32_e32 v7, 11
	v_cmp_lt_i16_sdwa s[0:1], v4, v7 src0_sel:BYTE_0 src1_sel:DWORD
	s_and_b64 vcc, exec, s[0:1]
	s_cbranch_vccnz .LBB46_915
; %bb.907:
	v_mov_b32_e32 v7, 25
	v_cmp_gt_i16_sdwa s[0:1], v4, v7 src0_sel:BYTE_0 src1_sel:DWORD
	s_and_b64 vcc, exec, s[0:1]
	s_cbranch_vccz .LBB46_916
; %bb.908:
	v_mov_b32_e32 v7, 28
	v_cmp_gt_i16_sdwa s[0:1], v4, v7 src0_sel:BYTE_0 src1_sel:DWORD
	s_and_b64 vcc, exec, s[0:1]
	s_cbranch_vccz .LBB46_917
	;; [unrolled: 5-line block ×4, first 2 shown]
; %bb.911:
	v_mov_b32_e32 v7, 46
	v_cmp_eq_u16_sdwa s[0:1], v4, v7 src0_sel:BYTE_0 src1_sel:DWORD
	s_mov_b64 s[40:41], 0
	s_and_b64 vcc, exec, s[0:1]
	s_cbranch_vccz .LBB46_922
; %bb.912:
	global_load_dword v8, v[0:1], off
	s_mov_b64 s[0:1], -1
	s_mov_b64 s[38:39], 0
	s_branch .LBB46_923
.LBB46_913:
	s_mov_b64 s[42:43], 0
	s_mov_b64 s[0:1], s[28:29]
	;; [unrolled: 1-line block ×3, first 2 shown]
.LBB46_914:
                                        ; implicit-def: $vgpr3
	s_branch .LBB46_1161
.LBB46_915:
	s_mov_b64 s[40:41], -1
	s_mov_b64 s[0:1], 0
                                        ; implicit-def: $vgpr8
	s_mov_b64 s[38:39], s[26:27]
	s_branch .LBB46_988
.LBB46_916:
	s_mov_b64 s[40:41], -1
	s_mov_b64 s[0:1], 0
	s_mov_b64 s[38:39], s[26:27]
                                        ; implicit-def: $vgpr8
	s_branch .LBB46_952
.LBB46_917:
	s_mov_b64 s[40:41], -1
	s_mov_b64 s[0:1], 0
	s_mov_b64 s[38:39], s[26:27]
                                        ; implicit-def: $vgpr8
	s_branch .LBB46_933
.LBB46_918:
	s_mov_b64 s[40:41], -1
	s_mov_b64 s[0:1], 0
	s_mov_b64 s[38:39], s[26:27]
                                        ; implicit-def: $vgpr8
	s_branch .LBB46_928
.LBB46_919:
	s_mov_b64 s[40:41], -1
	s_mov_b64 s[0:1], 0
	s_mov_b64 s[38:39], s[26:27]
                                        ; implicit-def: $vgpr8
	s_branch .LBB46_923
.LBB46_920:
	s_or_saveexec_b64 s[36:37], s[36:37]
                                        ; implicit-def: $sgpr15
	s_xor_b64 exec, exec, s[36:37]
	s_cbranch_execz .LBB46_696
.LBB46_921:
	s_mov_b32 s15, 0x42800000
	v_add_f32_e64 v9, |v10|, s15
	v_and_b32_e32 v9, 0xff, v9
	v_cmp_ne_u32_e32 vcc, 0, v9
	s_andn2_b64 s[34:35], s[34:35], exec
	s_and_b64 s[38:39], vcc, exec
	s_mov_b32 s15, 0
	s_or_b64 s[34:35], s[34:35], s[38:39]
	s_or_b64 exec, exec, s[36:37]
	v_mov_b32_e32 v11, s15
	s_and_saveexec_b64 s[36:37], s[34:35]
	s_cbranch_execnz .LBB46_697
	s_branch .LBB46_698
.LBB46_922:
	s_mov_b64 s[38:39], -1
                                        ; implicit-def: $vgpr8
	s_mov_b64 s[0:1], 0
.LBB46_923:
	s_and_b64 vcc, exec, s[40:41]
	s_cbranch_vccz .LBB46_927
; %bb.924:
	v_mov_b32_e32 v7, 44
	v_cmp_eq_u16_sdwa s[38:39], v4, v7 src0_sel:BYTE_0 src1_sel:DWORD
	s_and_b64 vcc, exec, s[38:39]
	s_cbranch_vccz .LBB46_926
; %bb.925:
	global_load_ubyte v7, v[0:1], off
	s_movk_i32 s15, 0xff
	s_waitcnt vmcnt(1)
	v_mov_b32_e32 v8, 0x7f800001
	v_mov_b32_e32 v9, 0x400000
	;; [unrolled: 1-line block ×3, first 2 shown]
	s_mov_b64 s[0:1], -1
	s_mov_b64 s[38:39], 0
	s_waitcnt vmcnt(0)
	v_lshlrev_b32_e32 v11, 23, v7
	v_cmp_ne_u32_e32 vcc, s15, v7
	v_cndmask_b32_e32 v8, v8, v11, vcc
	v_cmp_ne_u32_e32 vcc, 0, v7
	v_cndmask_b32_e32 v7, v9, v8, vcc
	v_add_u32_e32 v8, 0x7fff, v7
	v_lshrrev_b32_e32 v8, 16, v8
	v_cmp_o_f32_e32 vcc, v7, v7
	v_cndmask_b32_e32 v8, v10, v8, vcc
	s_branch .LBB46_927
.LBB46_926:
	s_mov_b64 s[38:39], -1
                                        ; implicit-def: $vgpr8
.LBB46_927:
	s_mov_b64 s[40:41], 0
.LBB46_928:
	s_and_b64 vcc, exec, s[40:41]
	s_cbranch_vccz .LBB46_932
; %bb.929:
	v_mov_b32_e32 v7, 29
	v_cmp_eq_u16_sdwa s[38:39], v4, v7 src0_sel:BYTE_0 src1_sel:DWORD
	s_and_b64 vcc, exec, s[38:39]
	s_cbranch_vccz .LBB46_931
; %bb.930:
	global_load_dwordx2 v[8:9], v[0:1], off
	s_movk_i32 s15, 0x7fff
	s_mov_b64 s[0:1], -1
	s_mov_b64 s[38:39], 0
	s_mov_b64 s[40:41], 0
	s_waitcnt vmcnt(0)
	v_ffbh_u32_e32 v7, v9
	v_min_u32_e32 v7, 32, v7
	v_lshlrev_b64 v[8:9], v7, v[8:9]
	v_min_u32_e32 v8, 1, v8
	v_or_b32_e32 v8, v9, v8
	v_cvt_f32_u32_e32 v8, v8
	v_sub_u32_e32 v7, 32, v7
	v_ldexp_f32 v7, v8, v7
	v_bfe_u32 v8, v7, 16, 1
	v_add3_u32 v7, v7, v8, s15
	v_lshrrev_b32_e32 v8, 16, v7
	s_branch .LBB46_933
.LBB46_931:
	s_mov_b64 s[38:39], -1
                                        ; implicit-def: $vgpr8
.LBB46_932:
	s_mov_b64 s[40:41], 0
.LBB46_933:
	s_and_b64 vcc, exec, s[40:41]
	s_cbranch_vccz .LBB46_951
; %bb.934:
	v_mov_b32_e32 v7, 27
	v_cmp_lt_i16_sdwa s[0:1], v4, v7 src0_sel:BYTE_0 src1_sel:DWORD
	s_and_b64 vcc, exec, s[0:1]
	s_cbranch_vccnz .LBB46_937
; %bb.935:
	v_cmp_gt_i16_sdwa s[0:1], v4, v7 src0_sel:BYTE_0 src1_sel:DWORD
	s_and_b64 vcc, exec, s[0:1]
	s_cbranch_vccz .LBB46_938
; %bb.936:
	global_load_dword v7, v[0:1], off
	s_movk_i32 s0, 0x7fff
	s_waitcnt vmcnt(0)
	v_cvt_f32_u32_e32 v7, v7
	v_bfe_u32 v8, v7, 16, 1
	v_add3_u32 v7, v7, v8, s0
	v_lshrrev_b32_e32 v8, 16, v7
	s_mov_b64 s[0:1], 0
	s_branch .LBB46_939
.LBB46_937:
	s_mov_b64 s[0:1], -1
                                        ; implicit-def: $vgpr8
	s_branch .LBB46_942
.LBB46_938:
	s_mov_b64 s[0:1], -1
                                        ; implicit-def: $vgpr8
.LBB46_939:
	s_andn2_b64 vcc, exec, s[0:1]
	s_cbranch_vccnz .LBB46_941
; %bb.940:
	global_load_ushort v7, v[0:1], off
	s_movk_i32 s0, 0x7fff
	s_waitcnt vmcnt(0)
	v_cvt_f32_u32_e32 v7, v7
	v_bfe_u32 v8, v7, 16, 1
	v_add3_u32 v7, v7, v8, s0
	v_lshrrev_b32_e32 v8, 16, v7
.LBB46_941:
	s_mov_b64 s[0:1], 0
.LBB46_942:
	s_andn2_b64 vcc, exec, s[0:1]
	s_cbranch_vccnz .LBB46_950
; %bb.943:
	global_load_ubyte v7, v[0:1], off
	s_movk_i32 s0, 0x7f
                                        ; implicit-def: $sgpr15
	s_waitcnt vmcnt(0)
	v_cmp_lt_i16_e32 vcc, s0, v7
	s_mov_b64 s[0:1], 0
	s_and_saveexec_b64 s[40:41], vcc
	s_xor_b64 s[40:41], exec, s[40:41]
	s_cbranch_execz .LBB46_964
; %bb.944:
	s_movk_i32 s0, 0x80
	v_cmp_eq_u16_e32 vcc, s0, v7
	s_mov_b64 s[0:1], -1
                                        ; implicit-def: $sgpr15
	s_and_saveexec_b64 s[42:43], vcc
; %bb.945:
	s_mov_b32 s15, 0x7f800001
	s_xor_b64 s[0:1], exec, -1
; %bb.946:
	s_or_b64 exec, exec, s[42:43]
	s_and_b64 s[0:1], s[0:1], exec
	s_or_saveexec_b64 s[40:41], s[40:41]
	v_mov_b32_e32 v8, s15
	s_xor_b64 exec, exec, s[40:41]
	s_cbranch_execnz .LBB46_965
.LBB46_947:
	s_or_b64 exec, exec, s[40:41]
	s_and_saveexec_b64 s[40:41], s[0:1]
	s_cbranch_execz .LBB46_949
.LBB46_948:
	v_lshlrev_b32_e32 v8, 24, v7
	v_and_b32_e32 v7, 0xffff, v7
	v_and_b32_e32 v9, 7, v7
	v_ffbh_u32_e32 v11, v9
	v_min_u32_e32 v11, 32, v11
	v_subrev_u32_e32 v12, 28, v11
	v_bfe_u32 v10, v7, 3, 4
	v_lshlrev_b32_e32 v7, v12, v7
	v_sub_u32_e32 v11, 29, v11
	v_and_b32_e32 v7, 7, v7
	v_cmp_eq_u32_e32 vcc, 0, v10
	v_cndmask_b32_e32 v10, v10, v11, vcc
	v_cndmask_b32_e32 v7, v9, v7, vcc
	v_mov_b32_e32 v9, 0x3b800000
	v_lshlrev_b32_e32 v7, 20, v7
	v_and_b32_e32 v8, 0x80000000, v8
	v_lshl_add_u32 v9, v10, 23, v9
	v_or3_b32 v8, v8, v9, v7
.LBB46_949:
	s_or_b64 exec, exec, s[40:41]
	v_bfe_u32 v7, v8, 16, 1
	s_movk_i32 s0, 0x7fff
	v_add3_u32 v7, v8, v7, s0
	v_lshrrev_b32_e32 v7, 16, v7
	v_mov_b32_e32 v9, 0x7fc0
	v_cmp_o_f32_e32 vcc, v8, v8
	v_cndmask_b32_e32 v8, v9, v7, vcc
.LBB46_950:
	s_mov_b64 s[0:1], -1
.LBB46_951:
	s_mov_b64 s[40:41], 0
.LBB46_952:
	s_and_b64 vcc, exec, s[40:41]
	s_cbranch_vccz .LBB46_987
; %bb.953:
	v_mov_b32_e32 v7, 22
	v_cmp_gt_i16_sdwa s[40:41], v4, v7 src0_sel:BYTE_0 src1_sel:DWORD
	s_and_b64 vcc, exec, s[40:41]
	s_cbranch_vccz .LBB46_963
; %bb.954:
	v_mov_b32_e32 v7, 24
	v_cmp_lt_i16_sdwa s[0:1], v4, v7 src0_sel:BYTE_0 src1_sel:DWORD
	s_and_b64 vcc, exec, s[0:1]
	s_cbranch_vccnz .LBB46_966
; %bb.955:
	v_cmp_gt_i16_sdwa s[0:1], v4, v7 src0_sel:BYTE_0 src1_sel:DWORD
	s_and_b64 vcc, exec, s[0:1]
	s_cbranch_vccz .LBB46_967
; %bb.956:
	global_load_ubyte v7, v[0:1], off
	s_movk_i32 s0, 0x7f
                                        ; implicit-def: $sgpr15
	s_waitcnt vmcnt(0)
	v_cmp_lt_i16_e32 vcc, s0, v7
	s_mov_b64 s[0:1], 0
	s_and_saveexec_b64 s[40:41], vcc
	s_xor_b64 s[40:41], exec, s[40:41]
	s_cbranch_execz .LBB46_979
; %bb.957:
	s_movk_i32 s0, 0x80
	v_cmp_eq_u16_e32 vcc, s0, v7
	s_mov_b64 s[0:1], -1
                                        ; implicit-def: $sgpr15
	s_and_saveexec_b64 s[42:43], vcc
; %bb.958:
	s_mov_b32 s15, 0x7f800001
	s_xor_b64 s[0:1], exec, -1
; %bb.959:
	s_or_b64 exec, exec, s[42:43]
	s_and_b64 s[0:1], s[0:1], exec
	s_or_saveexec_b64 s[40:41], s[40:41]
	v_mov_b32_e32 v8, s15
	s_xor_b64 exec, exec, s[40:41]
	s_cbranch_execnz .LBB46_980
.LBB46_960:
	s_or_b64 exec, exec, s[40:41]
	s_and_saveexec_b64 s[40:41], s[0:1]
	s_cbranch_execz .LBB46_962
.LBB46_961:
	v_lshlrev_b32_e32 v8, 24, v7
	v_and_b32_e32 v7, 0xffff, v7
	v_and_b32_e32 v9, 3, v7
	v_ffbh_u32_e32 v11, v9
	v_min_u32_e32 v11, 32, v11
	v_subrev_u32_e32 v12, 29, v11
	v_bfe_u32 v10, v7, 2, 5
	v_lshlrev_b32_e32 v7, v12, v7
	v_sub_u32_e32 v11, 30, v11
	v_and_b32_e32 v7, 3, v7
	v_cmp_eq_u32_e32 vcc, 0, v10
	v_cndmask_b32_e32 v10, v10, v11, vcc
	v_cndmask_b32_e32 v7, v9, v7, vcc
	v_mov_b32_e32 v9, 0x37800000
	v_lshlrev_b32_e32 v7, 21, v7
	v_and_b32_e32 v8, 0x80000000, v8
	v_lshl_add_u32 v9, v10, 23, v9
	v_or3_b32 v8, v8, v9, v7
.LBB46_962:
	s_or_b64 exec, exec, s[40:41]
	v_bfe_u32 v7, v8, 16, 1
	s_movk_i32 s0, 0x7fff
	v_add3_u32 v7, v8, v7, s0
	v_lshrrev_b32_e32 v7, 16, v7
	v_mov_b32_e32 v9, 0x7fc0
	v_cmp_o_f32_e32 vcc, v8, v8
	v_cndmask_b32_e32 v8, v9, v7, vcc
	s_mov_b64 s[0:1], 0
	s_branch .LBB46_968
.LBB46_963:
	s_mov_b64 s[40:41], -1
                                        ; implicit-def: $vgpr8
	s_branch .LBB46_974
.LBB46_964:
	s_or_saveexec_b64 s[40:41], s[40:41]
	v_mov_b32_e32 v8, s15
	s_xor_b64 exec, exec, s[40:41]
	s_cbranch_execz .LBB46_947
.LBB46_965:
	v_cmp_ne_u16_e32 vcc, 0, v7
	s_andn2_b64 s[0:1], s[0:1], exec
	s_and_b64 s[42:43], vcc, exec
	v_mov_b32_e32 v8, 0
	s_or_b64 s[0:1], s[0:1], s[42:43]
	s_or_b64 exec, exec, s[40:41]
	s_and_saveexec_b64 s[40:41], s[0:1]
	s_cbranch_execnz .LBB46_948
	s_branch .LBB46_949
.LBB46_966:
	s_mov_b64 s[0:1], -1
                                        ; implicit-def: $vgpr8
	s_branch .LBB46_971
.LBB46_967:
	s_mov_b64 s[0:1], -1
                                        ; implicit-def: $vgpr8
.LBB46_968:
	s_and_b64 vcc, exec, s[0:1]
	s_cbranch_vccz .LBB46_970
; %bb.969:
	global_load_ubyte v7, v[0:1], off
	s_mov_b32 s0, 0x7f800000
	s_brev_b32 s1, 1
	s_movk_i32 s15, 0x7fff
	s_waitcnt vmcnt(1)
	v_mov_b32_e32 v8, 0x7fc0
	s_waitcnt vmcnt(0)
	v_lshlrev_b32_e32 v7, 24, v7
	v_and_b32_e32 v9, 0x7f000000, v7
	v_ffbh_u32_e32 v10, v9
	v_min_u32_e32 v10, 32, v10
	v_sub_u32_e64 v10, v10, 4 clamp
	v_lshlrev_b32_e32 v12, v10, v9
	v_lshlrev_b32_e32 v10, 23, v10
	v_lshrrev_b32_e32 v12, 4, v12
	v_add_u32_e32 v11, 0x1000000, v9
	v_sub_u32_e32 v10, v12, v10
	v_ashrrev_i32_e32 v11, 8, v11
	v_add_u32_e32 v10, 0x3c000000, v10
	v_and_or_b32 v10, v11, s0, v10
	v_cmp_ne_u32_e32 vcc, 0, v9
	v_cndmask_b32_e32 v9, 0, v10, vcc
	v_and_or_b32 v7, v7, s1, v9
	v_bfe_u32 v9, v9, 16, 1
	v_add3_u32 v9, v7, v9, s15
	v_lshrrev_b32_e32 v9, 16, v9
	v_cmp_o_f32_e32 vcc, v7, v7
	v_cndmask_b32_e32 v8, v8, v9, vcc
.LBB46_970:
	s_mov_b64 s[0:1], 0
.LBB46_971:
	s_andn2_b64 vcc, exec, s[0:1]
	s_cbranch_vccnz .LBB46_973
; %bb.972:
	global_load_ubyte v7, v[0:1], off
	s_movk_i32 s0, 0x7f00
	s_brev_b32 s1, 16
	s_brev_b32 s15, 1
	s_movk_i32 s40, 0x7fff
	s_waitcnt vmcnt(1)
	v_mov_b32_e32 v8, 0x7fc0
	s_waitcnt vmcnt(0)
	v_lshlrev_b16_e32 v9, 8, v7
	v_lshlrev_b32_e32 v7, 25, v7
	v_lshrrev_b32_e32 v10, 4, v7
	v_and_or_b32 v11, v9, s0, 0.5
	v_or_b32_e32 v10, 0x70000000, v10
	v_add_f32_e32 v11, -0.5, v11
	v_mul_f32_e32 v10, 0x7800000, v10
	v_cmp_gt_u32_e32 vcc, s1, v7
	v_bfe_i32 v9, v9, 0, 16
	v_cndmask_b32_e32 v7, v10, v11, vcc
	v_and_or_b32 v9, v9, s15, v7
	v_bfe_u32 v7, v7, 16, 1
	v_add3_u32 v7, v9, v7, s40
	v_lshrrev_b32_e32 v7, 16, v7
	v_cmp_o_f32_e32 vcc, v9, v9
	v_cndmask_b32_e32 v8, v8, v7, vcc
.LBB46_973:
	s_mov_b64 s[40:41], 0
	s_mov_b64 s[0:1], -1
.LBB46_974:
	s_andn2_b64 vcc, exec, s[40:41]
	s_cbranch_vccnz .LBB46_987
; %bb.975:
	v_mov_b32_e32 v7, 14
	v_cmp_gt_i16_sdwa s[40:41], v4, v7 src0_sel:BYTE_0 src1_sel:DWORD
	s_and_b64 vcc, exec, s[40:41]
	s_cbranch_vccz .LBB46_978
; %bb.976:
	v_mov_b32_e32 v7, 15
	v_cmp_eq_u16_sdwa s[38:39], v4, v7 src0_sel:BYTE_0 src1_sel:DWORD
	s_and_b64 vcc, exec, s[38:39]
	s_cbranch_vccz .LBB46_981
; %bb.977:
	global_load_ushort v8, v[0:1], off
	s_mov_b64 s[0:1], -1
	s_mov_b64 s[38:39], 0
	s_branch .LBB46_982
.LBB46_978:
	s_mov_b64 s[40:41], -1
                                        ; implicit-def: $vgpr8
	s_branch .LBB46_983
.LBB46_979:
	s_or_saveexec_b64 s[40:41], s[40:41]
	v_mov_b32_e32 v8, s15
	s_xor_b64 exec, exec, s[40:41]
	s_cbranch_execz .LBB46_960
.LBB46_980:
	v_cmp_ne_u16_e32 vcc, 0, v7
	s_andn2_b64 s[0:1], s[0:1], exec
	s_and_b64 s[42:43], vcc, exec
	v_mov_b32_e32 v8, 0
	s_or_b64 s[0:1], s[0:1], s[42:43]
	s_or_b64 exec, exec, s[40:41]
	s_and_saveexec_b64 s[40:41], s[0:1]
	s_cbranch_execnz .LBB46_961
	s_branch .LBB46_962
.LBB46_981:
	s_mov_b64 s[38:39], -1
                                        ; implicit-def: $vgpr8
.LBB46_982:
	s_mov_b64 s[40:41], 0
.LBB46_983:
	s_and_b64 vcc, exec, s[40:41]
	s_cbranch_vccz .LBB46_987
; %bb.984:
	v_mov_b32_e32 v7, 11
	v_cmp_eq_u16_sdwa s[38:39], v4, v7 src0_sel:BYTE_0 src1_sel:DWORD
	s_and_b64 vcc, exec, s[38:39]
	s_cbranch_vccz .LBB46_986
; %bb.985:
	global_load_ubyte v7, v[0:1], off
	s_mov_b64 s[0:1], -1
	s_mov_b64 s[38:39], 0
	s_waitcnt vmcnt(0)
	v_cmp_ne_u16_e32 vcc, 0, v7
	v_cndmask_b32_e64 v7, 0, 1.0, vcc
	v_lshrrev_b32_e32 v8, 16, v7
	s_branch .LBB46_987
.LBB46_986:
	s_mov_b64 s[38:39], -1
                                        ; implicit-def: $vgpr8
.LBB46_987:
	s_mov_b64 s[40:41], 0
.LBB46_988:
	s_and_b64 vcc, exec, s[40:41]
	s_cbranch_vccz .LBB46_1037
; %bb.989:
	v_mov_b32_e32 v7, 5
	v_cmp_lt_i16_sdwa s[0:1], v4, v7 src0_sel:BYTE_0 src1_sel:DWORD
	s_and_b64 vcc, exec, s[0:1]
	s_cbranch_vccnz .LBB46_994
; %bb.990:
	v_mov_b32_e32 v7, 8
	v_cmp_lt_i16_sdwa s[0:1], v4, v7 src0_sel:BYTE_0 src1_sel:DWORD
	s_and_b64 vcc, exec, s[0:1]
	s_cbranch_vccnz .LBB46_995
	;; [unrolled: 5-line block ×3, first 2 shown]
; %bb.992:
	v_cmp_gt_i16_sdwa s[0:1], v4, v7 src0_sel:BYTE_0 src1_sel:DWORD
	s_and_b64 vcc, exec, s[0:1]
	s_cbranch_vccz .LBB46_997
; %bb.993:
	global_load_dwordx2 v[8:9], v[0:1], off
	s_movk_i32 s0, 0x7fff
	v_mov_b32_e32 v7, 0x7fc0
	s_waitcnt vmcnt(0)
	v_cvt_f32_f64_e32 v8, v[8:9]
	v_bfe_u32 v9, v8, 16, 1
	v_add3_u32 v9, v8, v9, s0
	v_lshrrev_b32_e32 v9, 16, v9
	v_cmp_o_f32_e32 vcc, v8, v8
	v_cndmask_b32_e32 v8, v7, v9, vcc
	s_mov_b64 s[0:1], 0
	s_branch .LBB46_998
.LBB46_994:
	s_mov_b64 s[0:1], -1
                                        ; implicit-def: $vgpr8
	s_branch .LBB46_1016
.LBB46_995:
	s_mov_b64 s[0:1], -1
                                        ; implicit-def: $vgpr8
	s_branch .LBB46_1004
.LBB46_996:
	s_mov_b64 s[0:1], -1
                                        ; implicit-def: $vgpr8
	s_branch .LBB46_1001
.LBB46_997:
	s_mov_b64 s[0:1], -1
                                        ; implicit-def: $vgpr8
.LBB46_998:
	s_andn2_b64 vcc, exec, s[0:1]
	s_cbranch_vccnz .LBB46_1000
; %bb.999:
	global_load_dword v7, v[0:1], off
	s_movk_i32 s0, 0x7fff
	s_waitcnt vmcnt(1)
	v_mov_b32_e32 v8, 0x7fc0
	s_waitcnt vmcnt(0)
	v_bfe_u32 v9, v7, 16, 1
	v_add3_u32 v9, v7, v9, s0
	v_lshrrev_b32_e32 v9, 16, v9
	v_cmp_o_f32_e32 vcc, v7, v7
	v_cndmask_b32_e32 v8, v8, v9, vcc
.LBB46_1000:
	s_mov_b64 s[0:1], 0
.LBB46_1001:
	s_andn2_b64 vcc, exec, s[0:1]
	s_cbranch_vccnz .LBB46_1003
; %bb.1002:
	global_load_dword v7, v[0:1], off
	s_movk_i32 s0, 0x7fff
	v_mov_b32_e32 v9, 0x7fc0
	s_waitcnt vmcnt(0)
	v_cvt_f32_f16_e32 v8, v7
	v_cmp_o_f16_e32 vcc, v7, v7
	v_bfe_u32 v10, v8, 16, 1
	v_add3_u32 v8, v8, v10, s0
	v_lshrrev_b32_e32 v8, 16, v8
	v_cndmask_b32_e32 v8, v9, v8, vcc
.LBB46_1003:
	s_mov_b64 s[0:1], 0
.LBB46_1004:
	s_andn2_b64 vcc, exec, s[0:1]
	s_cbranch_vccnz .LBB46_1015
; %bb.1005:
	v_mov_b32_e32 v7, 6
	v_cmp_lt_i16_sdwa s[0:1], v4, v7 src0_sel:BYTE_0 src1_sel:DWORD
	s_and_b64 vcc, exec, s[0:1]
	s_cbranch_vccnz .LBB46_1008
; %bb.1006:
	v_cmp_gt_i16_sdwa s[0:1], v4, v7 src0_sel:BYTE_0 src1_sel:DWORD
	s_and_b64 vcc, exec, s[0:1]
	s_cbranch_vccz .LBB46_1009
; %bb.1007:
	global_load_dwordx2 v[8:9], v[0:1], off
	s_movk_i32 s0, 0x7fff
	v_mov_b32_e32 v7, 0x7fc0
	s_waitcnt vmcnt(0)
	v_cvt_f32_f64_e32 v8, v[8:9]
	v_bfe_u32 v9, v8, 16, 1
	v_add3_u32 v9, v8, v9, s0
	v_lshrrev_b32_e32 v9, 16, v9
	v_cmp_o_f32_e32 vcc, v8, v8
	v_cndmask_b32_e32 v8, v7, v9, vcc
	s_mov_b64 s[0:1], 0
	s_branch .LBB46_1010
.LBB46_1008:
	s_mov_b64 s[0:1], -1
                                        ; implicit-def: $vgpr8
	s_branch .LBB46_1013
.LBB46_1009:
	s_mov_b64 s[0:1], -1
                                        ; implicit-def: $vgpr8
.LBB46_1010:
	s_andn2_b64 vcc, exec, s[0:1]
	s_cbranch_vccnz .LBB46_1012
; %bb.1011:
	global_load_dword v7, v[0:1], off
	s_movk_i32 s0, 0x7fff
	s_waitcnt vmcnt(1)
	v_mov_b32_e32 v8, 0x7fc0
	s_waitcnt vmcnt(0)
	v_bfe_u32 v9, v7, 16, 1
	v_add3_u32 v9, v7, v9, s0
	v_lshrrev_b32_e32 v9, 16, v9
	v_cmp_o_f32_e32 vcc, v7, v7
	v_cndmask_b32_e32 v8, v8, v9, vcc
.LBB46_1012:
	s_mov_b64 s[0:1], 0
.LBB46_1013:
	s_andn2_b64 vcc, exec, s[0:1]
	s_cbranch_vccnz .LBB46_1015
; %bb.1014:
	global_load_ushort v7, v[0:1], off
	s_movk_i32 s0, 0x7fff
	v_mov_b32_e32 v9, 0x7fc0
	s_waitcnt vmcnt(0)
	v_cvt_f32_f16_e32 v8, v7
	v_cmp_o_f16_e32 vcc, v7, v7
	v_bfe_u32 v10, v8, 16, 1
	v_add3_u32 v8, v8, v10, s0
	v_lshrrev_b32_e32 v8, 16, v8
	v_cndmask_b32_e32 v8, v9, v8, vcc
.LBB46_1015:
	s_mov_b64 s[0:1], 0
.LBB46_1016:
	s_andn2_b64 vcc, exec, s[0:1]
	s_cbranch_vccnz .LBB46_1036
; %bb.1017:
	v_mov_b32_e32 v7, 2
	v_cmp_lt_i16_sdwa s[0:1], v4, v7 src0_sel:BYTE_0 src1_sel:DWORD
	s_and_b64 vcc, exec, s[0:1]
	s_cbranch_vccnz .LBB46_1021
; %bb.1018:
	v_mov_b32_e32 v7, 3
	v_cmp_lt_i16_sdwa s[0:1], v4, v7 src0_sel:BYTE_0 src1_sel:DWORD
	s_and_b64 vcc, exec, s[0:1]
	s_cbranch_vccnz .LBB46_1022
; %bb.1019:
	v_cmp_gt_i16_sdwa s[0:1], v4, v7 src0_sel:BYTE_0 src1_sel:DWORD
	s_and_b64 vcc, exec, s[0:1]
	s_cbranch_vccz .LBB46_1023
; %bb.1020:
	global_load_dwordx2 v[8:9], v[0:1], off
	s_movk_i32 s0, 0x7fff
	s_waitcnt vmcnt(0)
	v_xor_b32_e32 v10, v8, v9
	v_ffbh_i32_e32 v7, v9
	v_ashrrev_i32_e32 v10, 31, v10
	v_add_u32_e32 v7, -1, v7
	v_add_u32_e32 v10, 32, v10
	v_min_u32_e32 v7, v7, v10
	v_lshlrev_b64 v[8:9], v7, v[8:9]
	v_min_u32_e32 v8, 1, v8
	v_or_b32_e32 v8, v9, v8
	v_cvt_f32_i32_e32 v8, v8
	v_sub_u32_e32 v7, 32, v7
	v_ldexp_f32 v7, v8, v7
	v_bfe_u32 v8, v7, 16, 1
	v_add3_u32 v7, v7, v8, s0
	v_lshrrev_b32_e32 v8, 16, v7
	s_mov_b64 s[0:1], 0
	s_branch .LBB46_1024
.LBB46_1021:
	s_mov_b64 s[0:1], -1
                                        ; implicit-def: $vgpr8
	s_branch .LBB46_1030
.LBB46_1022:
	s_mov_b64 s[0:1], -1
                                        ; implicit-def: $vgpr8
	s_branch .LBB46_1027
.LBB46_1023:
	s_mov_b64 s[0:1], -1
                                        ; implicit-def: $vgpr8
.LBB46_1024:
	s_andn2_b64 vcc, exec, s[0:1]
	s_cbranch_vccnz .LBB46_1026
; %bb.1025:
	global_load_dword v7, v[0:1], off
	s_movk_i32 s0, 0x7fff
	s_waitcnt vmcnt(0)
	v_cvt_f32_i32_e32 v7, v7
	v_bfe_u32 v8, v7, 16, 1
	v_add3_u32 v7, v7, v8, s0
	v_lshrrev_b32_e32 v8, 16, v7
.LBB46_1026:
	s_mov_b64 s[0:1], 0
.LBB46_1027:
	s_andn2_b64 vcc, exec, s[0:1]
	s_cbranch_vccnz .LBB46_1029
; %bb.1028:
	global_load_sshort v7, v[0:1], off
	s_movk_i32 s0, 0x7fff
	s_waitcnt vmcnt(0)
	v_cvt_f32_i32_e32 v7, v7
	v_bfe_u32 v8, v7, 16, 1
	v_add3_u32 v7, v7, v8, s0
	v_lshrrev_b32_e32 v8, 16, v7
.LBB46_1029:
	s_mov_b64 s[0:1], 0
.LBB46_1030:
	s_andn2_b64 vcc, exec, s[0:1]
	s_cbranch_vccnz .LBB46_1036
; %bb.1031:
	v_mov_b32_e32 v7, 0
	v_cmp_gt_i16_sdwa s[0:1], v4, v7 src0_sel:BYTE_0 src1_sel:DWORD
	s_and_b64 vcc, exec, s[0:1]
	s_cbranch_vccz .LBB46_1033
; %bb.1032:
	global_load_sbyte v7, v[0:1], off
	s_movk_i32 s0, 0x7fff
	s_waitcnt vmcnt(0)
	v_cvt_f32_i32_e32 v7, v7
	v_bfe_u32 v8, v7, 16, 1
	v_add3_u32 v7, v7, v8, s0
	v_lshrrev_b32_e32 v8, 16, v7
	s_mov_b64 s[0:1], 0
	s_branch .LBB46_1034
.LBB46_1033:
	s_mov_b64 s[0:1], -1
                                        ; implicit-def: $vgpr8
.LBB46_1034:
	s_andn2_b64 vcc, exec, s[0:1]
	s_cbranch_vccnz .LBB46_1036
; %bb.1035:
	global_load_ubyte v0, v[0:1], off
	s_movk_i32 s0, 0x7fff
	s_waitcnt vmcnt(0)
	v_cvt_f32_ubyte0_e32 v0, v0
	v_bfe_u32 v1, v0, 16, 1
	v_add3_u32 v0, v0, v1, s0
	v_lshrrev_b32_e32 v8, 16, v0
.LBB46_1036:
	s_mov_b64 s[0:1], -1
.LBB46_1037:
	s_andn2_b64 vcc, exec, s[0:1]
	s_cbranch_vccnz .LBB46_1045
; %bb.1038:
	s_waitcnt vmcnt(0)
	v_and_b32_e32 v7, 0x7fff, v6
	v_and_b32_e32 v0, 0xffff8000, v8
	v_or_b32_e32 v6, v0, v7
	v_mul_lo_u32 v0, v3, s12
	v_ashrrev_i32_e32 v1, 31, v0
	v_mov_b32_e32 v8, s9
	v_add_co_u32_e32 v0, vcc, s8, v0
	v_addc_co_u32_e32 v1, vcc, v8, v1, vcc
	v_mov_b32_e32 v8, 11
	v_cmp_lt_i16_sdwa s[0:1], v2, v8 src0_sel:BYTE_0 src1_sel:DWORD
	s_and_b64 vcc, exec, s[0:1]
	s_cbranch_vccnz .LBB46_1046
; %bb.1039:
	v_mov_b32_e32 v8, 25
	v_cmp_gt_i16_sdwa s[0:1], v2, v8 src0_sel:BYTE_0 src1_sel:DWORD
	s_and_b64 vcc, exec, s[0:1]
	s_cbranch_vccz .LBB46_1047
; %bb.1040:
	v_mov_b32_e32 v8, 28
	v_cmp_gt_i16_sdwa s[0:1], v2, v8 src0_sel:BYTE_0 src1_sel:DWORD
	s_and_b64 vcc, exec, s[0:1]
	s_cbranch_vccz .LBB46_1048
	;; [unrolled: 5-line block ×4, first 2 shown]
; %bb.1043:
	v_mov_b32_e32 v8, 46
	v_cmp_eq_u16_sdwa s[40:41], v2, v8 src0_sel:BYTE_0 src1_sel:DWORD
	s_mov_b64 s[42:43], 0
	s_mov_b64 s[0:1], -1
	s_and_b64 vcc, exec, s[40:41]
	s_mov_b64 s[40:41], 0
	s_cbranch_vccz .LBB46_1051
; %bb.1044:
	v_and_b32_e32 v8, 0xffff, v6
	global_store_dword v[0:1], v8, off
	s_mov_b64 s[40:41], -1
	s_mov_b64 s[0:1], 0
	s_branch .LBB46_1051
.LBB46_1045:
	s_mov_b64 s[42:43], 0
                                        ; implicit-def: $vgpr3
	s_mov_b64 s[0:1], s[28:29]
	s_branch .LBB46_1161
.LBB46_1046:
	s_mov_b64 s[42:43], -1
	s_mov_b64 s[40:41], 0
	s_mov_b64 s[0:1], s[28:29]
	s_branch .LBB46_1120
.LBB46_1047:
	s_mov_b64 s[42:43], -1
	s_mov_b64 s[40:41], 0
	s_mov_b64 s[0:1], s[28:29]
	s_branch .LBB46_1078
.LBB46_1048:
	s_mov_b64 s[42:43], -1
	s_mov_b64 s[40:41], 0
	s_mov_b64 s[0:1], s[28:29]
	s_branch .LBB46_1061
.LBB46_1049:
	s_mov_b64 s[42:43], -1
	s_mov_b64 s[40:41], 0
	s_mov_b64 s[0:1], s[28:29]
	s_branch .LBB46_1057
.LBB46_1050:
	s_mov_b64 s[42:43], -1
	s_mov_b64 s[40:41], 0
	s_mov_b64 s[0:1], s[28:29]
.LBB46_1051:
	s_and_b64 vcc, exec, s[42:43]
	s_cbranch_vccz .LBB46_1056
; %bb.1052:
	v_mov_b32_e32 v8, 44
	v_cmp_eq_u16_sdwa s[42:43], v2, v8 src0_sel:BYTE_0 src1_sel:DWORD
	s_mov_b64 s[0:1], -1
	s_and_b64 vcc, exec, s[42:43]
	s_cbranch_vccz .LBB46_1056
; %bb.1053:
	v_and_b32_e32 v9, 0xffff, v6
	v_bfe_u32 v8, v9, 7, 8
	s_movk_i32 s0, 0xff
	v_cmp_ne_u32_e32 vcc, s0, v8
	v_mov_b32_e32 v10, 0xff
	s_and_saveexec_b64 s[40:41], vcc
; %bb.1054:
	v_lshlrev_b32_e32 v11, 16, v9
	s_mov_b32 s0, 0x3f0000
	v_lshrrev_b32_e32 v10, 7, v9
	v_and_b32_e32 v9, 64, v9
	v_and_or_b32 v8, v11, s0, v8
	v_cmp_ne_u32_e32 vcc, 0, v9
	v_cmp_ne_u32_e64 s[0:1], 0, v8
	s_and_b64 s[0:1], vcc, s[0:1]
	v_cndmask_b32_e64 v8, 0, 1, s[0:1]
	v_add_u32_e32 v10, v10, v8
; %bb.1055:
	s_or_b64 exec, exec, s[40:41]
	s_mov_b64 s[40:41], -1
	s_mov_b64 s[0:1], 0
	global_store_byte v[0:1], v10, off
.LBB46_1056:
	s_mov_b64 s[42:43], 0
.LBB46_1057:
	s_and_b64 vcc, exec, s[42:43]
	s_cbranch_vccz .LBB46_1060
; %bb.1058:
	v_mov_b32_e32 v8, 29
	v_cmp_eq_u16_sdwa s[42:43], v2, v8 src0_sel:BYTE_0 src1_sel:DWORD
	s_mov_b64 s[0:1], -1
	s_and_b64 vcc, exec, s[42:43]
	s_cbranch_vccz .LBB46_1060
; %bb.1059:
	v_lshlrev_b32_e32 v8, 16, v6
	v_trunc_f32_e32 v8, v8
	v_mul_f32_e32 v9, 0x2f800000, v8
	v_floor_f32_e32 v10, v9
	v_fmac_f32_e32 v8, 0xcf800000, v10
	v_cvt_u32_f32_e32 v9, v10
	v_cvt_u32_f32_e32 v8, v8
	s_mov_b64 s[40:41], -1
	s_mov_b64 s[0:1], 0
	s_mov_b64 s[42:43], 0
	global_store_dwordx2 v[0:1], v[8:9], off
	s_branch .LBB46_1061
.LBB46_1060:
	s_mov_b64 s[42:43], 0
.LBB46_1061:
	s_and_b64 vcc, exec, s[42:43]
	s_cbranch_vccz .LBB46_1077
; %bb.1062:
	v_mov_b32_e32 v8, 27
	v_cmp_lt_i16_sdwa s[42:43], v2, v8 src0_sel:BYTE_0 src1_sel:DWORD
	s_mov_b64 s[40:41], -1
	s_and_b64 vcc, exec, s[42:43]
	s_cbranch_vccnz .LBB46_1068
; %bb.1063:
	v_cmp_gt_i16_sdwa s[42:43], v2, v8 src0_sel:BYTE_0 src1_sel:DWORD
	s_and_b64 vcc, exec, s[42:43]
	s_cbranch_vccz .LBB46_1065
; %bb.1064:
	v_lshlrev_b32_e32 v8, 16, v6
	v_cvt_u32_f32_e32 v8, v8
	s_mov_b64 s[40:41], 0
	global_store_dword v[0:1], v8, off
.LBB46_1065:
	s_andn2_b64 vcc, exec, s[40:41]
	s_cbranch_vccnz .LBB46_1067
; %bb.1066:
	v_lshlrev_b32_e32 v8, 16, v6
	v_cvt_u32_f32_e32 v8, v8
	global_store_short v[0:1], v8, off
.LBB46_1067:
	s_mov_b64 s[40:41], 0
.LBB46_1068:
	s_andn2_b64 vcc, exec, s[40:41]
	s_cbranch_vccnz .LBB46_1076
; %bb.1069:
	v_lshlrev_b32_e32 v10, 16, v6
	v_and_b32_e32 v9, 0x7fffffff, v10
	s_mov_b32 s15, 0x43800000
	v_cmp_gt_u32_e32 vcc, s15, v9
	v_mov_b32_e32 v11, 0x80
	s_and_saveexec_b64 s[40:41], vcc
	s_cbranch_execz .LBB46_1075
; %bb.1070:
	s_mov_b32 s15, 0x3bffffff
	v_and_b32_e32 v8, 0xffff, v6
	v_cmp_lt_u32_e32 vcc, s15, v9
	s_mov_b64 s[42:43], 0
                                        ; implicit-def: $vgpr9
	s_and_saveexec_b64 s[44:45], vcc
	s_xor_b64 s[44:45], exec, s[44:45]
	s_cbranch_execz .LBB46_1177
; %bb.1071:
	v_bfe_u32 v9, v8, 4, 1
	s_mov_b32 s15, 0x487ffff
	v_add3_u32 v9, v10, v9, s15
	s_mov_b64 s[42:43], exec
	v_lshrrev_b32_e32 v9, 20, v9
                                        ; implicit-def: $vgpr10
	s_or_saveexec_b64 s[44:45], s[44:45]
                                        ; implicit-def: $sgpr15
	s_xor_b64 exec, exec, s[44:45]
	s_cbranch_execnz .LBB46_1178
.LBB46_1072:
	s_or_b64 exec, exec, s[44:45]
	v_mov_b32_e32 v11, s15
	s_and_saveexec_b64 s[44:45], s[42:43]
.LBB46_1073:
	v_lshrrev_b32_e32 v8, 8, v8
	s_movk_i32 s15, 0x80
	v_and_or_b32 v11, v8, s15, v9
.LBB46_1074:
	s_or_b64 exec, exec, s[44:45]
.LBB46_1075:
	s_or_b64 exec, exec, s[40:41]
	global_store_byte v[0:1], v11, off
.LBB46_1076:
	s_mov_b64 s[40:41], -1
.LBB46_1077:
	s_mov_b64 s[42:43], 0
.LBB46_1078:
	s_and_b64 vcc, exec, s[42:43]
	s_cbranch_vccz .LBB46_1119
; %bb.1079:
	v_mov_b32_e32 v8, 22
	v_cmp_gt_i16_sdwa s[44:45], v2, v8 src0_sel:BYTE_0 src1_sel:DWORD
	s_mov_b64 s[42:43], -1
	s_and_b64 vcc, exec, s[44:45]
	s_cbranch_vccz .LBB46_1111
; %bb.1080:
	v_mov_b32_e32 v8, 24
	v_cmp_lt_i16_sdwa s[42:43], v2, v8 src0_sel:BYTE_0 src1_sel:DWORD
	s_mov_b64 s[40:41], -1
	s_and_b64 vcc, exec, s[42:43]
	s_cbranch_vccnz .LBB46_1100
; %bb.1081:
	v_cmp_gt_i16_sdwa s[42:43], v2, v8 src0_sel:BYTE_0 src1_sel:DWORD
	s_and_b64 vcc, exec, s[42:43]
	s_cbranch_vccz .LBB46_1089
; %bb.1082:
	v_lshlrev_b32_e32 v10, 16, v6
	v_and_b32_e32 v9, 0x7fffffff, v10
	s_mov_b32 s15, 0x47800000
	v_cmp_gt_u32_e32 vcc, s15, v9
	v_mov_b32_e32 v11, 0x80
	s_and_saveexec_b64 s[40:41], vcc
	s_cbranch_execz .LBB46_1088
; %bb.1083:
	s_mov_b32 s15, 0x37ffffff
	v_and_b32_e32 v8, 0xffff, v6
	v_cmp_lt_u32_e32 vcc, s15, v9
	s_mov_b64 s[42:43], 0
                                        ; implicit-def: $vgpr9
	s_and_saveexec_b64 s[44:45], vcc
	s_xor_b64 s[44:45], exec, s[44:45]
	s_cbranch_execz .LBB46_2200
; %bb.1084:
	v_bfe_u32 v9, v8, 5, 1
	s_mov_b32 s15, 0x88fffff
	v_add3_u32 v9, v10, v9, s15
	s_mov_b64 s[42:43], exec
	v_lshrrev_b32_e32 v9, 21, v9
                                        ; implicit-def: $vgpr10
	s_or_saveexec_b64 s[44:45], s[44:45]
                                        ; implicit-def: $sgpr15
	s_xor_b64 exec, exec, s[44:45]
	s_cbranch_execnz .LBB46_2201
.LBB46_1085:
	s_or_b64 exec, exec, s[44:45]
	v_mov_b32_e32 v11, s15
	s_and_saveexec_b64 s[44:45], s[42:43]
.LBB46_1086:
	v_lshrrev_b32_e32 v8, 8, v8
	s_movk_i32 s15, 0x80
	v_and_or_b32 v11, v8, s15, v9
.LBB46_1087:
	s_or_b64 exec, exec, s[44:45]
.LBB46_1088:
	s_or_b64 exec, exec, s[40:41]
	s_mov_b64 s[40:41], 0
	global_store_byte v[0:1], v11, off
.LBB46_1089:
	s_and_b64 vcc, exec, s[40:41]
	s_cbranch_vccz .LBB46_1099
; %bb.1090:
	v_lshlrev_b32_e32 v10, 16, v6
	v_and_b32_e32 v11, 0x7fffffff, v10
	s_mov_b32 s15, 0x43f00000
	v_and_b32_e32 v8, 0xffff, v6
	v_cmp_gt_u32_e32 vcc, s15, v11
                                        ; implicit-def: $vgpr9
	s_and_saveexec_b64 s[40:41], vcc
	s_xor_b64 s[40:41], exec, s[40:41]
	s_cbranch_execz .LBB46_1096
; %bb.1091:
	s_mov_b32 s15, 0x3c7fffff
	v_cmp_lt_u32_e32 vcc, s15, v11
                                        ; implicit-def: $vgpr9
	s_and_saveexec_b64 s[42:43], vcc
	s_xor_b64 s[42:43], exec, s[42:43]
; %bb.1092:
	v_bfe_u32 v9, v8, 4, 1
	s_mov_b32 s15, 0x407ffff
	v_add3_u32 v9, v10, v9, s15
	v_lshrrev_b32_e32 v10, 20, v9
	v_and_b32_e32 v9, 0xff00000, v9
	s_mov_b32 s15, 0x7f00000
	v_mov_b32_e32 v11, 0x7e
	v_cmp_ne_u32_e32 vcc, s15, v9
	v_cndmask_b32_e32 v9, v11, v10, vcc
                                        ; implicit-def: $vgpr10
; %bb.1093:
	s_andn2_saveexec_b64 s[42:43], s[42:43]
; %bb.1094:
	s_mov_b32 s15, 0x46800000
	v_add_f32_e64 v9, |v10|, s15
; %bb.1095:
	s_or_b64 exec, exec, s[42:43]
                                        ; implicit-def: $vgpr11
.LBB46_1096:
	s_andn2_saveexec_b64 s[40:41], s[40:41]
; %bb.1097:
	s_mov_b32 s15, 0x7f800000
	v_mov_b32_e32 v9, 0x7e
	v_mov_b32_e32 v10, 0x7f
	v_cmp_lt_u32_e32 vcc, s15, v11
	v_cndmask_b32_e32 v9, v9, v10, vcc
; %bb.1098:
	s_or_b64 exec, exec, s[40:41]
	v_lshrrev_b32_e32 v8, 8, v8
	s_movk_i32 s15, 0x80
	v_and_or_b32 v8, v8, s15, v9
	global_store_byte v[0:1], v8, off
.LBB46_1099:
	s_mov_b64 s[40:41], 0
.LBB46_1100:
	s_andn2_b64 vcc, exec, s[40:41]
	s_cbranch_vccnz .LBB46_1110
; %bb.1101:
	v_lshlrev_b32_e32 v10, 16, v6
	v_and_b32_e32 v11, 0x7fffffff, v10
	s_mov_b32 s15, 0x47800000
	v_and_b32_e32 v8, 0xffff, v6
	v_cmp_gt_u32_e32 vcc, s15, v11
                                        ; implicit-def: $vgpr9
	s_and_saveexec_b64 s[40:41], vcc
	s_xor_b64 s[40:41], exec, s[40:41]
	s_cbranch_execz .LBB46_1107
; %bb.1102:
	s_mov_b32 s15, 0x387fffff
	v_cmp_lt_u32_e32 vcc, s15, v11
                                        ; implicit-def: $vgpr9
	s_and_saveexec_b64 s[42:43], vcc
	s_xor_b64 s[42:43], exec, s[42:43]
; %bb.1103:
	v_bfe_u32 v9, v8, 5, 1
	s_mov_b32 s15, 0x80fffff
	v_add3_u32 v9, v10, v9, s15
	v_lshrrev_b32_e32 v9, 21, v9
                                        ; implicit-def: $vgpr10
; %bb.1104:
	s_andn2_saveexec_b64 s[42:43], s[42:43]
; %bb.1105:
	s_mov_b32 s15, 0x43000000
	v_add_f32_e64 v9, |v10|, s15
; %bb.1106:
	s_or_b64 exec, exec, s[42:43]
                                        ; implicit-def: $vgpr11
.LBB46_1107:
	s_andn2_saveexec_b64 s[40:41], s[40:41]
; %bb.1108:
	s_mov_b32 s15, 0x7f800000
	v_mov_b32_e32 v9, 0x7c
	v_mov_b32_e32 v10, 0x7f
	v_cmp_lt_u32_e32 vcc, s15, v11
	v_cndmask_b32_e32 v9, v9, v10, vcc
; %bb.1109:
	s_or_b64 exec, exec, s[40:41]
	v_lshrrev_b32_e32 v8, 8, v8
	s_movk_i32 s15, 0x80
	v_and_or_b32 v8, v8, s15, v9
	global_store_byte v[0:1], v8, off
.LBB46_1110:
	s_mov_b64 s[42:43], 0
	s_mov_b64 s[40:41], -1
.LBB46_1111:
	s_andn2_b64 vcc, exec, s[42:43]
	s_cbranch_vccnz .LBB46_1119
; %bb.1112:
	v_mov_b32_e32 v8, 14
	v_cmp_gt_i16_sdwa s[44:45], v2, v8 src0_sel:BYTE_0 src1_sel:DWORD
	s_mov_b64 s[42:43], -1
	s_and_b64 vcc, exec, s[44:45]
	s_cbranch_vccz .LBB46_1116
; %bb.1113:
	v_mov_b32_e32 v8, 15
	v_cmp_eq_u16_sdwa s[42:43], v2, v8 src0_sel:BYTE_0 src1_sel:DWORD
	s_mov_b64 s[0:1], -1
	s_and_b64 vcc, exec, s[42:43]
	s_cbranch_vccz .LBB46_1115
; %bb.1114:
	global_store_short v[0:1], v6, off
	s_mov_b64 s[40:41], -1
	s_mov_b64 s[0:1], 0
.LBB46_1115:
	s_mov_b64 s[42:43], 0
.LBB46_1116:
	s_and_b64 vcc, exec, s[42:43]
	s_cbranch_vccz .LBB46_1119
; %bb.1117:
	v_mov_b32_e32 v8, 11
	v_cmp_eq_u16_sdwa s[42:43], v2, v8 src0_sel:BYTE_0 src1_sel:DWORD
	s_mov_b64 s[0:1], -1
	s_and_b64 vcc, exec, s[42:43]
	s_cbranch_vccz .LBB46_1119
; %bb.1118:
	v_cmp_ne_u16_e32 vcc, 0, v7
	v_cndmask_b32_e64 v7, 0, 1, vcc
	s_mov_b64 s[40:41], -1
	s_mov_b64 s[0:1], 0
	global_store_byte v[0:1], v7, off
.LBB46_1119:
	s_mov_b64 s[42:43], 0
.LBB46_1120:
	s_and_b64 vcc, exec, s[42:43]
	s_cbranch_vccz .LBB46_1159
; %bb.1121:
	v_mov_b32_e32 v7, 5
	v_cmp_lt_i16_sdwa s[42:43], v2, v7 src0_sel:BYTE_0 src1_sel:DWORD
	s_mov_b64 s[40:41], -1
	s_and_b64 vcc, exec, s[42:43]
	s_cbranch_vccnz .LBB46_1142
; %bb.1122:
	v_mov_b32_e32 v7, 8
	v_cmp_lt_i16_sdwa s[42:43], v2, v7 src0_sel:BYTE_0 src1_sel:DWORD
	s_and_b64 vcc, exec, s[42:43]
	s_cbranch_vccnz .LBB46_1132
; %bb.1123:
	v_mov_b32_e32 v7, 9
	v_cmp_lt_i16_sdwa s[42:43], v2, v7 src0_sel:BYTE_0 src1_sel:DWORD
	s_and_b64 vcc, exec, s[42:43]
	s_cbranch_vccnz .LBB46_1129
; %bb.1124:
	v_cmp_gt_i16_sdwa s[42:43], v2, v7 src0_sel:BYTE_0 src1_sel:DWORD
	s_and_b64 vcc, exec, s[42:43]
	s_cbranch_vccz .LBB46_1126
; %bb.1125:
	v_lshlrev_b32_e32 v7, 16, v6
	v_mov_b32_e32 v10, 0
	v_cvt_f64_f32_e32 v[8:9], v7
	v_mov_b32_e32 v11, v10
	s_mov_b64 s[40:41], 0
	global_store_dwordx4 v[0:1], v[8:11], off
.LBB46_1126:
	s_andn2_b64 vcc, exec, s[40:41]
	s_cbranch_vccnz .LBB46_1128
; %bb.1127:
	v_lshlrev_b32_e32 v8, 16, v6
	v_mov_b32_e32 v9, 0
	global_store_dwordx2 v[0:1], v[8:9], off
.LBB46_1128:
	s_mov_b64 s[40:41], 0
.LBB46_1129:
	s_andn2_b64 vcc, exec, s[40:41]
	s_cbranch_vccnz .LBB46_1131
; %bb.1130:
	v_lshlrev_b32_e32 v7, 16, v6
	v_cvt_f16_f32_e32 v7, v7
	global_store_dword v[0:1], v7, off
.LBB46_1131:
	s_mov_b64 s[40:41], 0
.LBB46_1132:
	s_andn2_b64 vcc, exec, s[40:41]
	s_cbranch_vccnz .LBB46_1141
; %bb.1133:
	v_mov_b32_e32 v7, 6
	v_cmp_lt_i16_sdwa s[42:43], v2, v7 src0_sel:BYTE_0 src1_sel:DWORD
	s_mov_b64 s[40:41], -1
	s_and_b64 vcc, exec, s[42:43]
	s_cbranch_vccnz .LBB46_1139
; %bb.1134:
	v_cmp_gt_i16_sdwa s[42:43], v2, v7 src0_sel:BYTE_0 src1_sel:DWORD
	s_and_b64 vcc, exec, s[42:43]
	s_cbranch_vccz .LBB46_1136
; %bb.1135:
	v_lshlrev_b32_e32 v7, 16, v6
	v_cvt_f64_f32_e32 v[8:9], v7
	s_mov_b64 s[40:41], 0
	global_store_dwordx2 v[0:1], v[8:9], off
.LBB46_1136:
	s_andn2_b64 vcc, exec, s[40:41]
	s_cbranch_vccnz .LBB46_1138
; %bb.1137:
	v_lshlrev_b32_e32 v7, 16, v6
	global_store_dword v[0:1], v7, off
.LBB46_1138:
	s_mov_b64 s[40:41], 0
.LBB46_1139:
	s_andn2_b64 vcc, exec, s[40:41]
	s_cbranch_vccnz .LBB46_1141
; %bb.1140:
	v_lshlrev_b32_e32 v7, 16, v6
	v_cvt_f16_f32_e32 v7, v7
	global_store_short v[0:1], v7, off
.LBB46_1141:
	s_mov_b64 s[40:41], 0
.LBB46_1142:
	s_andn2_b64 vcc, exec, s[40:41]
	s_cbranch_vccnz .LBB46_1158
; %bb.1143:
	v_mov_b32_e32 v7, 2
	v_cmp_lt_i16_sdwa s[42:43], v2, v7 src0_sel:BYTE_0 src1_sel:DWORD
	s_mov_b64 s[40:41], -1
	s_and_b64 vcc, exec, s[42:43]
	s_cbranch_vccnz .LBB46_1153
; %bb.1144:
	v_mov_b32_e32 v7, 3
	v_cmp_lt_i16_sdwa s[42:43], v2, v7 src0_sel:BYTE_0 src1_sel:DWORD
	s_and_b64 vcc, exec, s[42:43]
	s_cbranch_vccnz .LBB46_1150
; %bb.1145:
	v_cmp_gt_i16_sdwa s[42:43], v2, v7 src0_sel:BYTE_0 src1_sel:DWORD
	s_and_b64 vcc, exec, s[42:43]
	s_cbranch_vccz .LBB46_1147
; %bb.1146:
	v_lshlrev_b32_e32 v7, 16, v6
	v_trunc_f32_e32 v7, v7
	s_mov_b32 s15, 0x2f800000
	v_mul_f32_e64 v8, |v7|, s15
	v_floor_f32_e32 v8, v8
	s_mov_b32 s15, 0xcf800000
	v_cvt_u32_f32_e32 v9, v8
	v_fma_f32 v8, v8, s15, |v7|
	v_cvt_u32_f32_e32 v8, v8
	v_ashrrev_i32_e32 v7, 31, v7
	v_xor_b32_e32 v9, v9, v7
	s_mov_b64 s[40:41], 0
	v_xor_b32_e32 v8, v8, v7
	v_sub_co_u32_e32 v8, vcc, v8, v7
	v_subb_co_u32_e32 v9, vcc, v9, v7, vcc
	global_store_dwordx2 v[0:1], v[8:9], off
.LBB46_1147:
	s_andn2_b64 vcc, exec, s[40:41]
	s_cbranch_vccnz .LBB46_1149
; %bb.1148:
	v_lshlrev_b32_e32 v7, 16, v6
	v_cvt_i32_f32_e32 v7, v7
	global_store_dword v[0:1], v7, off
.LBB46_1149:
	s_mov_b64 s[40:41], 0
.LBB46_1150:
	s_andn2_b64 vcc, exec, s[40:41]
	s_cbranch_vccnz .LBB46_1152
; %bb.1151:
	v_lshlrev_b32_e32 v7, 16, v6
	v_cvt_i32_f32_e32 v7, v7
	global_store_short v[0:1], v7, off
.LBB46_1152:
	s_mov_b64 s[40:41], 0
.LBB46_1153:
	s_andn2_b64 vcc, exec, s[40:41]
	s_cbranch_vccnz .LBB46_1158
; %bb.1154:
	v_mov_b32_e32 v7, 0
	v_cmp_gt_i16_sdwa s[42:43], v2, v7 src0_sel:BYTE_0 src1_sel:DWORD
	s_mov_b64 s[40:41], -1
	s_and_b64 vcc, exec, s[42:43]
	v_lshlrev_b32_e32 v6, 16, v6
	s_cbranch_vccz .LBB46_1156
; %bb.1155:
	v_cvt_i32_f32_e32 v7, v6
	s_mov_b64 s[40:41], 0
	global_store_byte v[0:1], v7, off
.LBB46_1156:
	s_andn2_b64 vcc, exec, s[40:41]
	s_cbranch_vccnz .LBB46_1158
; %bb.1157:
	v_trunc_f32_e32 v6, v6
	s_mov_b32 s15, 0x2f800000
	v_mul_f32_e64 v7, |v6|, s15
	v_floor_f32_e32 v7, v7
	s_mov_b32 s15, 0xcf800000
	v_fma_f32 v7, v7, s15, |v6|
	v_cvt_u32_f32_e32 v7, v7
	v_ashrrev_i32_e32 v6, 31, v6
	v_xor_b32_e32 v7, v7, v6
	v_sub_u32_e32 v6, v7, v6
	global_store_byte v[0:1], v6, off
.LBB46_1158:
	s_mov_b64 s[40:41], -1
.LBB46_1159:
	s_andn2_b64 vcc, exec, s[40:41]
	s_cbranch_vccnz .LBB46_1172
; %bb.1160:
	v_add_u32_e32 v3, 0x80, v3
	s_mov_b64 s[42:43], -1
.LBB46_1161:
	s_andn2_b64 s[40:41], s[28:29], exec
	s_and_b64 s[0:1], s[0:1], exec
	s_or_b64 s[40:41], s[40:41], s[0:1]
	s_andn2_b64 s[0:1], s[26:27], exec
	s_and_b64 s[38:39], s[38:39], exec
	s_or_b64 s[38:39], s[0:1], s[38:39]
	;; [unrolled: 3-line block ×3, first 2 shown]
	s_orn2_b64 s[46:47], s[42:43], exec
.LBB46_1162:
	s_or_b64 exec, exec, s[34:35]
	s_mov_b64 s[42:43], 0
	s_mov_b64 s[36:37], 0
	;; [unrolled: 1-line block ×3, first 2 shown]
                                        ; implicit-def: $vgpr7
                                        ; implicit-def: $vgpr0_vgpr1
                                        ; implicit-def: $vgpr6
	s_and_saveexec_b64 s[34:35], s[46:47]
	s_cbranch_execz .LBB46_1246
; %bb.1163:
	v_cmp_gt_i32_e32 vcc, s33, v3
	s_mov_b64 s[46:47], 0
	s_mov_b64 s[48:49], s[0:1]
	;; [unrolled: 1-line block ×4, first 2 shown]
                                        ; implicit-def: $vgpr7
                                        ; implicit-def: $vgpr0_vgpr1
                                        ; implicit-def: $vgpr6
	s_and_saveexec_b64 s[36:37], vcc
	s_cbranch_execz .LBB46_1245
; %bb.1164:
	v_mul_lo_u32 v0, v3, s13
	v_ashrrev_i32_e32 v1, 31, v0
	s_waitcnt vmcnt(0)
	v_mov_b32_e32 v6, s11
	v_add_co_u32_e32 v0, vcc, s10, v0
	v_addc_co_u32_e32 v1, vcc, v6, v1, vcc
	v_and_b32_e32 v7, 0xff, v5
	v_cmp_gt_i16_e32 vcc, 11, v7
	s_cbranch_vccnz .LBB46_1171
; %bb.1165:
	v_cmp_lt_i16_e32 vcc, 25, v7
	s_cbranch_vccz .LBB46_1173
; %bb.1166:
	v_cmp_lt_i16_e32 vcc, 28, v7
	s_cbranch_vccz .LBB46_1174
	;; [unrolled: 3-line block ×4, first 2 shown]
; %bb.1169:
	v_cmp_eq_u16_e32 vcc, 46, v7
	s_mov_b64 s[48:49], 0
	s_cbranch_vccz .LBB46_1179
; %bb.1170:
	global_load_dword v6, v[0:1], off
	s_mov_b64 s[46:47], -1
	s_branch .LBB46_1181
.LBB46_1171:
	s_mov_b64 s[48:49], -1
                                        ; implicit-def: $vgpr6
	s_mov_b64 s[42:43], s[0:1]
	s_branch .LBB46_1244
.LBB46_1172:
	s_mov_b64 s[42:43], 0
	s_branch .LBB46_914
.LBB46_1173:
	s_mov_b64 s[48:49], -1
	s_mov_b64 s[42:43], s[0:1]
                                        ; implicit-def: $vgpr6
	s_branch .LBB46_1210
.LBB46_1174:
	s_mov_b64 s[48:49], -1
	s_mov_b64 s[42:43], s[0:1]
                                        ; implicit-def: $vgpr6
	s_branch .LBB46_1191
.LBB46_1175:
	s_mov_b64 s[48:49], -1
	s_mov_b64 s[42:43], s[0:1]
                                        ; implicit-def: $vgpr6
	s_branch .LBB46_1186
.LBB46_1176:
	s_mov_b64 s[48:49], -1
	s_mov_b64 s[42:43], s[0:1]
	s_branch .LBB46_1180
.LBB46_1177:
	s_or_saveexec_b64 s[44:45], s[44:45]
                                        ; implicit-def: $sgpr15
	s_xor_b64 exec, exec, s[44:45]
	s_cbranch_execz .LBB46_1072
.LBB46_1178:
	s_mov_b32 s15, 0x46000000
	v_add_f32_e64 v9, |v10|, s15
	v_and_b32_e32 v9, 0xff, v9
	v_cmp_ne_u32_e32 vcc, 0, v9
	s_andn2_b64 s[42:43], s[42:43], exec
	s_and_b64 s[46:47], vcc, exec
	s_mov_b32 s15, 0
	s_or_b64 s[42:43], s[42:43], s[46:47]
	s_or_b64 exec, exec, s[44:45]
	v_mov_b32_e32 v11, s15
	s_and_saveexec_b64 s[44:45], s[42:43]
	s_cbranch_execnz .LBB46_1073
	s_branch .LBB46_1074
.LBB46_1179:
	s_mov_b64 s[42:43], -1
.LBB46_1180:
                                        ; implicit-def: $vgpr6
.LBB46_1181:
	s_and_b64 vcc, exec, s[48:49]
	s_cbranch_vccz .LBB46_1185
; %bb.1182:
	v_cmp_eq_u16_e32 vcc, 44, v7
	s_cbranch_vccz .LBB46_1184
; %bb.1183:
	global_load_ubyte v5, v[0:1], off
	s_movk_i32 s15, 0xff
	s_waitcnt vmcnt(1)
	v_mov_b32_e32 v6, 0x7f800001
	v_mov_b32_e32 v8, 0x400000
	;; [unrolled: 1-line block ×3, first 2 shown]
	s_mov_b64 s[42:43], 0
	s_mov_b64 s[46:47], -1
	s_waitcnt vmcnt(0)
	v_lshlrev_b32_e32 v10, 23, v5
	v_cmp_ne_u32_e32 vcc, s15, v5
	v_cndmask_b32_e32 v6, v6, v10, vcc
	v_cmp_ne_u32_e32 vcc, 0, v5
	v_cndmask_b32_e32 v5, v8, v6, vcc
	v_add_u32_e32 v6, 0x7fff, v5
	v_lshrrev_b32_e32 v6, 16, v6
	v_cmp_o_f32_e32 vcc, v5, v5
	v_cndmask_b32_e32 v6, v9, v6, vcc
	s_branch .LBB46_1185
.LBB46_1184:
	s_mov_b64 s[42:43], -1
                                        ; implicit-def: $vgpr6
.LBB46_1185:
	s_mov_b64 s[48:49], 0
.LBB46_1186:
	s_and_b64 vcc, exec, s[48:49]
	s_cbranch_vccz .LBB46_1190
; %bb.1187:
	v_cmp_eq_u16_e32 vcc, 29, v7
	s_cbranch_vccz .LBB46_1189
; %bb.1188:
	global_load_dwordx2 v[8:9], v[0:1], off
	s_movk_i32 s15, 0x7fff
	s_mov_b64 s[42:43], 0
	s_mov_b64 s[46:47], -1
	s_mov_b64 s[48:49], 0
	s_waitcnt vmcnt(0)
	v_ffbh_u32_e32 v5, v9
	v_min_u32_e32 v5, 32, v5
	v_lshlrev_b64 v[8:9], v5, v[8:9]
	v_min_u32_e32 v6, 1, v8
	v_or_b32_e32 v6, v9, v6
	v_cvt_f32_u32_e32 v6, v6
	v_sub_u32_e32 v5, 32, v5
	v_ldexp_f32 v5, v6, v5
	v_bfe_u32 v6, v5, 16, 1
	v_add3_u32 v5, v5, v6, s15
	v_lshrrev_b32_e32 v6, 16, v5
	s_branch .LBB46_1191
.LBB46_1189:
	s_mov_b64 s[42:43], -1
                                        ; implicit-def: $vgpr6
.LBB46_1190:
	s_mov_b64 s[48:49], 0
.LBB46_1191:
	s_and_b64 vcc, exec, s[48:49]
	s_cbranch_vccz .LBB46_1209
; %bb.1192:
	v_cmp_gt_i16_e32 vcc, 27, v7
	s_cbranch_vccnz .LBB46_1195
; %bb.1193:
	v_cmp_lt_i16_e32 vcc, 27, v7
	s_cbranch_vccz .LBB46_1196
; %bb.1194:
	global_load_dword v5, v[0:1], off
	s_movk_i32 s15, 0x7fff
	s_mov_b64 s[46:47], 0
	s_waitcnt vmcnt(0)
	v_cvt_f32_u32_e32 v5, v5
	v_bfe_u32 v6, v5, 16, 1
	v_add3_u32 v5, v5, v6, s15
	v_lshrrev_b32_e32 v6, 16, v5
	s_branch .LBB46_1197
.LBB46_1195:
	s_mov_b64 s[46:47], -1
                                        ; implicit-def: $vgpr6
	s_branch .LBB46_1200
.LBB46_1196:
	s_mov_b64 s[46:47], -1
                                        ; implicit-def: $vgpr6
.LBB46_1197:
	s_andn2_b64 vcc, exec, s[46:47]
	s_cbranch_vccnz .LBB46_1199
; %bb.1198:
	global_load_ushort v5, v[0:1], off
	s_movk_i32 s15, 0x7fff
	s_waitcnt vmcnt(0)
	v_cvt_f32_u32_e32 v5, v5
	v_bfe_u32 v6, v5, 16, 1
	v_add3_u32 v5, v5, v6, s15
	v_lshrrev_b32_e32 v6, 16, v5
.LBB46_1199:
	s_mov_b64 s[46:47], 0
.LBB46_1200:
	s_andn2_b64 vcc, exec, s[46:47]
	s_cbranch_vccnz .LBB46_1208
; %bb.1201:
	global_load_ubyte v5, v[0:1], off
	s_movk_i32 s15, 0x7f
	s_mov_b64 s[46:47], 0
	s_waitcnt vmcnt(0)
	v_cmp_lt_i16_e32 vcc, s15, v5
                                        ; implicit-def: $sgpr15
	s_and_saveexec_b64 s[48:49], vcc
	s_xor_b64 s[48:49], exec, s[48:49]
	s_cbranch_execz .LBB46_1222
; %bb.1202:
	s_movk_i32 s15, 0x80
	v_cmp_eq_u16_e32 vcc, s15, v5
	s_mov_b64 s[46:47], -1
                                        ; implicit-def: $sgpr15
	s_and_saveexec_b64 s[50:51], vcc
; %bb.1203:
	s_mov_b32 s15, 0x7f800001
	s_xor_b64 s[46:47], exec, -1
; %bb.1204:
	s_or_b64 exec, exec, s[50:51]
	s_and_b64 s[46:47], s[46:47], exec
	s_or_saveexec_b64 s[48:49], s[48:49]
	v_mov_b32_e32 v6, s15
	s_xor_b64 exec, exec, s[48:49]
	s_cbranch_execnz .LBB46_1223
.LBB46_1205:
	s_or_b64 exec, exec, s[48:49]
	s_and_saveexec_b64 s[48:49], s[46:47]
	s_cbranch_execz .LBB46_1207
.LBB46_1206:
	v_lshlrev_b32_e32 v6, 24, v5
	v_and_b32_e32 v5, 0xffff, v5
	v_and_b32_e32 v8, 7, v5
	v_ffbh_u32_e32 v10, v8
	v_min_u32_e32 v10, 32, v10
	v_subrev_u32_e32 v11, 28, v10
	v_bfe_u32 v9, v5, 3, 4
	v_lshlrev_b32_e32 v5, v11, v5
	v_sub_u32_e32 v10, 29, v10
	v_and_b32_e32 v5, 7, v5
	v_cmp_eq_u32_e32 vcc, 0, v9
	v_cndmask_b32_e32 v9, v9, v10, vcc
	v_cndmask_b32_e32 v5, v8, v5, vcc
	v_mov_b32_e32 v8, 0x3b800000
	v_lshlrev_b32_e32 v5, 20, v5
	v_and_b32_e32 v6, 0x80000000, v6
	v_lshl_add_u32 v8, v9, 23, v8
	v_or3_b32 v6, v6, v8, v5
.LBB46_1207:
	s_or_b64 exec, exec, s[48:49]
	v_bfe_u32 v5, v6, 16, 1
	s_movk_i32 s15, 0x7fff
	v_add3_u32 v5, v6, v5, s15
	v_lshrrev_b32_e32 v5, 16, v5
	v_mov_b32_e32 v8, 0x7fc0
	v_cmp_o_f32_e32 vcc, v6, v6
	v_cndmask_b32_e32 v6, v8, v5, vcc
.LBB46_1208:
	s_mov_b64 s[46:47], -1
.LBB46_1209:
	s_mov_b64 s[48:49], 0
.LBB46_1210:
	s_and_b64 vcc, exec, s[48:49]
	s_cbranch_vccz .LBB46_1243
; %bb.1211:
	v_cmp_lt_i16_e32 vcc, 22, v7
	s_cbranch_vccz .LBB46_1221
; %bb.1212:
	v_cmp_gt_i16_e32 vcc, 24, v7
	s_cbranch_vccnz .LBB46_1224
; %bb.1213:
	v_cmp_lt_i16_e32 vcc, 24, v7
	s_cbranch_vccz .LBB46_1225
; %bb.1214:
	global_load_ubyte v5, v[0:1], off
	s_movk_i32 s15, 0x7f
	s_waitcnt vmcnt(0)
	v_cmp_lt_i16_e32 vcc, s15, v5
                                        ; implicit-def: $sgpr15
	s_and_saveexec_b64 s[46:47], vcc
	s_xor_b64 s[46:47], exec, s[46:47]
	s_cbranch_execz .LBB46_1237
; %bb.1215:
	s_movk_i32 s15, 0x80
	v_cmp_eq_u16_e32 vcc, s15, v5
	s_mov_b64 s[44:45], -1
                                        ; implicit-def: $sgpr15
	s_and_saveexec_b64 s[48:49], vcc
; %bb.1216:
	s_mov_b32 s15, 0x7f800001
	s_xor_b64 s[44:45], exec, -1
; %bb.1217:
	s_or_b64 exec, exec, s[48:49]
	s_and_b64 s[44:45], s[44:45], exec
	s_or_saveexec_b64 s[46:47], s[46:47]
	v_mov_b32_e32 v6, s15
	s_xor_b64 exec, exec, s[46:47]
	s_cbranch_execnz .LBB46_1238
.LBB46_1218:
	s_or_b64 exec, exec, s[46:47]
	s_and_saveexec_b64 s[46:47], s[44:45]
	s_cbranch_execz .LBB46_1220
.LBB46_1219:
	v_lshlrev_b32_e32 v6, 24, v5
	v_and_b32_e32 v5, 0xffff, v5
	v_and_b32_e32 v8, 3, v5
	v_ffbh_u32_e32 v10, v8
	v_min_u32_e32 v10, 32, v10
	v_subrev_u32_e32 v11, 29, v10
	v_bfe_u32 v9, v5, 2, 5
	v_lshlrev_b32_e32 v5, v11, v5
	v_sub_u32_e32 v10, 30, v10
	v_and_b32_e32 v5, 3, v5
	v_cmp_eq_u32_e32 vcc, 0, v9
	v_cndmask_b32_e32 v9, v9, v10, vcc
	v_cndmask_b32_e32 v5, v8, v5, vcc
	v_mov_b32_e32 v8, 0x37800000
	v_lshlrev_b32_e32 v5, 21, v5
	v_and_b32_e32 v6, 0x80000000, v6
	v_lshl_add_u32 v8, v9, 23, v8
	v_or3_b32 v6, v6, v8, v5
.LBB46_1220:
	s_or_b64 exec, exec, s[46:47]
	v_bfe_u32 v5, v6, 16, 1
	s_movk_i32 s15, 0x7fff
	v_add3_u32 v5, v6, v5, s15
	v_lshrrev_b32_e32 v5, 16, v5
	v_mov_b32_e32 v8, 0x7fc0
	v_cmp_o_f32_e32 vcc, v6, v6
	v_cndmask_b32_e32 v6, v8, v5, vcc
	s_mov_b64 s[44:45], 0
	s_branch .LBB46_1226
.LBB46_1221:
	s_mov_b64 s[44:45], -1
                                        ; implicit-def: $vgpr6
	s_branch .LBB46_1232
.LBB46_1222:
	s_or_saveexec_b64 s[48:49], s[48:49]
	v_mov_b32_e32 v6, s15
	s_xor_b64 exec, exec, s[48:49]
	s_cbranch_execz .LBB46_1205
.LBB46_1223:
	v_cmp_ne_u16_e32 vcc, 0, v5
	s_andn2_b64 s[46:47], s[46:47], exec
	s_and_b64 s[50:51], vcc, exec
	v_mov_b32_e32 v6, 0
	s_or_b64 s[46:47], s[46:47], s[50:51]
	s_or_b64 exec, exec, s[48:49]
	s_and_saveexec_b64 s[48:49], s[46:47]
	s_cbranch_execnz .LBB46_1206
	s_branch .LBB46_1207
.LBB46_1224:
	s_mov_b64 s[44:45], -1
                                        ; implicit-def: $vgpr6
	s_branch .LBB46_1229
.LBB46_1225:
	s_mov_b64 s[44:45], -1
                                        ; implicit-def: $vgpr6
.LBB46_1226:
	s_and_b64 vcc, exec, s[44:45]
	s_cbranch_vccz .LBB46_1228
; %bb.1227:
	global_load_ubyte v5, v[0:1], off
	s_mov_b32 s15, 0x7f800000
	s_brev_b32 s33, 1
	s_movk_i32 s44, 0x7fff
	s_waitcnt vmcnt(1)
	v_mov_b32_e32 v6, 0x7fc0
	s_waitcnt vmcnt(0)
	v_lshlrev_b32_e32 v5, 24, v5
	v_and_b32_e32 v8, 0x7f000000, v5
	v_ffbh_u32_e32 v9, v8
	v_min_u32_e32 v9, 32, v9
	v_sub_u32_e64 v9, v9, 4 clamp
	v_lshlrev_b32_e32 v11, v9, v8
	v_lshlrev_b32_e32 v9, 23, v9
	v_lshrrev_b32_e32 v11, 4, v11
	v_add_u32_e32 v10, 0x1000000, v8
	v_sub_u32_e32 v9, v11, v9
	v_ashrrev_i32_e32 v10, 8, v10
	v_add_u32_e32 v9, 0x3c000000, v9
	v_and_or_b32 v9, v10, s15, v9
	v_cmp_ne_u32_e32 vcc, 0, v8
	v_cndmask_b32_e32 v8, 0, v9, vcc
	v_and_or_b32 v5, v5, s33, v8
	v_bfe_u32 v8, v8, 16, 1
	v_add3_u32 v8, v5, v8, s44
	v_lshrrev_b32_e32 v8, 16, v8
	v_cmp_o_f32_e32 vcc, v5, v5
	v_cndmask_b32_e32 v6, v6, v8, vcc
.LBB46_1228:
	s_mov_b64 s[44:45], 0
.LBB46_1229:
	s_andn2_b64 vcc, exec, s[44:45]
	s_cbranch_vccnz .LBB46_1231
; %bb.1230:
	global_load_ubyte v5, v[0:1], off
	s_movk_i32 s15, 0x7f00
	s_brev_b32 s33, 16
	s_brev_b32 s44, 1
	s_movk_i32 s45, 0x7fff
	s_waitcnt vmcnt(1)
	v_mov_b32_e32 v6, 0x7fc0
	s_waitcnt vmcnt(0)
	v_lshlrev_b16_e32 v8, 8, v5
	v_lshlrev_b32_e32 v5, 25, v5
	v_lshrrev_b32_e32 v9, 4, v5
	v_and_or_b32 v10, v8, s15, 0.5
	v_or_b32_e32 v9, 0x70000000, v9
	v_add_f32_e32 v10, -0.5, v10
	v_mul_f32_e32 v9, 0x7800000, v9
	v_cmp_gt_u32_e32 vcc, s33, v5
	v_bfe_i32 v8, v8, 0, 16
	v_cndmask_b32_e32 v5, v9, v10, vcc
	v_and_or_b32 v8, v8, s44, v5
	v_bfe_u32 v5, v5, 16, 1
	v_add3_u32 v5, v8, v5, s45
	v_lshrrev_b32_e32 v5, 16, v5
	v_cmp_o_f32_e32 vcc, v8, v8
	v_cndmask_b32_e32 v6, v6, v5, vcc
.LBB46_1231:
	s_mov_b64 s[44:45], 0
	s_mov_b64 s[46:47], -1
.LBB46_1232:
	s_andn2_b64 vcc, exec, s[44:45]
	s_mov_b64 s[44:45], 0
	s_cbranch_vccnz .LBB46_1243
; %bb.1233:
	v_cmp_lt_i16_e32 vcc, 14, v7
	s_cbranch_vccz .LBB46_1236
; %bb.1234:
	v_cmp_eq_u16_e32 vcc, 15, v7
	s_cbranch_vccz .LBB46_1239
; %bb.1235:
	global_load_ushort v6, v[0:1], off
	s_mov_b64 s[42:43], 0
	s_mov_b64 s[46:47], -1
	s_branch .LBB46_1240
.LBB46_1236:
	s_mov_b64 s[48:49], -1
                                        ; implicit-def: $vgpr6
	s_branch .LBB46_1241
.LBB46_1237:
	s_or_saveexec_b64 s[46:47], s[46:47]
	v_mov_b32_e32 v6, s15
	s_xor_b64 exec, exec, s[46:47]
	s_cbranch_execz .LBB46_1218
.LBB46_1238:
	v_cmp_ne_u16_e32 vcc, 0, v5
	s_andn2_b64 s[44:45], s[44:45], exec
	s_and_b64 s[48:49], vcc, exec
	v_mov_b32_e32 v6, 0
	s_or_b64 s[44:45], s[44:45], s[48:49]
	s_or_b64 exec, exec, s[46:47]
	s_and_saveexec_b64 s[46:47], s[44:45]
	s_cbranch_execnz .LBB46_1219
	s_branch .LBB46_1220
.LBB46_1239:
	s_mov_b64 s[42:43], -1
                                        ; implicit-def: $vgpr6
.LBB46_1240:
	s_mov_b64 s[48:49], 0
.LBB46_1241:
	s_and_b64 vcc, exec, s[48:49]
	s_cbranch_vccz .LBB46_1243
; %bb.1242:
	v_cmp_ne_u16_e32 vcc, 11, v7
	s_andn2_b64 s[42:43], s[42:43], exec
	s_and_b64 s[48:49], vcc, exec
	s_mov_b64 s[44:45], -1
	s_or_b64 s[42:43], s[42:43], s[48:49]
                                        ; implicit-def: $vgpr6
.LBB46_1243:
	s_mov_b64 s[48:49], 0
.LBB46_1244:
	s_and_b64 s[52:53], s[46:47], exec
	s_and_b64 s[46:47], s[44:45], exec
	s_andn2_b64 s[44:45], s[0:1], exec
	s_and_b64 s[42:43], s[42:43], exec
	s_and_b64 s[50:51], s[48:49], exec
	s_or_b64 s[48:49], s[44:45], s[42:43]
.LBB46_1245:
	s_or_b64 exec, exec, s[36:37]
	s_and_b64 s[42:43], s[46:47], exec
	s_andn2_b64 s[0:1], s[0:1], exec
	s_and_b64 s[46:47], s[48:49], exec
	s_and_b64 s[44:45], s[52:53], exec
	;; [unrolled: 1-line block ×3, first 2 shown]
	s_or_b64 s[0:1], s[0:1], s[46:47]
.LBB46_1246:
	s_or_b64 exec, exec, s[34:35]
	s_andn2_b64 s[28:29], s[28:29], exec
	s_and_b64 s[34:35], s[40:41], exec
	s_or_b64 s[28:29], s[28:29], s[34:35]
	s_andn2_b64 s[26:27], s[26:27], exec
	s_and_b64 s[34:35], s[38:39], exec
	s_andn2_b64 s[24:25], s[24:25], exec
	s_and_b64 s[0:1], s[0:1], exec
	s_or_b64 s[26:27], s[26:27], s[34:35]
	s_and_b64 s[38:39], s[44:45], exec
	s_and_b64 s[36:37], s[36:37], exec
	;; [unrolled: 1-line block ×3, first 2 shown]
	s_or_b64 s[24:25], s[24:25], s[0:1]
.LBB46_1247:
	s_or_b64 exec, exec, s[30:31]
	s_andn2_b64 s[0:1], s[6:7], exec
	s_and_b64 s[6:7], s[28:29], exec
	s_or_b64 s[6:7], s[0:1], s[6:7]
	s_andn2_b64 s[0:1], s[18:19], exec
	s_and_b64 s[18:19], s[26:27], exec
	s_or_b64 s[18:19], s[0:1], s[18:19]
	s_andn2_b64 s[0:1], s[20:21], exec
	s_and_b64 s[20:21], s[24:25], exec
	s_and_b64 s[28:29], s[38:39], exec
	;; [unrolled: 1-line block ×4, first 2 shown]
	s_or_b64 s[20:21], s[0:1], s[20:21]
	s_or_b64 exec, exec, s[22:23]
	s_mov_b64 s[22:23], 0
	s_and_saveexec_b64 s[0:1], s[20:21]
	s_cbranch_execz .LBB46_393
.LBB46_1248:
	s_mov_b64 s[22:23], exec
	s_andn2_b64 s[26:27], s[26:27], exec
	s_trap 2
                                        ; implicit-def: $vgpr6
	s_or_b64 exec, exec, s[0:1]
	s_and_saveexec_b64 s[0:1], s[26:27]
	s_xor_b64 s[0:1], exec, s[0:1]
	s_cbranch_execnz .LBB46_394
.LBB46_1249:
	s_or_b64 exec, exec, s[0:1]
	s_and_saveexec_b64 s[0:1], s[30:31]
	s_cbranch_execz .LBB46_1295
.LBB46_1250:
	v_cmp_gt_i16_e32 vcc, 5, v7
	s_cbranch_vccnz .LBB46_1255
; %bb.1251:
	v_cmp_gt_i16_e32 vcc, 8, v7
	s_cbranch_vccnz .LBB46_1256
; %bb.1252:
	;; [unrolled: 3-line block ×3, first 2 shown]
	v_cmp_lt_i16_e32 vcc, 9, v7
	s_cbranch_vccz .LBB46_1258
; %bb.1254:
	global_load_dwordx2 v[8:9], v[0:1], off
	s_movk_i32 s15, 0x7fff
	v_mov_b32_e32 v5, 0x7fc0
	s_mov_b64 s[20:21], 0
	s_waitcnt vmcnt(0)
	v_cvt_f32_f64_e32 v6, v[8:9]
	v_bfe_u32 v8, v6, 16, 1
	v_add3_u32 v8, v6, v8, s15
	v_lshrrev_b32_e32 v8, 16, v8
	v_cmp_o_f32_e32 vcc, v6, v6
	v_cndmask_b32_e32 v6, v5, v8, vcc
	s_branch .LBB46_1259
.LBB46_1255:
                                        ; implicit-def: $vgpr6
	s_branch .LBB46_1276
.LBB46_1256:
                                        ; implicit-def: $vgpr6
	s_branch .LBB46_1265
.LBB46_1257:
	s_mov_b64 s[20:21], -1
                                        ; implicit-def: $vgpr6
	s_branch .LBB46_1262
.LBB46_1258:
	s_mov_b64 s[20:21], -1
                                        ; implicit-def: $vgpr6
.LBB46_1259:
	s_andn2_b64 vcc, exec, s[20:21]
	s_cbranch_vccnz .LBB46_1261
; %bb.1260:
	global_load_dword v5, v[0:1], off
	s_movk_i32 s15, 0x7fff
	s_waitcnt vmcnt(1)
	v_mov_b32_e32 v6, 0x7fc0
	s_waitcnt vmcnt(0)
	v_bfe_u32 v8, v5, 16, 1
	v_add3_u32 v8, v5, v8, s15
	v_lshrrev_b32_e32 v8, 16, v8
	v_cmp_o_f32_e32 vcc, v5, v5
	v_cndmask_b32_e32 v6, v6, v8, vcc
.LBB46_1261:
	s_mov_b64 s[20:21], 0
.LBB46_1262:
	s_andn2_b64 vcc, exec, s[20:21]
	s_cbranch_vccnz .LBB46_1264
; %bb.1263:
	global_load_dword v5, v[0:1], off
	s_movk_i32 s15, 0x7fff
	s_waitcnt vmcnt(1)
	v_mov_b32_e32 v8, 0x7fc0
	s_waitcnt vmcnt(0)
	v_cvt_f32_f16_e32 v6, v5
	v_cmp_o_f16_e32 vcc, v5, v5
	v_bfe_u32 v9, v6, 16, 1
	v_add3_u32 v6, v6, v9, s15
	v_lshrrev_b32_e32 v6, 16, v6
	v_cndmask_b32_e32 v6, v8, v6, vcc
.LBB46_1264:
	s_cbranch_execnz .LBB46_1275
.LBB46_1265:
	v_cmp_gt_i16_e32 vcc, 6, v7
	s_cbranch_vccnz .LBB46_1268
; %bb.1266:
	v_cmp_lt_i16_e32 vcc, 6, v7
	s_cbranch_vccz .LBB46_1269
; %bb.1267:
	global_load_dwordx2 v[8:9], v[0:1], off
	s_movk_i32 s15, 0x7fff
	v_mov_b32_e32 v5, 0x7fc0
	s_mov_b64 s[20:21], 0
	s_waitcnt vmcnt(0)
	v_cvt_f32_f64_e32 v6, v[8:9]
	v_bfe_u32 v8, v6, 16, 1
	v_add3_u32 v8, v6, v8, s15
	v_lshrrev_b32_e32 v8, 16, v8
	v_cmp_o_f32_e32 vcc, v6, v6
	v_cndmask_b32_e32 v6, v5, v8, vcc
	s_branch .LBB46_1270
.LBB46_1268:
	s_mov_b64 s[20:21], -1
                                        ; implicit-def: $vgpr6
	s_branch .LBB46_1273
.LBB46_1269:
	s_mov_b64 s[20:21], -1
                                        ; implicit-def: $vgpr6
.LBB46_1270:
	s_andn2_b64 vcc, exec, s[20:21]
	s_cbranch_vccnz .LBB46_1272
; %bb.1271:
	global_load_dword v5, v[0:1], off
	s_movk_i32 s15, 0x7fff
	s_waitcnt vmcnt(1)
	v_mov_b32_e32 v6, 0x7fc0
	s_waitcnt vmcnt(0)
	v_bfe_u32 v8, v5, 16, 1
	v_add3_u32 v8, v5, v8, s15
	v_lshrrev_b32_e32 v8, 16, v8
	v_cmp_o_f32_e32 vcc, v5, v5
	v_cndmask_b32_e32 v6, v6, v8, vcc
.LBB46_1272:
	s_mov_b64 s[20:21], 0
.LBB46_1273:
	s_andn2_b64 vcc, exec, s[20:21]
	s_cbranch_vccnz .LBB46_1275
; %bb.1274:
	global_load_ushort v5, v[0:1], off
	s_movk_i32 s15, 0x7fff
	s_waitcnt vmcnt(1)
	v_mov_b32_e32 v8, 0x7fc0
	s_waitcnt vmcnt(0)
	v_cvt_f32_f16_e32 v6, v5
	v_cmp_o_f16_e32 vcc, v5, v5
	v_bfe_u32 v9, v6, 16, 1
	v_add3_u32 v6, v6, v9, s15
	v_lshrrev_b32_e32 v6, 16, v6
	v_cndmask_b32_e32 v6, v8, v6, vcc
.LBB46_1275:
	s_cbranch_execnz .LBB46_1294
.LBB46_1276:
	v_cmp_gt_i16_e32 vcc, 2, v7
	s_cbranch_vccnz .LBB46_1280
; %bb.1277:
	v_cmp_gt_i16_e32 vcc, 3, v7
	s_cbranch_vccnz .LBB46_1281
; %bb.1278:
	v_cmp_lt_i16_e32 vcc, 3, v7
	s_cbranch_vccz .LBB46_1282
; %bb.1279:
	global_load_dwordx2 v[8:9], v[0:1], off
	s_movk_i32 s15, 0x7fff
	s_mov_b64 s[20:21], 0
	s_waitcnt vmcnt(0)
	v_xor_b32_e32 v6, v8, v9
	v_ffbh_i32_e32 v5, v9
	v_ashrrev_i32_e32 v6, 31, v6
	v_add_u32_e32 v5, -1, v5
	v_add_u32_e32 v6, 32, v6
	v_min_u32_e32 v5, v5, v6
	v_lshlrev_b64 v[8:9], v5, v[8:9]
	v_min_u32_e32 v6, 1, v8
	v_or_b32_e32 v6, v9, v6
	v_cvt_f32_i32_e32 v6, v6
	v_sub_u32_e32 v5, 32, v5
	v_ldexp_f32 v5, v6, v5
	v_bfe_u32 v6, v5, 16, 1
	v_add3_u32 v5, v5, v6, s15
	v_lshrrev_b32_e32 v6, 16, v5
	s_branch .LBB46_1283
.LBB46_1280:
                                        ; implicit-def: $vgpr6
	s_branch .LBB46_1289
.LBB46_1281:
	s_mov_b64 s[20:21], -1
                                        ; implicit-def: $vgpr6
	s_branch .LBB46_1286
.LBB46_1282:
	s_mov_b64 s[20:21], -1
                                        ; implicit-def: $vgpr6
.LBB46_1283:
	s_andn2_b64 vcc, exec, s[20:21]
	s_cbranch_vccnz .LBB46_1285
; %bb.1284:
	global_load_dword v5, v[0:1], off
	s_movk_i32 s15, 0x7fff
	s_waitcnt vmcnt(0)
	v_cvt_f32_i32_e32 v5, v5
	v_bfe_u32 v6, v5, 16, 1
	v_add3_u32 v5, v5, v6, s15
	v_lshrrev_b32_e32 v6, 16, v5
.LBB46_1285:
	s_mov_b64 s[20:21], 0
.LBB46_1286:
	s_andn2_b64 vcc, exec, s[20:21]
	s_cbranch_vccnz .LBB46_1288
; %bb.1287:
	global_load_sshort v5, v[0:1], off
	s_movk_i32 s15, 0x7fff
	s_waitcnt vmcnt(0)
	v_cvt_f32_i32_e32 v5, v5
	v_bfe_u32 v6, v5, 16, 1
	v_add3_u32 v5, v5, v6, s15
	v_lshrrev_b32_e32 v6, 16, v5
.LBB46_1288:
	s_cbranch_execnz .LBB46_1294
.LBB46_1289:
	v_cmp_lt_i16_e32 vcc, 0, v7
	s_cbranch_vccz .LBB46_1291
; %bb.1290:
	global_load_sbyte v5, v[0:1], off
	s_movk_i32 s15, 0x7fff
	s_mov_b64 s[20:21], 0
	s_waitcnt vmcnt(0)
	v_cvt_f32_i32_e32 v5, v5
	v_bfe_u32 v6, v5, 16, 1
	v_add3_u32 v5, v5, v6, s15
	v_lshrrev_b32_e32 v6, 16, v5
	s_branch .LBB46_1292
.LBB46_1291:
	s_mov_b64 s[20:21], -1
                                        ; implicit-def: $vgpr6
.LBB46_1292:
	s_andn2_b64 vcc, exec, s[20:21]
	s_cbranch_vccnz .LBB46_1294
; %bb.1293:
	global_load_ubyte v0, v[0:1], off
	s_movk_i32 s15, 0x7fff
	s_waitcnt vmcnt(0)
	v_cvt_f32_ubyte0_e32 v0, v0
	v_bfe_u32 v1, v0, 16, 1
	v_add3_u32 v0, v0, v1, s15
	v_lshrrev_b32_e32 v6, 16, v0
.LBB46_1294:
	s_or_b64 s[28:29], s[28:29], exec
.LBB46_1295:
	s_or_b64 exec, exec, s[0:1]
	s_mov_b64 s[26:27], 0
	s_mov_b64 s[30:31], 0
	;; [unrolled: 1-line block ×3, first 2 shown]
                                        ; implicit-def: $vgpr5
                                        ; implicit-def: $vgpr0_vgpr1
                                        ; implicit-def: $vgpr8
	s_and_saveexec_b64 s[0:1], s[28:29]
	s_cbranch_execz .LBB46_1303
; %bb.1296:
	v_mul_lo_u32 v0, v3, s14
	v_ashrrev_i32_e32 v1, 31, v0
	v_mov_b32_e32 v5, s3
	v_add_co_u32_e32 v0, vcc, s2, v0
	v_addc_co_u32_e32 v1, vcc, v5, v1, vcc
	s_waitcnt vmcnt(0)
	v_and_b32_e32 v5, 0xff, v4
	v_cmp_gt_i16_e32 vcc, 11, v5
	s_cbranch_vccnz .LBB46_1306
; %bb.1297:
	v_cmp_lt_i16_e32 vcc, 25, v5
	s_cbranch_vccz .LBB46_1307
; %bb.1298:
	v_cmp_lt_i16_e32 vcc, 28, v5
	s_cbranch_vccz .LBB46_1308
	;; [unrolled: 3-line block ×4, first 2 shown]
; %bb.1301:
	v_cmp_eq_u16_e32 vcc, 46, v5
	s_mov_b64 s[28:29], 0
	s_cbranch_vccz .LBB46_1311
; %bb.1302:
	global_load_dword v8, v[0:1], off
	s_mov_b64 s[20:21], 0
	s_mov_b64 s[24:25], -1
	s_branch .LBB46_1313
.LBB46_1303:
	s_or_b64 exec, exec, s[0:1]
	s_and_saveexec_b64 s[0:1], s[18:19]
	s_cbranch_execnz .LBB46_1376
.LBB46_1304:
	s_or_b64 exec, exec, s[0:1]
	s_and_saveexec_b64 s[0:1], s[26:27]
	s_xor_b64 s[0:1], exec, s[0:1]
	s_cbranch_execz .LBB46_1377
.LBB46_1305:
	global_load_ubyte v4, v[0:1], off
	s_or_b64 s[24:25], s[24:25], exec
	s_waitcnt vmcnt(0)
	v_cmp_ne_u16_e32 vcc, 0, v4
	v_cndmask_b32_e64 v4, 0, 1.0, vcc
	v_lshrrev_b32_e32 v8, 16, v4
	s_or_b64 exec, exec, s[0:1]
	s_and_saveexec_b64 s[0:1], s[30:31]
	s_cbranch_execz .LBB46_1423
	s_branch .LBB46_1378
.LBB46_1306:
	s_mov_b64 s[28:29], -1
                                        ; implicit-def: $vgpr8
	s_mov_b64 s[20:21], s[18:19]
	s_branch .LBB46_1375
.LBB46_1307:
	s_mov_b64 s[20:21], s[18:19]
                                        ; implicit-def: $vgpr8
	s_cbranch_execnz .LBB46_1342
	s_branch .LBB46_1374
.LBB46_1308:
	s_mov_b64 s[28:29], -1
	s_mov_b64 s[20:21], s[18:19]
                                        ; implicit-def: $vgpr8
	s_branch .LBB46_1323
.LBB46_1309:
	s_mov_b64 s[28:29], -1
	s_mov_b64 s[20:21], s[18:19]
                                        ; implicit-def: $vgpr8
	s_branch .LBB46_1318
.LBB46_1310:
	s_mov_b64 s[28:29], -1
	s_mov_b64 s[20:21], s[18:19]
	s_branch .LBB46_1312
.LBB46_1311:
	s_mov_b64 s[20:21], -1
.LBB46_1312:
                                        ; implicit-def: $vgpr8
.LBB46_1313:
	s_and_b64 vcc, exec, s[28:29]
	s_cbranch_vccz .LBB46_1317
; %bb.1314:
	v_cmp_eq_u16_e32 vcc, 44, v5
	s_cbranch_vccz .LBB46_1316
; %bb.1315:
	global_load_ubyte v4, v[0:1], off
	s_movk_i32 s15, 0xff
	v_mov_b32_e32 v7, 0x7f800001
	s_waitcnt vmcnt(1)
	v_mov_b32_e32 v8, 0x400000
	v_mov_b32_e32 v9, 0x7fc0
	s_mov_b64 s[20:21], 0
	s_mov_b64 s[24:25], -1
	s_waitcnt vmcnt(0)
	v_lshlrev_b32_e32 v10, 23, v4
	v_cmp_ne_u32_e32 vcc, s15, v4
	v_cndmask_b32_e32 v7, v7, v10, vcc
	v_cmp_ne_u32_e32 vcc, 0, v4
	v_cndmask_b32_e32 v4, v8, v7, vcc
	v_add_u32_e32 v7, 0x7fff, v4
	v_lshrrev_b32_e32 v7, 16, v7
	v_cmp_o_f32_e32 vcc, v4, v4
	v_cndmask_b32_e32 v8, v9, v7, vcc
	s_branch .LBB46_1317
.LBB46_1316:
	s_mov_b64 s[20:21], -1
                                        ; implicit-def: $vgpr8
.LBB46_1317:
	s_mov_b64 s[28:29], 0
.LBB46_1318:
	s_and_b64 vcc, exec, s[28:29]
	s_cbranch_vccz .LBB46_1322
; %bb.1319:
	v_cmp_eq_u16_e32 vcc, 29, v5
	s_cbranch_vccz .LBB46_1321
; %bb.1320:
	global_load_dwordx2 v[8:9], v[0:1], off
	s_movk_i32 s15, 0x7fff
	s_mov_b64 s[20:21], 0
	s_mov_b64 s[24:25], -1
	s_mov_b64 s[28:29], 0
	s_waitcnt vmcnt(0)
	v_ffbh_u32_e32 v4, v9
	v_min_u32_e32 v4, 32, v4
	v_lshlrev_b64 v[8:9], v4, v[8:9]
	v_min_u32_e32 v7, 1, v8
	v_or_b32_e32 v7, v9, v7
	v_cvt_f32_u32_e32 v7, v7
	v_sub_u32_e32 v4, 32, v4
	v_ldexp_f32 v4, v7, v4
	v_bfe_u32 v7, v4, 16, 1
	v_add3_u32 v4, v4, v7, s15
	v_lshrrev_b32_e32 v8, 16, v4
	s_branch .LBB46_1323
.LBB46_1321:
	s_mov_b64 s[20:21], -1
                                        ; implicit-def: $vgpr8
.LBB46_1322:
	s_mov_b64 s[28:29], 0
.LBB46_1323:
	s_and_b64 vcc, exec, s[28:29]
	s_cbranch_vccz .LBB46_1341
; %bb.1324:
	v_cmp_gt_i16_e32 vcc, 27, v5
	s_cbranch_vccnz .LBB46_1327
; %bb.1325:
	v_cmp_lt_i16_e32 vcc, 27, v5
	s_cbranch_vccz .LBB46_1328
; %bb.1326:
	global_load_dword v4, v[0:1], off
	s_movk_i32 s15, 0x7fff
	s_mov_b64 s[24:25], 0
	s_waitcnt vmcnt(0)
	v_cvt_f32_u32_e32 v4, v4
	v_bfe_u32 v7, v4, 16, 1
	v_add3_u32 v4, v4, v7, s15
	v_lshrrev_b32_e32 v8, 16, v4
	s_branch .LBB46_1329
.LBB46_1327:
	s_mov_b64 s[24:25], -1
                                        ; implicit-def: $vgpr8
	s_branch .LBB46_1332
.LBB46_1328:
	s_mov_b64 s[24:25], -1
                                        ; implicit-def: $vgpr8
.LBB46_1329:
	s_andn2_b64 vcc, exec, s[24:25]
	s_cbranch_vccnz .LBB46_1331
; %bb.1330:
	global_load_ushort v4, v[0:1], off
	s_movk_i32 s15, 0x7fff
	s_waitcnt vmcnt(0)
	v_cvt_f32_u32_e32 v4, v4
	v_bfe_u32 v7, v4, 16, 1
	v_add3_u32 v4, v4, v7, s15
	v_lshrrev_b32_e32 v8, 16, v4
.LBB46_1331:
	s_mov_b64 s[24:25], 0
.LBB46_1332:
	s_andn2_b64 vcc, exec, s[24:25]
	s_cbranch_vccnz .LBB46_1340
; %bb.1333:
	global_load_ubyte v4, v[0:1], off
	s_movk_i32 s15, 0x7f
	s_mov_b64 s[24:25], 0
	s_waitcnt vmcnt(0)
	v_cmp_lt_i16_e32 vcc, s15, v4
                                        ; implicit-def: $sgpr15
	s_and_saveexec_b64 s[28:29], vcc
	s_xor_b64 s[28:29], exec, s[28:29]
	s_cbranch_execz .LBB46_1353
; %bb.1334:
	s_movk_i32 s15, 0x80
	v_cmp_eq_u16_e32 vcc, s15, v4
	s_mov_b64 s[24:25], -1
                                        ; implicit-def: $sgpr15
	s_and_saveexec_b64 s[30:31], vcc
; %bb.1335:
	s_mov_b32 s15, 0x7f800001
	s_xor_b64 s[24:25], exec, -1
; %bb.1336:
	s_or_b64 exec, exec, s[30:31]
	s_and_b64 s[24:25], s[24:25], exec
	s_or_saveexec_b64 s[28:29], s[28:29]
	v_mov_b32_e32 v7, s15
	s_xor_b64 exec, exec, s[28:29]
	s_cbranch_execnz .LBB46_1354
.LBB46_1337:
	s_or_b64 exec, exec, s[28:29]
	s_and_saveexec_b64 s[28:29], s[24:25]
	s_cbranch_execz .LBB46_1339
.LBB46_1338:
	v_lshlrev_b32_e32 v7, 24, v4
	v_and_b32_e32 v4, 0xffff, v4
	v_and_b32_e32 v8, 7, v4
	v_ffbh_u32_e32 v10, v8
	v_min_u32_e32 v10, 32, v10
	v_subrev_u32_e32 v11, 28, v10
	v_bfe_u32 v9, v4, 3, 4
	v_lshlrev_b32_e32 v4, v11, v4
	v_sub_u32_e32 v10, 29, v10
	v_and_b32_e32 v4, 7, v4
	v_cmp_eq_u32_e32 vcc, 0, v9
	v_cndmask_b32_e32 v9, v9, v10, vcc
	v_cndmask_b32_e32 v4, v8, v4, vcc
	v_mov_b32_e32 v8, 0x3b800000
	v_lshlrev_b32_e32 v4, 20, v4
	v_and_b32_e32 v7, 0x80000000, v7
	v_lshl_add_u32 v8, v9, 23, v8
	v_or3_b32 v7, v7, v8, v4
.LBB46_1339:
	s_or_b64 exec, exec, s[28:29]
	v_bfe_u32 v4, v7, 16, 1
	s_movk_i32 s15, 0x7fff
	v_add3_u32 v4, v7, v4, s15
	v_lshrrev_b32_e32 v4, 16, v4
	v_mov_b32_e32 v8, 0x7fc0
	v_cmp_o_f32_e32 vcc, v7, v7
	v_cndmask_b32_e32 v8, v8, v4, vcc
.LBB46_1340:
	s_mov_b64 s[24:25], -1
.LBB46_1341:
	s_branch .LBB46_1374
.LBB46_1342:
	v_cmp_lt_i16_e32 vcc, 22, v5
	s_cbranch_vccz .LBB46_1352
; %bb.1343:
	v_cmp_gt_i16_e32 vcc, 24, v5
	s_cbranch_vccnz .LBB46_1355
; %bb.1344:
	v_cmp_lt_i16_e32 vcc, 24, v5
	s_cbranch_vccz .LBB46_1356
; %bb.1345:
	global_load_ubyte v4, v[0:1], off
	s_movk_i32 s15, 0x7f
	s_mov_b64 s[24:25], 0
	s_waitcnt vmcnt(0)
	v_cmp_lt_i16_e32 vcc, s15, v4
                                        ; implicit-def: $sgpr15
	s_and_saveexec_b64 s[26:27], vcc
	s_xor_b64 s[26:27], exec, s[26:27]
	s_cbranch_execz .LBB46_1368
; %bb.1346:
	s_movk_i32 s15, 0x80
	v_cmp_eq_u16_e32 vcc, s15, v4
	s_mov_b64 s[24:25], -1
                                        ; implicit-def: $sgpr15
	s_and_saveexec_b64 s[28:29], vcc
; %bb.1347:
	s_mov_b32 s15, 0x7f800001
	s_xor_b64 s[24:25], exec, -1
; %bb.1348:
	s_or_b64 exec, exec, s[28:29]
	s_and_b64 s[24:25], s[24:25], exec
	s_or_saveexec_b64 s[26:27], s[26:27]
	v_mov_b32_e32 v7, s15
	s_xor_b64 exec, exec, s[26:27]
	s_cbranch_execnz .LBB46_1369
.LBB46_1349:
	s_or_b64 exec, exec, s[26:27]
	s_and_saveexec_b64 s[26:27], s[24:25]
	s_cbranch_execz .LBB46_1351
.LBB46_1350:
	v_lshlrev_b32_e32 v7, 24, v4
	v_and_b32_e32 v4, 0xffff, v4
	v_and_b32_e32 v8, 3, v4
	v_ffbh_u32_e32 v10, v8
	v_min_u32_e32 v10, 32, v10
	v_subrev_u32_e32 v11, 29, v10
	v_bfe_u32 v9, v4, 2, 5
	v_lshlrev_b32_e32 v4, v11, v4
	v_sub_u32_e32 v10, 30, v10
	v_and_b32_e32 v4, 3, v4
	v_cmp_eq_u32_e32 vcc, 0, v9
	v_cndmask_b32_e32 v9, v9, v10, vcc
	v_cndmask_b32_e32 v4, v8, v4, vcc
	v_mov_b32_e32 v8, 0x37800000
	v_lshlrev_b32_e32 v4, 21, v4
	v_and_b32_e32 v7, 0x80000000, v7
	v_lshl_add_u32 v8, v9, 23, v8
	v_or3_b32 v7, v7, v8, v4
.LBB46_1351:
	s_or_b64 exec, exec, s[26:27]
	v_bfe_u32 v4, v7, 16, 1
	s_movk_i32 s15, 0x7fff
	v_add3_u32 v4, v7, v4, s15
	v_lshrrev_b32_e32 v4, 16, v4
	v_mov_b32_e32 v8, 0x7fc0
	v_cmp_o_f32_e32 vcc, v7, v7
	v_cndmask_b32_e32 v8, v8, v4, vcc
	s_mov_b64 s[24:25], 0
	s_branch .LBB46_1357
.LBB46_1352:
	s_mov_b64 s[26:27], -1
                                        ; implicit-def: $vgpr8
	s_branch .LBB46_1363
.LBB46_1353:
	s_or_saveexec_b64 s[28:29], s[28:29]
	v_mov_b32_e32 v7, s15
	s_xor_b64 exec, exec, s[28:29]
	s_cbranch_execz .LBB46_1337
.LBB46_1354:
	v_cmp_ne_u16_e32 vcc, 0, v4
	s_andn2_b64 s[24:25], s[24:25], exec
	s_and_b64 s[30:31], vcc, exec
	v_mov_b32_e32 v7, 0
	s_or_b64 s[24:25], s[24:25], s[30:31]
	s_or_b64 exec, exec, s[28:29]
	s_and_saveexec_b64 s[28:29], s[24:25]
	s_cbranch_execnz .LBB46_1338
	s_branch .LBB46_1339
.LBB46_1355:
	s_mov_b64 s[24:25], -1
                                        ; implicit-def: $vgpr8
	s_branch .LBB46_1360
.LBB46_1356:
	s_mov_b64 s[24:25], -1
                                        ; implicit-def: $vgpr8
.LBB46_1357:
	s_and_b64 vcc, exec, s[24:25]
	s_cbranch_vccz .LBB46_1359
; %bb.1358:
	global_load_ubyte v4, v[0:1], off
	s_mov_b32 s15, 0x7f800000
	s_brev_b32 s24, 1
	s_movk_i32 s25, 0x7fff
	v_mov_b32_e32 v7, 0x7fc0
	s_waitcnt vmcnt(0)
	v_lshlrev_b32_e32 v4, 24, v4
	v_and_b32_e32 v8, 0x7f000000, v4
	v_ffbh_u32_e32 v9, v8
	v_min_u32_e32 v9, 32, v9
	v_sub_u32_e64 v9, v9, 4 clamp
	v_lshlrev_b32_e32 v11, v9, v8
	v_lshlrev_b32_e32 v9, 23, v9
	v_lshrrev_b32_e32 v11, 4, v11
	v_add_u32_e32 v10, 0x1000000, v8
	v_sub_u32_e32 v9, v11, v9
	v_ashrrev_i32_e32 v10, 8, v10
	v_add_u32_e32 v9, 0x3c000000, v9
	v_and_or_b32 v9, v10, s15, v9
	v_cmp_ne_u32_e32 vcc, 0, v8
	v_cndmask_b32_e32 v8, 0, v9, vcc
	v_and_or_b32 v4, v4, s24, v8
	v_bfe_u32 v8, v8, 16, 1
	v_add3_u32 v8, v4, v8, s25
	v_lshrrev_b32_e32 v8, 16, v8
	v_cmp_o_f32_e32 vcc, v4, v4
	v_cndmask_b32_e32 v8, v7, v8, vcc
.LBB46_1359:
	s_mov_b64 s[24:25], 0
.LBB46_1360:
	s_andn2_b64 vcc, exec, s[24:25]
	s_cbranch_vccnz .LBB46_1362
; %bb.1361:
	global_load_ubyte v4, v[0:1], off
	s_movk_i32 s15, 0x7f00
	s_brev_b32 s24, 16
	s_brev_b32 s25, 1
	s_movk_i32 s26, 0x7fff
	v_mov_b32_e32 v7, 0x7fc0
	s_waitcnt vmcnt(0)
	v_lshlrev_b16_e32 v8, 8, v4
	v_lshlrev_b32_e32 v4, 25, v4
	v_lshrrev_b32_e32 v9, 4, v4
	v_and_or_b32 v10, v8, s15, 0.5
	v_or_b32_e32 v9, 0x70000000, v9
	v_add_f32_e32 v10, -0.5, v10
	v_mul_f32_e32 v9, 0x7800000, v9
	v_cmp_gt_u32_e32 vcc, s24, v4
	v_bfe_i32 v8, v8, 0, 16
	v_cndmask_b32_e32 v4, v9, v10, vcc
	v_and_or_b32 v8, v8, s25, v4
	v_bfe_u32 v4, v4, 16, 1
	v_add3_u32 v4, v8, v4, s26
	v_lshrrev_b32_e32 v4, 16, v4
	v_cmp_o_f32_e32 vcc, v8, v8
	v_cndmask_b32_e32 v8, v7, v4, vcc
.LBB46_1362:
	s_mov_b64 s[26:27], 0
	s_mov_b64 s[24:25], -1
.LBB46_1363:
	s_andn2_b64 vcc, exec, s[26:27]
	s_mov_b64 s[26:27], 0
	s_cbranch_vccnz .LBB46_1374
; %bb.1364:
	v_cmp_lt_i16_e32 vcc, 14, v5
	s_cbranch_vccz .LBB46_1367
; %bb.1365:
	v_cmp_eq_u16_e32 vcc, 15, v5
	s_cbranch_vccz .LBB46_1370
; %bb.1366:
	global_load_ushort v8, v[0:1], off
	s_mov_b64 s[20:21], 0
	s_mov_b64 s[24:25], -1
	s_branch .LBB46_1371
.LBB46_1367:
	s_mov_b64 s[28:29], -1
                                        ; implicit-def: $vgpr8
	s_branch .LBB46_1372
.LBB46_1368:
	s_or_saveexec_b64 s[26:27], s[26:27]
	v_mov_b32_e32 v7, s15
	s_xor_b64 exec, exec, s[26:27]
	s_cbranch_execz .LBB46_1349
.LBB46_1369:
	v_cmp_ne_u16_e32 vcc, 0, v4
	s_andn2_b64 s[24:25], s[24:25], exec
	s_and_b64 s[28:29], vcc, exec
	v_mov_b32_e32 v7, 0
	s_or_b64 s[24:25], s[24:25], s[28:29]
	s_or_b64 exec, exec, s[26:27]
	s_and_saveexec_b64 s[26:27], s[24:25]
	s_cbranch_execnz .LBB46_1350
	s_branch .LBB46_1351
.LBB46_1370:
	s_mov_b64 s[20:21], -1
                                        ; implicit-def: $vgpr8
.LBB46_1371:
	s_mov_b64 s[28:29], 0
.LBB46_1372:
	s_and_b64 vcc, exec, s[28:29]
	s_cbranch_vccz .LBB46_1374
; %bb.1373:
	v_cmp_ne_u16_e32 vcc, 11, v5
	s_andn2_b64 s[20:21], s[20:21], exec
	s_and_b64 s[28:29], vcc, exec
	s_mov_b64 s[26:27], -1
	s_or_b64 s[20:21], s[20:21], s[28:29]
                                        ; implicit-def: $vgpr8
.LBB46_1374:
	s_mov_b64 s[28:29], 0
.LBB46_1375:
	s_andn2_b64 s[18:19], s[18:19], exec
	s_and_b64 s[20:21], s[20:21], exec
	s_and_b64 s[24:25], s[24:25], exec
	;; [unrolled: 1-line block ×4, first 2 shown]
	s_or_b64 s[18:19], s[18:19], s[20:21]
	s_or_b64 exec, exec, s[0:1]
	s_and_saveexec_b64 s[0:1], s[18:19]
	s_cbranch_execz .LBB46_1304
.LBB46_1376:
	s_or_b64 s[22:23], s[22:23], exec
	s_andn2_b64 s[26:27], s[26:27], exec
	s_trap 2
                                        ; implicit-def: $vgpr8
	s_or_b64 exec, exec, s[0:1]
	s_and_saveexec_b64 s[0:1], s[26:27]
	s_xor_b64 s[0:1], exec, s[0:1]
	s_cbranch_execnz .LBB46_1305
.LBB46_1377:
	s_or_b64 exec, exec, s[0:1]
	s_and_saveexec_b64 s[0:1], s[30:31]
	s_cbranch_execz .LBB46_1423
.LBB46_1378:
	v_cmp_gt_i16_e32 vcc, 5, v5
	s_cbranch_vccnz .LBB46_1383
; %bb.1379:
	v_cmp_gt_i16_e32 vcc, 8, v5
	s_cbranch_vccnz .LBB46_1384
; %bb.1380:
	;; [unrolled: 3-line block ×3, first 2 shown]
	v_cmp_lt_i16_e32 vcc, 9, v5
	s_cbranch_vccz .LBB46_1386
; %bb.1382:
	global_load_dwordx2 v[8:9], v[0:1], off
	s_movk_i32 s15, 0x7fff
	s_waitcnt vmcnt(1)
	v_mov_b32_e32 v4, 0x7fc0
	s_mov_b64 s[18:19], 0
	s_waitcnt vmcnt(0)
	v_cvt_f32_f64_e32 v7, v[8:9]
	v_bfe_u32 v8, v7, 16, 1
	v_add3_u32 v8, v7, v8, s15
	v_lshrrev_b32_e32 v8, 16, v8
	v_cmp_o_f32_e32 vcc, v7, v7
	v_cndmask_b32_e32 v8, v4, v8, vcc
	s_branch .LBB46_1387
.LBB46_1383:
                                        ; implicit-def: $vgpr8
	s_branch .LBB46_1404
.LBB46_1384:
                                        ; implicit-def: $vgpr8
	s_branch .LBB46_1393
.LBB46_1385:
	s_mov_b64 s[18:19], -1
                                        ; implicit-def: $vgpr8
	s_branch .LBB46_1390
.LBB46_1386:
	s_mov_b64 s[18:19], -1
                                        ; implicit-def: $vgpr8
.LBB46_1387:
	s_andn2_b64 vcc, exec, s[18:19]
	s_cbranch_vccnz .LBB46_1389
; %bb.1388:
	global_load_dword v4, v[0:1], off
	s_movk_i32 s15, 0x7fff
	v_mov_b32_e32 v7, 0x7fc0
	s_waitcnt vmcnt(0)
	v_bfe_u32 v8, v4, 16, 1
	v_add3_u32 v8, v4, v8, s15
	v_lshrrev_b32_e32 v8, 16, v8
	v_cmp_o_f32_e32 vcc, v4, v4
	v_cndmask_b32_e32 v8, v7, v8, vcc
.LBB46_1389:
	s_mov_b64 s[18:19], 0
.LBB46_1390:
	s_andn2_b64 vcc, exec, s[18:19]
	s_cbranch_vccnz .LBB46_1392
; %bb.1391:
	global_load_dword v4, v[0:1], off
	s_movk_i32 s15, 0x7fff
	s_waitcnt vmcnt(1)
	v_mov_b32_e32 v8, 0x7fc0
	s_waitcnt vmcnt(0)
	v_cvt_f32_f16_e32 v7, v4
	v_cmp_o_f16_e32 vcc, v4, v4
	v_bfe_u32 v9, v7, 16, 1
	v_add3_u32 v7, v7, v9, s15
	v_lshrrev_b32_e32 v7, 16, v7
	v_cndmask_b32_e32 v8, v8, v7, vcc
.LBB46_1392:
	s_cbranch_execnz .LBB46_1403
.LBB46_1393:
	v_cmp_gt_i16_e32 vcc, 6, v5
	s_cbranch_vccnz .LBB46_1396
; %bb.1394:
	v_cmp_lt_i16_e32 vcc, 6, v5
	s_cbranch_vccz .LBB46_1397
; %bb.1395:
	global_load_dwordx2 v[8:9], v[0:1], off
	s_movk_i32 s15, 0x7fff
	s_waitcnt vmcnt(1)
	v_mov_b32_e32 v4, 0x7fc0
	s_mov_b64 s[18:19], 0
	s_waitcnt vmcnt(0)
	v_cvt_f32_f64_e32 v7, v[8:9]
	v_bfe_u32 v8, v7, 16, 1
	v_add3_u32 v8, v7, v8, s15
	v_lshrrev_b32_e32 v8, 16, v8
	v_cmp_o_f32_e32 vcc, v7, v7
	v_cndmask_b32_e32 v8, v4, v8, vcc
	s_branch .LBB46_1398
.LBB46_1396:
	s_mov_b64 s[18:19], -1
                                        ; implicit-def: $vgpr8
	s_branch .LBB46_1401
.LBB46_1397:
	s_mov_b64 s[18:19], -1
                                        ; implicit-def: $vgpr8
.LBB46_1398:
	s_andn2_b64 vcc, exec, s[18:19]
	s_cbranch_vccnz .LBB46_1400
; %bb.1399:
	global_load_dword v4, v[0:1], off
	s_movk_i32 s15, 0x7fff
	v_mov_b32_e32 v7, 0x7fc0
	s_waitcnt vmcnt(0)
	v_bfe_u32 v8, v4, 16, 1
	v_add3_u32 v8, v4, v8, s15
	v_lshrrev_b32_e32 v8, 16, v8
	v_cmp_o_f32_e32 vcc, v4, v4
	v_cndmask_b32_e32 v8, v7, v8, vcc
.LBB46_1400:
	s_mov_b64 s[18:19], 0
.LBB46_1401:
	s_andn2_b64 vcc, exec, s[18:19]
	s_cbranch_vccnz .LBB46_1403
; %bb.1402:
	global_load_ushort v4, v[0:1], off
	s_movk_i32 s15, 0x7fff
	s_waitcnt vmcnt(1)
	v_mov_b32_e32 v8, 0x7fc0
	s_waitcnt vmcnt(0)
	v_cvt_f32_f16_e32 v7, v4
	v_cmp_o_f16_e32 vcc, v4, v4
	v_bfe_u32 v9, v7, 16, 1
	v_add3_u32 v7, v7, v9, s15
	v_lshrrev_b32_e32 v7, 16, v7
	v_cndmask_b32_e32 v8, v8, v7, vcc
.LBB46_1403:
	s_cbranch_execnz .LBB46_1422
.LBB46_1404:
	v_cmp_gt_i16_e32 vcc, 2, v5
	s_cbranch_vccnz .LBB46_1408
; %bb.1405:
	v_cmp_gt_i16_e32 vcc, 3, v5
	s_cbranch_vccnz .LBB46_1409
; %bb.1406:
	v_cmp_lt_i16_e32 vcc, 3, v5
	s_cbranch_vccz .LBB46_1410
; %bb.1407:
	global_load_dwordx2 v[8:9], v[0:1], off
	s_movk_i32 s15, 0x7fff
	s_mov_b64 s[18:19], 0
	s_waitcnt vmcnt(0)
	v_xor_b32_e32 v7, v8, v9
	v_ffbh_i32_e32 v4, v9
	v_ashrrev_i32_e32 v7, 31, v7
	v_add_u32_e32 v4, -1, v4
	v_add_u32_e32 v7, 32, v7
	v_min_u32_e32 v4, v4, v7
	v_lshlrev_b64 v[8:9], v4, v[8:9]
	v_min_u32_e32 v7, 1, v8
	v_or_b32_e32 v7, v9, v7
	v_cvt_f32_i32_e32 v7, v7
	v_sub_u32_e32 v4, 32, v4
	v_ldexp_f32 v4, v7, v4
	v_bfe_u32 v7, v4, 16, 1
	v_add3_u32 v4, v4, v7, s15
	v_lshrrev_b32_e32 v8, 16, v4
	s_branch .LBB46_1411
.LBB46_1408:
                                        ; implicit-def: $vgpr8
	s_branch .LBB46_1417
.LBB46_1409:
	s_mov_b64 s[18:19], -1
                                        ; implicit-def: $vgpr8
	s_branch .LBB46_1414
.LBB46_1410:
	s_mov_b64 s[18:19], -1
                                        ; implicit-def: $vgpr8
.LBB46_1411:
	s_andn2_b64 vcc, exec, s[18:19]
	s_cbranch_vccnz .LBB46_1413
; %bb.1412:
	global_load_dword v4, v[0:1], off
	s_movk_i32 s15, 0x7fff
	s_waitcnt vmcnt(0)
	v_cvt_f32_i32_e32 v4, v4
	v_bfe_u32 v7, v4, 16, 1
	v_add3_u32 v4, v4, v7, s15
	v_lshrrev_b32_e32 v8, 16, v4
.LBB46_1413:
	s_mov_b64 s[18:19], 0
.LBB46_1414:
	s_andn2_b64 vcc, exec, s[18:19]
	s_cbranch_vccnz .LBB46_1416
; %bb.1415:
	global_load_sshort v4, v[0:1], off
	s_movk_i32 s15, 0x7fff
	s_waitcnt vmcnt(0)
	v_cvt_f32_i32_e32 v4, v4
	v_bfe_u32 v7, v4, 16, 1
	v_add3_u32 v4, v4, v7, s15
	v_lshrrev_b32_e32 v8, 16, v4
.LBB46_1416:
	s_cbranch_execnz .LBB46_1422
.LBB46_1417:
	v_cmp_lt_i16_e32 vcc, 0, v5
	s_cbranch_vccz .LBB46_1419
; %bb.1418:
	global_load_sbyte v4, v[0:1], off
	s_movk_i32 s15, 0x7fff
	s_mov_b64 s[18:19], 0
	s_waitcnt vmcnt(0)
	v_cvt_f32_i32_e32 v4, v4
	v_bfe_u32 v5, v4, 16, 1
	v_add3_u32 v4, v4, v5, s15
	v_lshrrev_b32_e32 v8, 16, v4
	s_branch .LBB46_1420
.LBB46_1419:
	s_mov_b64 s[18:19], -1
                                        ; implicit-def: $vgpr8
.LBB46_1420:
	s_andn2_b64 vcc, exec, s[18:19]
	s_cbranch_vccnz .LBB46_1422
; %bb.1421:
	global_load_ubyte v0, v[0:1], off
	s_movk_i32 s15, 0x7fff
	s_waitcnt vmcnt(0)
	v_cvt_f32_ubyte0_e32 v0, v0
	v_bfe_u32 v1, v0, 16, 1
	v_add3_u32 v0, v0, v1, s15
	v_lshrrev_b32_e32 v8, 16, v0
.LBB46_1422:
	s_or_b64 s[24:25], s[24:25], exec
.LBB46_1423:
	s_or_b64 exec, exec, s[0:1]
	s_mov_b64 s[26:27], 0
	s_mov_b64 s[20:21], 0
                                        ; implicit-def: $vgpr5
                                        ; implicit-def: $vgpr0_vgpr1
                                        ; implicit-def: $vgpr4
                                        ; implicit-def: $vgpr7
	s_and_saveexec_b64 s[18:19], s[24:25]
	s_cbranch_execz .LBB46_1441
; %bb.1424:
	s_waitcnt vmcnt(0)
	v_and_b32_e32 v7, 0x7fff, v6
	v_and_b32_e32 v0, 0xffff8000, v8
	v_or_b32_e32 v4, v0, v7
	v_mul_lo_u32 v0, v3, s12
	v_ashrrev_i32_e32 v1, 31, v0
	v_mov_b32_e32 v3, s9
	v_add_co_u32_e32 v0, vcc, s8, v0
	v_addc_co_u32_e32 v1, vcc, v3, v1, vcc
	v_and_b32_e32 v5, 0xff, v2
	v_cmp_gt_i16_e32 vcc, 11, v5
	s_cbranch_vccnz .LBB46_1444
; %bb.1425:
	v_cmp_lt_i16_e32 vcc, 25, v5
	s_mov_b64 s[24:25], -1
	s_mov_b64 s[0:1], s[6:7]
	s_cbranch_vccz .LBB46_1462
; %bb.1426:
	v_cmp_lt_i16_e32 vcc, 28, v5
	s_mov_b64 s[20:21], -1
	s_mov_b64 s[0:1], s[6:7]
	s_cbranch_vccz .LBB46_1446
; %bb.1427:
	v_cmp_lt_i16_e32 vcc, 43, v5
	s_mov_b64 s[0:1], s[6:7]
	s_cbranch_vccz .LBB46_1438
; %bb.1428:
	v_cmp_lt_i16_e32 vcc, 45, v5
	s_mov_b64 s[0:1], s[6:7]
	s_cbranch_vccz .LBB46_1432
; %bb.1429:
	v_cmp_eq_u16_e32 vcc, 46, v5
	s_mov_b64 s[0:1], -1
	s_cbranch_vccz .LBB46_1431
; %bb.1430:
	v_and_b32_e32 v2, 0xffff, v4
	global_store_dword v[0:1], v2, off
	s_mov_b64 s[0:1], 0
.LBB46_1431:
	s_mov_b64 s[20:21], 0
.LBB46_1432:
	s_and_b64 vcc, exec, s[20:21]
	s_cbranch_vccz .LBB46_1437
; %bb.1433:
	v_cmp_eq_u16_e32 vcc, 44, v5
	s_mov_b64 s[0:1], -1
	s_cbranch_vccz .LBB46_1437
; %bb.1434:
	v_and_b32_e32 v3, 0xffff, v4
	v_bfe_u32 v2, v3, 7, 8
	s_movk_i32 s0, 0xff
	v_cmp_ne_u32_e32 vcc, s0, v2
	v_mov_b32_e32 v6, 0xff
	s_and_saveexec_b64 s[20:21], vcc
; %bb.1435:
	v_lshlrev_b32_e32 v8, 16, v3
	s_mov_b32 s0, 0x3f0000
	v_lshrrev_b32_e32 v6, 7, v3
	v_and_b32_e32 v3, 64, v3
	v_and_or_b32 v2, v8, s0, v2
	v_cmp_ne_u32_e32 vcc, 0, v3
	v_cmp_ne_u32_e64 s[0:1], 0, v2
	s_and_b64 s[0:1], vcc, s[0:1]
	v_cndmask_b32_e64 v2, 0, 1, s[0:1]
	v_add_u32_e32 v6, v6, v2
; %bb.1436:
	s_or_b64 exec, exec, s[20:21]
	s_mov_b64 s[0:1], 0
	global_store_byte v[0:1], v6, off
.LBB46_1437:
	s_mov_b64 s[20:21], 0
.LBB46_1438:
	s_and_b64 vcc, exec, s[20:21]
	s_cbranch_vccz .LBB46_1445
; %bb.1439:
	v_cmp_eq_u16_e32 vcc, 29, v5
	s_mov_b64 s[0:1], -1
	s_cbranch_vccz .LBB46_1445
; %bb.1440:
	v_lshlrev_b32_e32 v2, 16, v4
	v_trunc_f32_e32 v2, v2
	v_mul_f32_e32 v3, 0x2f800000, v2
	v_floor_f32_e32 v6, v3
	v_fmac_f32_e32 v2, 0xcf800000, v6
	v_cvt_u32_f32_e32 v3, v6
	v_cvt_u32_f32_e32 v2, v2
	s_mov_b64 s[0:1], 0
	s_mov_b64 s[20:21], 0
	global_store_dwordx2 v[0:1], v[2:3], off
	s_branch .LBB46_1446
.LBB46_1441:
	s_or_b64 exec, exec, s[18:19]
	s_and_saveexec_b64 s[0:1], s[6:7]
	s_cbranch_execnz .LBB46_1504
.LBB46_1442:
	s_or_b64 exec, exec, s[0:1]
	s_and_saveexec_b64 s[0:1], s[26:27]
	s_xor_b64 s[0:1], exec, s[0:1]
	s_cbranch_execz .LBB46_1505
.LBB46_1443:
	v_cmp_ne_u16_e32 vcc, 0, v7
	v_cndmask_b32_e64 v2, 0, 1, vcc
	global_store_byte v[0:1], v2, off
	s_or_b64 exec, exec, s[0:1]
	s_and_saveexec_b64 s[0:1], s[20:21]
	s_xor_b64 s[0:1], exec, s[0:1]
	s_cbranch_execz .LBB46_1543
	s_branch .LBB46_1506
.LBB46_1444:
	s_mov_b64 s[24:25], 0
	s_mov_b64 s[20:21], -1
	s_mov_b64 s[0:1], s[6:7]
	s_branch .LBB46_1503
.LBB46_1445:
	s_mov_b64 s[20:21], 0
.LBB46_1446:
	s_and_b64 vcc, exec, s[20:21]
	s_cbranch_vccz .LBB46_1461
; %bb.1447:
	v_cmp_gt_i16_e32 vcc, 27, v5
	s_mov_b64 s[20:21], -1
	s_cbranch_vccnz .LBB46_1453
; %bb.1448:
	v_cmp_lt_i16_e32 vcc, 27, v5
	s_cbranch_vccz .LBB46_1450
; %bb.1449:
	v_lshlrev_b32_e32 v2, 16, v4
	v_cvt_u32_f32_e32 v2, v2
	s_mov_b64 s[20:21], 0
	global_store_dword v[0:1], v2, off
.LBB46_1450:
	s_andn2_b64 vcc, exec, s[20:21]
	s_cbranch_vccnz .LBB46_1452
; %bb.1451:
	v_lshlrev_b32_e32 v2, 16, v4
	v_cvt_u32_f32_e32 v2, v2
	global_store_short v[0:1], v2, off
.LBB46_1452:
	s_mov_b64 s[20:21], 0
.LBB46_1453:
	s_andn2_b64 vcc, exec, s[20:21]
	s_cbranch_vccnz .LBB46_1461
; %bb.1454:
	v_lshlrev_b32_e32 v6, 16, v4
	v_and_b32_e32 v3, 0x7fffffff, v6
	s_mov_b32 s15, 0x43800000
	v_cmp_gt_u32_e32 vcc, s15, v3
	v_mov_b32_e32 v8, 0x80
	s_and_saveexec_b64 s[20:21], vcc
	s_cbranch_execz .LBB46_1460
; %bb.1455:
	s_mov_b32 s15, 0x3bffffff
	v_and_b32_e32 v2, 0xffff, v4
	v_cmp_lt_u32_e32 vcc, s15, v3
	s_mov_b64 s[24:25], 0
                                        ; implicit-def: $vgpr3
	s_and_saveexec_b64 s[26:27], vcc
	s_xor_b64 s[26:27], exec, s[26:27]
	s_cbranch_execz .LBB46_1558
; %bb.1456:
	v_bfe_u32 v3, v2, 4, 1
	s_mov_b32 s15, 0x487ffff
	v_add3_u32 v3, v6, v3, s15
	s_mov_b64 s[24:25], exec
	v_lshrrev_b32_e32 v3, 20, v3
                                        ; implicit-def: $vgpr6
	s_or_saveexec_b64 s[26:27], s[26:27]
                                        ; implicit-def: $sgpr15
	s_xor_b64 exec, exec, s[26:27]
	s_cbranch_execnz .LBB46_1559
.LBB46_1457:
	s_or_b64 exec, exec, s[26:27]
	v_mov_b32_e32 v8, s15
	s_and_saveexec_b64 s[26:27], s[24:25]
.LBB46_1458:
	v_lshrrev_b32_e32 v2, 8, v2
	s_movk_i32 s15, 0x80
	v_and_or_b32 v8, v2, s15, v3
.LBB46_1459:
	s_or_b64 exec, exec, s[26:27]
.LBB46_1460:
	s_or_b64 exec, exec, s[20:21]
	global_store_byte v[0:1], v8, off
.LBB46_1461:
	s_mov_b64 s[24:25], 0
.LBB46_1462:
	s_mov_b64 s[20:21], 0
	s_and_b64 vcc, exec, s[24:25]
	s_cbranch_vccz .LBB46_1502
; %bb.1463:
	v_cmp_lt_i16_e32 vcc, 22, v5
	s_mov_b64 s[24:25], -1
	s_cbranch_vccz .LBB46_1495
; %bb.1464:
	v_cmp_gt_i16_e32 vcc, 24, v5
	s_cbranch_vccnz .LBB46_1484
; %bb.1465:
	v_cmp_lt_i16_e32 vcc, 24, v5
	s_cbranch_vccz .LBB46_1473
; %bb.1466:
	v_lshlrev_b32_e32 v6, 16, v4
	v_and_b32_e32 v3, 0x7fffffff, v6
	s_mov_b32 s15, 0x47800000
	v_cmp_gt_u32_e32 vcc, s15, v3
	v_mov_b32_e32 v8, 0x80
	s_and_saveexec_b64 s[24:25], vcc
	s_cbranch_execz .LBB46_1472
; %bb.1467:
	s_mov_b32 s15, 0x37ffffff
	v_and_b32_e32 v2, 0xffff, v4
	v_cmp_lt_u32_e32 vcc, s15, v3
	s_mov_b64 s[26:27], 0
                                        ; implicit-def: $vgpr3
	s_and_saveexec_b64 s[28:29], vcc
	s_xor_b64 s[28:29], exec, s[28:29]
	s_cbranch_execz .LBB46_1683
; %bb.1468:
	v_bfe_u32 v3, v2, 5, 1
	s_mov_b32 s15, 0x88fffff
	v_add3_u32 v3, v6, v3, s15
	s_mov_b64 s[26:27], exec
	v_lshrrev_b32_e32 v3, 21, v3
                                        ; implicit-def: $vgpr6
	s_or_saveexec_b64 s[28:29], s[28:29]
                                        ; implicit-def: $sgpr15
	s_xor_b64 exec, exec, s[28:29]
	s_cbranch_execnz .LBB46_1684
.LBB46_1469:
	s_or_b64 exec, exec, s[28:29]
	v_mov_b32_e32 v8, s15
	s_and_saveexec_b64 s[28:29], s[26:27]
.LBB46_1470:
	v_lshrrev_b32_e32 v2, 8, v2
	s_movk_i32 s15, 0x80
	v_and_or_b32 v8, v2, s15, v3
.LBB46_1471:
	s_or_b64 exec, exec, s[28:29]
.LBB46_1472:
	s_or_b64 exec, exec, s[24:25]
	s_mov_b64 s[24:25], 0
	global_store_byte v[0:1], v8, off
.LBB46_1473:
	s_and_b64 vcc, exec, s[24:25]
	s_cbranch_vccz .LBB46_1483
; %bb.1474:
	v_lshlrev_b32_e32 v6, 16, v4
	v_and_b32_e32 v8, 0x7fffffff, v6
	s_mov_b32 s15, 0x43f00000
	v_and_b32_e32 v2, 0xffff, v4
	v_cmp_gt_u32_e32 vcc, s15, v8
                                        ; implicit-def: $vgpr3
	s_and_saveexec_b64 s[24:25], vcc
	s_xor_b64 s[24:25], exec, s[24:25]
	s_cbranch_execz .LBB46_1480
; %bb.1475:
	s_mov_b32 s15, 0x3c7fffff
	v_cmp_lt_u32_e32 vcc, s15, v8
                                        ; implicit-def: $vgpr3
	s_and_saveexec_b64 s[26:27], vcc
	s_xor_b64 s[26:27], exec, s[26:27]
; %bb.1476:
	v_bfe_u32 v3, v2, 4, 1
	s_mov_b32 s15, 0x407ffff
	v_add3_u32 v3, v6, v3, s15
	v_lshrrev_b32_e32 v6, 20, v3
	v_and_b32_e32 v3, 0xff00000, v3
	s_mov_b32 s15, 0x7f00000
	v_mov_b32_e32 v8, 0x7e
	v_cmp_ne_u32_e32 vcc, s15, v3
	v_cndmask_b32_e32 v3, v8, v6, vcc
                                        ; implicit-def: $vgpr6
; %bb.1477:
	s_andn2_saveexec_b64 s[26:27], s[26:27]
; %bb.1478:
	s_mov_b32 s15, 0x46800000
	v_add_f32_e64 v3, |v6|, s15
; %bb.1479:
	s_or_b64 exec, exec, s[26:27]
                                        ; implicit-def: $vgpr8
.LBB46_1480:
	s_andn2_saveexec_b64 s[24:25], s[24:25]
; %bb.1481:
	s_mov_b32 s15, 0x7f800000
	v_mov_b32_e32 v3, 0x7e
	v_mov_b32_e32 v6, 0x7f
	v_cmp_lt_u32_e32 vcc, s15, v8
	v_cndmask_b32_e32 v3, v3, v6, vcc
; %bb.1482:
	s_or_b64 exec, exec, s[24:25]
	v_lshrrev_b32_e32 v2, 8, v2
	s_movk_i32 s15, 0x80
	v_and_or_b32 v2, v2, s15, v3
	global_store_byte v[0:1], v2, off
.LBB46_1483:
	s_mov_b64 s[24:25], 0
.LBB46_1484:
	s_andn2_b64 vcc, exec, s[24:25]
	s_cbranch_vccnz .LBB46_1494
; %bb.1485:
	v_lshlrev_b32_e32 v6, 16, v4
	v_and_b32_e32 v8, 0x7fffffff, v6
	s_mov_b32 s15, 0x47800000
	v_and_b32_e32 v2, 0xffff, v4
	v_cmp_gt_u32_e32 vcc, s15, v8
                                        ; implicit-def: $vgpr3
	s_and_saveexec_b64 s[24:25], vcc
	s_xor_b64 s[24:25], exec, s[24:25]
	s_cbranch_execz .LBB46_1491
; %bb.1486:
	s_mov_b32 s15, 0x387fffff
	v_cmp_lt_u32_e32 vcc, s15, v8
                                        ; implicit-def: $vgpr3
	s_and_saveexec_b64 s[26:27], vcc
	s_xor_b64 s[26:27], exec, s[26:27]
; %bb.1487:
	v_bfe_u32 v3, v2, 5, 1
	s_mov_b32 s15, 0x80fffff
	v_add3_u32 v3, v6, v3, s15
	v_lshrrev_b32_e32 v3, 21, v3
                                        ; implicit-def: $vgpr6
; %bb.1488:
	s_andn2_saveexec_b64 s[26:27], s[26:27]
; %bb.1489:
	s_mov_b32 s15, 0x43000000
	v_add_f32_e64 v3, |v6|, s15
; %bb.1490:
	s_or_b64 exec, exec, s[26:27]
                                        ; implicit-def: $vgpr8
.LBB46_1491:
	s_andn2_saveexec_b64 s[24:25], s[24:25]
; %bb.1492:
	s_mov_b32 s15, 0x7f800000
	v_mov_b32_e32 v3, 0x7c
	v_mov_b32_e32 v6, 0x7f
	v_cmp_lt_u32_e32 vcc, s15, v8
	v_cndmask_b32_e32 v3, v3, v6, vcc
; %bb.1493:
	s_or_b64 exec, exec, s[24:25]
	v_lshrrev_b32_e32 v2, 8, v2
	s_movk_i32 s15, 0x80
	v_and_or_b32 v2, v2, s15, v3
	global_store_byte v[0:1], v2, off
.LBB46_1494:
	s_mov_b64 s[24:25], 0
.LBB46_1495:
	s_andn2_b64 vcc, exec, s[24:25]
	s_mov_b64 s[24:25], 0
	s_cbranch_vccnz .LBB46_1503
; %bb.1496:
	v_cmp_lt_i16_e32 vcc, 14, v5
	s_mov_b64 s[26:27], -1
	s_cbranch_vccz .LBB46_1500
; %bb.1497:
	v_cmp_eq_u16_e32 vcc, 15, v5
	s_mov_b64 s[0:1], -1
	s_cbranch_vccz .LBB46_1499
; %bb.1498:
	global_store_short v[0:1], v4, off
	s_mov_b64 s[0:1], 0
.LBB46_1499:
	s_mov_b64 s[26:27], 0
.LBB46_1500:
	s_and_b64 vcc, exec, s[26:27]
	s_cbranch_vccz .LBB46_1503
; %bb.1501:
	v_cmp_ne_u16_e32 vcc, 11, v5
	s_andn2_b64 s[0:1], s[0:1], exec
	s_and_b64 s[26:27], vcc, exec
	s_mov_b64 s[24:25], -1
	s_or_b64 s[0:1], s[0:1], s[26:27]
	s_branch .LBB46_1503
.LBB46_1502:
	s_mov_b64 s[24:25], 0
.LBB46_1503:
	s_andn2_b64 s[6:7], s[6:7], exec
	s_and_b64 s[0:1], s[0:1], exec
	s_and_b64 s[20:21], s[20:21], exec
	;; [unrolled: 1-line block ×3, first 2 shown]
	s_or_b64 s[6:7], s[6:7], s[0:1]
	s_or_b64 exec, exec, s[18:19]
	s_and_saveexec_b64 s[0:1], s[6:7]
	s_cbranch_execz .LBB46_1442
.LBB46_1504:
	s_or_b64 s[22:23], s[22:23], exec
	s_andn2_b64 s[26:27], s[26:27], exec
	s_trap 2
	s_or_b64 exec, exec, s[0:1]
	s_and_saveexec_b64 s[0:1], s[26:27]
	s_xor_b64 s[0:1], exec, s[0:1]
	s_cbranch_execnz .LBB46_1443
.LBB46_1505:
	s_or_b64 exec, exec, s[0:1]
	s_and_saveexec_b64 s[0:1], s[20:21]
	s_xor_b64 s[0:1], exec, s[0:1]
	s_cbranch_execz .LBB46_1543
.LBB46_1506:
	v_cmp_gt_i16_e32 vcc, 5, v5
	s_mov_b64 s[6:7], -1
	s_cbranch_vccnz .LBB46_1527
; %bb.1507:
	v_cmp_gt_i16_e32 vcc, 8, v5
	s_cbranch_vccnz .LBB46_1517
; %bb.1508:
	v_cmp_gt_i16_e32 vcc, 9, v5
	s_cbranch_vccnz .LBB46_1514
; %bb.1509:
	v_cmp_lt_i16_e32 vcc, 9, v5
	s_cbranch_vccz .LBB46_1511
; %bb.1510:
	s_waitcnt vmcnt(0)
	v_lshlrev_b32_e32 v2, 16, v4
	v_mov_b32_e32 v8, 0
	v_cvt_f64_f32_e32 v[6:7], v2
	v_mov_b32_e32 v9, v8
	s_mov_b64 s[6:7], 0
	global_store_dwordx4 v[0:1], v[6:9], off
.LBB46_1511:
	s_andn2_b64 vcc, exec, s[6:7]
	s_cbranch_vccnz .LBB46_1513
; %bb.1512:
	s_waitcnt vmcnt(0)
	v_lshlrev_b32_e32 v2, 16, v4
	v_mov_b32_e32 v3, 0
	global_store_dwordx2 v[0:1], v[2:3], off
.LBB46_1513:
	s_mov_b64 s[6:7], 0
.LBB46_1514:
	s_andn2_b64 vcc, exec, s[6:7]
	s_cbranch_vccnz .LBB46_1516
; %bb.1515:
	s_waitcnt vmcnt(0)
	v_lshlrev_b32_e32 v2, 16, v4
	v_cvt_f16_f32_e32 v2, v2
	global_store_dword v[0:1], v2, off
.LBB46_1516:
	s_mov_b64 s[6:7], 0
.LBB46_1517:
	s_andn2_b64 vcc, exec, s[6:7]
	s_cbranch_vccnz .LBB46_1526
; %bb.1518:
	v_cmp_gt_i16_e32 vcc, 6, v5
	s_mov_b64 s[6:7], -1
	s_cbranch_vccnz .LBB46_1524
; %bb.1519:
	v_cmp_lt_i16_e32 vcc, 6, v5
	s_cbranch_vccz .LBB46_1521
; %bb.1520:
	s_waitcnt vmcnt(0)
	v_lshlrev_b32_e32 v2, 16, v4
	v_cvt_f64_f32_e32 v[2:3], v2
	s_mov_b64 s[6:7], 0
	global_store_dwordx2 v[0:1], v[2:3], off
.LBB46_1521:
	s_andn2_b64 vcc, exec, s[6:7]
	s_cbranch_vccnz .LBB46_1523
; %bb.1522:
	s_waitcnt vmcnt(0)
	v_lshlrev_b32_e32 v2, 16, v4
	global_store_dword v[0:1], v2, off
.LBB46_1523:
	s_mov_b64 s[6:7], 0
.LBB46_1524:
	s_andn2_b64 vcc, exec, s[6:7]
	s_cbranch_vccnz .LBB46_1526
; %bb.1525:
	s_waitcnt vmcnt(0)
	v_lshlrev_b32_e32 v2, 16, v4
	v_cvt_f16_f32_e32 v2, v2
	global_store_short v[0:1], v2, off
.LBB46_1526:
	s_mov_b64 s[6:7], 0
.LBB46_1527:
	s_andn2_b64 vcc, exec, s[6:7]
	s_cbranch_vccnz .LBB46_1543
; %bb.1528:
	v_cmp_gt_i16_e32 vcc, 2, v5
	s_mov_b64 s[6:7], -1
	s_cbranch_vccnz .LBB46_1538
; %bb.1529:
	v_cmp_gt_i16_e32 vcc, 3, v5
	s_cbranch_vccnz .LBB46_1535
; %bb.1530:
	v_cmp_lt_i16_e32 vcc, 3, v5
	s_cbranch_vccz .LBB46_1532
; %bb.1531:
	s_waitcnt vmcnt(0)
	v_lshlrev_b32_e32 v2, 16, v4
	v_trunc_f32_e32 v2, v2
	s_mov_b32 s6, 0x2f800000
	v_mul_f32_e64 v3, |v2|, s6
	v_floor_f32_e32 v3, v3
	s_mov_b32 s6, 0xcf800000
	v_cvt_u32_f32_e32 v6, v3
	v_fma_f32 v3, v3, s6, |v2|
	v_cvt_u32_f32_e32 v3, v3
	v_ashrrev_i32_e32 v7, 31, v2
	v_xor_b32_e32 v6, v6, v7
	s_mov_b64 s[6:7], 0
	v_xor_b32_e32 v2, v3, v7
	v_sub_co_u32_e32 v2, vcc, v2, v7
	v_subb_co_u32_e32 v3, vcc, v6, v7, vcc
	global_store_dwordx2 v[0:1], v[2:3], off
.LBB46_1532:
	s_andn2_b64 vcc, exec, s[6:7]
	s_cbranch_vccnz .LBB46_1534
; %bb.1533:
	s_waitcnt vmcnt(0)
	v_lshlrev_b32_e32 v2, 16, v4
	v_cvt_i32_f32_e32 v2, v2
	global_store_dword v[0:1], v2, off
.LBB46_1534:
	s_mov_b64 s[6:7], 0
.LBB46_1535:
	s_andn2_b64 vcc, exec, s[6:7]
	s_cbranch_vccnz .LBB46_1537
; %bb.1536:
	s_waitcnt vmcnt(0)
	v_lshlrev_b32_e32 v2, 16, v4
	v_cvt_i32_f32_e32 v2, v2
	global_store_short v[0:1], v2, off
.LBB46_1537:
	s_mov_b64 s[6:7], 0
.LBB46_1538:
	s_andn2_b64 vcc, exec, s[6:7]
	s_cbranch_vccnz .LBB46_1543
; %bb.1539:
	v_cmp_lt_i16_e32 vcc, 0, v5
	s_mov_b64 s[6:7], -1
	s_waitcnt vmcnt(0)
	v_lshlrev_b32_e32 v2, 16, v4
	s_cbranch_vccz .LBB46_1541
; %bb.1540:
	v_cvt_i32_f32_e32 v3, v2
	s_mov_b64 s[6:7], 0
	global_store_byte v[0:1], v3, off
.LBB46_1541:
	s_andn2_b64 vcc, exec, s[6:7]
	s_cbranch_vccnz .LBB46_1543
; %bb.1542:
	v_trunc_f32_e32 v2, v2
	s_mov_b32 s6, 0x2f800000
	v_mul_f32_e64 v3, |v2|, s6
	v_floor_f32_e32 v3, v3
	s_mov_b32 s6, 0xcf800000
	v_fma_f32 v3, v3, s6, |v2|
	v_cvt_u32_f32_e32 v3, v3
	v_ashrrev_i32_e32 v2, 31, v2
	v_xor_b32_e32 v3, v3, v2
	v_sub_u32_e32 v2, v3, v2
	global_store_byte v[0:1], v2, off
.LBB46_1543:
	s_or_b64 exec, exec, s[0:1]
	s_and_b64 s[6:7], s[22:23], exec
                                        ; implicit-def: $vgpr3
                                        ; implicit-def: $vgpr5
                                        ; implicit-def: $vgpr4
                                        ; implicit-def: $vgpr2
.LBB46_1544:
	s_or_saveexec_b64 s[4:5], s[4:5]
	s_mov_b64 s[0:1], 0
                                        ; implicit-def: $vgpr6
                                        ; implicit-def: $vgpr0_vgpr1
                                        ; implicit-def: $vgpr7
                                        ; implicit-def: $vgpr8
	s_xor_b64 exec, exec, s[4:5]
	s_cbranch_execz .LBB46_3034
; %bb.1545:
	s_waitcnt vmcnt(0)
	v_mul_lo_u32 v8, s13, v3
	v_ashrrev_i32_e32 v1, 31, v8
	v_mov_b32_e32 v6, s11
	v_add_co_u32_e32 v0, vcc, s10, v8
	v_addc_co_u32_e32 v1, vcc, v6, v1, vcc
	v_mov_b32_e32 v6, 11
	v_cmp_lt_i16_sdwa s[0:1], v5, v6 src0_sel:BYTE_0 src1_sel:DWORD
	s_and_b64 vcc, exec, s[0:1]
	s_cbranch_vccnz .LBB46_1552
; %bb.1546:
	v_mov_b32_e32 v6, 25
	v_cmp_gt_i16_sdwa s[0:1], v5, v6 src0_sel:BYTE_0 src1_sel:DWORD
	s_and_b64 vcc, exec, s[0:1]
	s_cbranch_vccz .LBB46_1554
; %bb.1547:
	v_mov_b32_e32 v6, 28
	v_cmp_gt_i16_sdwa s[0:1], v5, v6 src0_sel:BYTE_0 src1_sel:DWORD
	s_and_b64 vcc, exec, s[0:1]
	s_cbranch_vccz .LBB46_1555
	;; [unrolled: 5-line block ×4, first 2 shown]
; %bb.1550:
	v_mov_b32_e32 v6, 46
	v_cmp_eq_u16_sdwa s[0:1], v5, v6 src0_sel:BYTE_0 src1_sel:DWORD
	s_mov_b64 s[18:19], 0
	s_and_b64 vcc, exec, s[0:1]
	s_cbranch_vccz .LBB46_1560
; %bb.1551:
	global_load_dword v6, v[0:1], off
	s_mov_b64 s[0:1], 0
	s_mov_b64 s[20:21], -1
	s_branch .LBB46_1561
.LBB46_1552:
	s_mov_b64 s[20:21], 0
                                        ; implicit-def: $vgpr6
	s_mov_b64 s[18:19], s[6:7]
	s_cbranch_execnz .LBB46_1624
.LBB46_1553:
	s_andn2_b64 vcc, exec, s[20:21]
	s_cbranch_vccz .LBB46_1669
	s_branch .LBB46_3032
.LBB46_1554:
	s_mov_b64 s[20:21], 0
	s_mov_b64 s[0:1], 0
                                        ; implicit-def: $vgpr6
	s_cbranch_execnz .LBB46_1589
	s_branch .LBB46_1620
.LBB46_1555:
	s_mov_b64 s[18:19], -1
	s_mov_b64 s[20:21], 0
	s_mov_b64 s[0:1], 0
                                        ; implicit-def: $vgpr6
	s_branch .LBB46_1570
.LBB46_1556:
	s_mov_b64 s[20:21], 0
	s_mov_b64 s[0:1], 0
                                        ; implicit-def: $vgpr6
	s_cbranch_execnz .LBB46_1566
	s_branch .LBB46_1569
.LBB46_1557:
	s_mov_b64 s[18:19], -1
	s_mov_b64 s[20:21], 0
	s_mov_b64 s[0:1], 0
                                        ; implicit-def: $vgpr6
	s_branch .LBB46_1561
.LBB46_1558:
	s_or_saveexec_b64 s[26:27], s[26:27]
                                        ; implicit-def: $sgpr15
	s_xor_b64 exec, exec, s[26:27]
	s_cbranch_execz .LBB46_1457
.LBB46_1559:
	s_mov_b32 s15, 0x46000000
	v_add_f32_e64 v3, |v6|, s15
	v_and_b32_e32 v3, 0xff, v3
	v_cmp_ne_u32_e32 vcc, 0, v3
	s_andn2_b64 s[24:25], s[24:25], exec
	s_and_b64 s[28:29], vcc, exec
	s_mov_b32 s15, 0
	s_or_b64 s[24:25], s[24:25], s[28:29]
	s_or_b64 exec, exec, s[26:27]
	v_mov_b32_e32 v8, s15
	s_and_saveexec_b64 s[26:27], s[24:25]
	s_cbranch_execnz .LBB46_1458
	s_branch .LBB46_1459
.LBB46_1560:
	s_mov_b64 s[0:1], -1
                                        ; implicit-def: $vgpr6
	s_mov_b64 s[20:21], 0
.LBB46_1561:
	s_and_b64 vcc, exec, s[18:19]
	s_cbranch_vccz .LBB46_1564
; %bb.1562:
	s_waitcnt vmcnt(0)
	v_mov_b32_e32 v6, 44
	v_cmp_eq_u16_sdwa s[0:1], v5, v6 src0_sel:BYTE_0 src1_sel:DWORD
	s_and_b64 vcc, exec, s[0:1]
	s_cbranch_vccz .LBB46_1565
; %bb.1563:
	global_load_ubyte v6, v[0:1], off
	s_movk_i32 s15, 0xff
	v_mov_b32_e32 v7, 0x7f800001
	v_mov_b32_e32 v9, 0x400000
	;; [unrolled: 1-line block ×3, first 2 shown]
	s_mov_b64 s[0:1], 0
	s_mov_b64 s[20:21], -1
	s_waitcnt vmcnt(0)
	v_lshlrev_b32_e32 v11, 23, v6
	v_cmp_ne_u32_e32 vcc, s15, v6
	v_cndmask_b32_e32 v7, v7, v11, vcc
	v_cmp_ne_u32_e32 vcc, 0, v6
	v_cndmask_b32_e32 v6, v9, v7, vcc
	v_add_u32_e32 v7, 0x7fff, v6
	v_lshrrev_b32_e32 v7, 16, v7
	v_cmp_o_f32_e32 vcc, v6, v6
	v_cndmask_b32_e32 v6, v10, v7, vcc
.LBB46_1564:
	s_branch .LBB46_1569
.LBB46_1565:
	s_mov_b64 s[0:1], -1
                                        ; implicit-def: $vgpr6
	s_branch .LBB46_1569
.LBB46_1566:
	s_waitcnt vmcnt(0)
	v_mov_b32_e32 v6, 29
	v_cmp_eq_u16_sdwa s[0:1], v5, v6 src0_sel:BYTE_0 src1_sel:DWORD
	s_and_b64 vcc, exec, s[0:1]
	s_cbranch_vccz .LBB46_1568
; %bb.1567:
	global_load_dwordx2 v[6:7], v[0:1], off
	s_movk_i32 s15, 0x7fff
	s_mov_b64 s[0:1], 0
	s_mov_b64 s[20:21], -1
	s_mov_b64 s[18:19], 0
	s_waitcnt vmcnt(0)
	v_ffbh_u32_e32 v9, v7
	v_min_u32_e32 v9, 32, v9
	v_lshlrev_b64 v[6:7], v9, v[6:7]
	v_min_u32_e32 v6, 1, v6
	v_or_b32_e32 v6, v7, v6
	v_cvt_f32_u32_e32 v6, v6
	v_sub_u32_e32 v7, 32, v9
	v_ldexp_f32 v6, v6, v7
	v_bfe_u32 v7, v6, 16, 1
	v_add3_u32 v6, v6, v7, s15
	v_lshrrev_b32_e32 v6, 16, v6
	s_branch .LBB46_1570
.LBB46_1568:
	s_mov_b64 s[0:1], -1
                                        ; implicit-def: $vgpr6
.LBB46_1569:
	s_mov_b64 s[18:19], 0
.LBB46_1570:
	s_and_b64 vcc, exec, s[18:19]
	s_cbranch_vccz .LBB46_1588
; %bb.1571:
	s_waitcnt vmcnt(0)
	v_mov_b32_e32 v6, 27
	v_cmp_lt_i16_sdwa s[18:19], v5, v6 src0_sel:BYTE_0 src1_sel:DWORD
	s_and_b64 vcc, exec, s[18:19]
	s_cbranch_vccnz .LBB46_1574
; %bb.1572:
	v_cmp_gt_i16_sdwa s[18:19], v5, v6 src0_sel:BYTE_0 src1_sel:DWORD
	s_and_b64 vcc, exec, s[18:19]
	s_cbranch_vccz .LBB46_1575
; %bb.1573:
	global_load_dword v6, v[0:1], off
	s_movk_i32 s15, 0x7fff
	s_mov_b64 s[18:19], 0
	s_waitcnt vmcnt(0)
	v_cvt_f32_u32_e32 v6, v6
	v_bfe_u32 v7, v6, 16, 1
	v_add3_u32 v6, v6, v7, s15
	v_lshrrev_b32_e32 v6, 16, v6
	s_branch .LBB46_1576
.LBB46_1574:
	s_mov_b64 s[18:19], -1
                                        ; implicit-def: $vgpr6
	s_branch .LBB46_1579
.LBB46_1575:
	s_mov_b64 s[18:19], -1
                                        ; implicit-def: $vgpr6
.LBB46_1576:
	s_andn2_b64 vcc, exec, s[18:19]
	s_cbranch_vccnz .LBB46_1578
; %bb.1577:
	global_load_ushort v6, v[0:1], off
	s_movk_i32 s15, 0x7fff
	s_waitcnt vmcnt(0)
	v_cvt_f32_u32_e32 v6, v6
	v_bfe_u32 v7, v6, 16, 1
	v_add3_u32 v6, v6, v7, s15
	v_lshrrev_b32_e32 v6, 16, v6
.LBB46_1578:
	s_mov_b64 s[18:19], 0
.LBB46_1579:
	s_andn2_b64 vcc, exec, s[18:19]
	s_cbranch_vccnz .LBB46_1587
; %bb.1580:
	global_load_ubyte v6, v[0:1], off
	s_movk_i32 s15, 0x7f
	s_mov_b64 s[18:19], 0
	s_waitcnt vmcnt(0)
	v_cmp_lt_i16_e32 vcc, s15, v6
                                        ; implicit-def: $sgpr15
	s_and_saveexec_b64 s[20:21], vcc
	s_xor_b64 s[20:21], exec, s[20:21]
	s_cbranch_execz .LBB46_1600
; %bb.1581:
	s_movk_i32 s15, 0x80
	v_cmp_eq_u16_e32 vcc, s15, v6
	s_mov_b64 s[18:19], -1
                                        ; implicit-def: $sgpr15
	s_and_saveexec_b64 s[22:23], vcc
; %bb.1582:
	s_mov_b32 s15, 0x7f800001
	s_xor_b64 s[18:19], exec, -1
; %bb.1583:
	s_or_b64 exec, exec, s[22:23]
	s_and_b64 s[18:19], s[18:19], exec
	s_or_saveexec_b64 s[20:21], s[20:21]
	v_mov_b32_e32 v7, s15
	s_xor_b64 exec, exec, s[20:21]
	s_cbranch_execnz .LBB46_1601
.LBB46_1584:
	s_or_b64 exec, exec, s[20:21]
	s_and_saveexec_b64 s[20:21], s[18:19]
	s_cbranch_execz .LBB46_1586
.LBB46_1585:
	v_lshlrev_b32_e32 v7, 24, v6
	v_and_b32_e32 v6, 0xffff, v6
	v_and_b32_e32 v9, 7, v6
	v_ffbh_u32_e32 v11, v9
	v_min_u32_e32 v11, 32, v11
	v_subrev_u32_e32 v12, 28, v11
	v_bfe_u32 v10, v6, 3, 4
	v_lshlrev_b32_e32 v6, v12, v6
	v_sub_u32_e32 v11, 29, v11
	v_and_b32_e32 v6, 7, v6
	v_cmp_eq_u32_e32 vcc, 0, v10
	v_cndmask_b32_e32 v10, v10, v11, vcc
	v_cndmask_b32_e32 v6, v9, v6, vcc
	v_mov_b32_e32 v9, 0x3b800000
	v_lshlrev_b32_e32 v6, 20, v6
	v_and_b32_e32 v7, 0x80000000, v7
	v_lshl_add_u32 v9, v10, 23, v9
	v_or3_b32 v7, v7, v9, v6
.LBB46_1586:
	s_or_b64 exec, exec, s[20:21]
	v_bfe_u32 v6, v7, 16, 1
	s_movk_i32 s15, 0x7fff
	v_add3_u32 v6, v7, v6, s15
	v_lshrrev_b32_e32 v6, 16, v6
	v_mov_b32_e32 v9, 0x7fc0
	v_cmp_o_f32_e32 vcc, v7, v7
	v_cndmask_b32_e32 v6, v9, v6, vcc
.LBB46_1587:
	s_mov_b64 s[20:21], -1
.LBB46_1588:
	s_branch .LBB46_1620
.LBB46_1589:
	s_waitcnt vmcnt(0)
	v_mov_b32_e32 v6, 22
	v_cmp_gt_i16_sdwa s[16:17], v5, v6 src0_sel:BYTE_0 src1_sel:DWORD
	s_and_b64 vcc, exec, s[16:17]
	s_cbranch_vccz .LBB46_1599
; %bb.1590:
	v_mov_b32_e32 v6, 24
	v_cmp_lt_i16_sdwa s[16:17], v5, v6 src0_sel:BYTE_0 src1_sel:DWORD
	s_and_b64 vcc, exec, s[16:17]
	s_cbranch_vccnz .LBB46_1602
; %bb.1591:
	v_cmp_gt_i16_sdwa s[16:17], v5, v6 src0_sel:BYTE_0 src1_sel:DWORD
	s_and_b64 vcc, exec, s[16:17]
	s_cbranch_vccz .LBB46_1603
; %bb.1592:
	global_load_ubyte v6, v[0:1], off
	s_movk_i32 s15, 0x7f
	s_mov_b64 s[16:17], 0
	s_waitcnt vmcnt(0)
	v_cmp_lt_i16_e32 vcc, s15, v6
                                        ; implicit-def: $sgpr15
	s_and_saveexec_b64 s[18:19], vcc
	s_xor_b64 s[18:19], exec, s[18:19]
	s_cbranch_execz .LBB46_1614
; %bb.1593:
	s_movk_i32 s15, 0x80
	v_cmp_eq_u16_e32 vcc, s15, v6
	s_mov_b64 s[16:17], -1
                                        ; implicit-def: $sgpr15
	s_and_saveexec_b64 s[20:21], vcc
; %bb.1594:
	s_mov_b32 s15, 0x7f800001
	s_xor_b64 s[16:17], exec, -1
; %bb.1595:
	s_or_b64 exec, exec, s[20:21]
	s_and_b64 s[16:17], s[16:17], exec
	s_or_saveexec_b64 s[18:19], s[18:19]
	v_mov_b32_e32 v7, s15
	s_xor_b64 exec, exec, s[18:19]
	s_cbranch_execnz .LBB46_1615
.LBB46_1596:
	s_or_b64 exec, exec, s[18:19]
	s_and_saveexec_b64 s[18:19], s[16:17]
	s_cbranch_execz .LBB46_1598
.LBB46_1597:
	v_lshlrev_b32_e32 v7, 24, v6
	v_and_b32_e32 v6, 0xffff, v6
	v_and_b32_e32 v9, 3, v6
	v_ffbh_u32_e32 v11, v9
	v_min_u32_e32 v11, 32, v11
	v_subrev_u32_e32 v12, 29, v11
	v_bfe_u32 v10, v6, 2, 5
	v_lshlrev_b32_e32 v6, v12, v6
	v_sub_u32_e32 v11, 30, v11
	v_and_b32_e32 v6, 3, v6
	v_cmp_eq_u32_e32 vcc, 0, v10
	v_cndmask_b32_e32 v10, v10, v11, vcc
	v_cndmask_b32_e32 v6, v9, v6, vcc
	v_mov_b32_e32 v9, 0x37800000
	v_lshlrev_b32_e32 v6, 21, v6
	v_and_b32_e32 v7, 0x80000000, v7
	v_lshl_add_u32 v9, v10, 23, v9
	v_or3_b32 v7, v7, v9, v6
.LBB46_1598:
	s_or_b64 exec, exec, s[18:19]
	v_bfe_u32 v6, v7, 16, 1
	s_movk_i32 s15, 0x7fff
	v_add3_u32 v6, v7, v6, s15
	v_lshrrev_b32_e32 v6, 16, v6
	v_mov_b32_e32 v9, 0x7fc0
	v_cmp_o_f32_e32 vcc, v7, v7
	v_cndmask_b32_e32 v6, v9, v6, vcc
	s_mov_b64 s[16:17], 0
	s_branch .LBB46_1604
.LBB46_1599:
                                        ; implicit-def: $vgpr6
	s_mov_b64 s[16:17], 0
	s_branch .LBB46_1610
.LBB46_1600:
	s_or_saveexec_b64 s[20:21], s[20:21]
	v_mov_b32_e32 v7, s15
	s_xor_b64 exec, exec, s[20:21]
	s_cbranch_execz .LBB46_1584
.LBB46_1601:
	v_cmp_ne_u16_e32 vcc, 0, v6
	s_andn2_b64 s[18:19], s[18:19], exec
	s_and_b64 s[22:23], vcc, exec
	v_mov_b32_e32 v7, 0
	s_or_b64 s[18:19], s[18:19], s[22:23]
	s_or_b64 exec, exec, s[20:21]
	s_and_saveexec_b64 s[20:21], s[18:19]
	s_cbranch_execnz .LBB46_1585
	s_branch .LBB46_1586
.LBB46_1602:
	s_mov_b64 s[16:17], -1
                                        ; implicit-def: $vgpr6
	s_branch .LBB46_1607
.LBB46_1603:
	s_mov_b64 s[16:17], -1
                                        ; implicit-def: $vgpr6
.LBB46_1604:
	s_and_b64 vcc, exec, s[16:17]
	s_cbranch_vccz .LBB46_1606
; %bb.1605:
	global_load_ubyte v6, v[0:1], off
	s_mov_b32 s15, 0x7f800000
	s_brev_b32 s16, 1
	s_movk_i32 s17, 0x7fff
	v_mov_b32_e32 v7, 0x7fc0
	s_waitcnt vmcnt(0)
	v_lshlrev_b32_e32 v6, 24, v6
	v_and_b32_e32 v9, 0x7f000000, v6
	v_ffbh_u32_e32 v10, v9
	v_min_u32_e32 v10, 32, v10
	v_sub_u32_e64 v10, v10, 4 clamp
	v_lshlrev_b32_e32 v12, v10, v9
	v_lshlrev_b32_e32 v10, 23, v10
	v_lshrrev_b32_e32 v12, 4, v12
	v_add_u32_e32 v11, 0x1000000, v9
	v_sub_u32_e32 v10, v12, v10
	v_ashrrev_i32_e32 v11, 8, v11
	v_add_u32_e32 v10, 0x3c000000, v10
	v_and_or_b32 v10, v11, s15, v10
	v_cmp_ne_u32_e32 vcc, 0, v9
	v_cndmask_b32_e32 v9, 0, v10, vcc
	v_and_or_b32 v6, v6, s16, v9
	v_bfe_u32 v9, v9, 16, 1
	v_add3_u32 v9, v6, v9, s17
	v_lshrrev_b32_e32 v9, 16, v9
	v_cmp_o_f32_e32 vcc, v6, v6
	v_cndmask_b32_e32 v6, v7, v9, vcc
.LBB46_1606:
	s_mov_b64 s[16:17], 0
.LBB46_1607:
	s_andn2_b64 vcc, exec, s[16:17]
	s_cbranch_vccnz .LBB46_1609
; %bb.1608:
	global_load_ubyte v6, v[0:1], off
	s_movk_i32 s15, 0x7f00
	s_brev_b32 s16, 16
	s_brev_b32 s17, 1
	s_movk_i32 s18, 0x7fff
	v_mov_b32_e32 v7, 0x7fc0
	s_waitcnt vmcnt(0)
	v_lshlrev_b16_e32 v9, 8, v6
	v_lshlrev_b32_e32 v6, 25, v6
	v_lshrrev_b32_e32 v10, 4, v6
	v_and_or_b32 v11, v9, s15, 0.5
	v_or_b32_e32 v10, 0x70000000, v10
	v_add_f32_e32 v11, -0.5, v11
	v_mul_f32_e32 v10, 0x7800000, v10
	v_cmp_gt_u32_e32 vcc, s16, v6
	v_bfe_i32 v9, v9, 0, 16
	v_cndmask_b32_e32 v6, v10, v11, vcc
	v_and_or_b32 v9, v9, s17, v6
	v_bfe_u32 v6, v6, 16, 1
	v_add3_u32 v6, v9, v6, s18
	v_lshrrev_b32_e32 v6, 16, v6
	v_cmp_o_f32_e32 vcc, v9, v9
	v_cndmask_b32_e32 v6, v7, v6, vcc
.LBB46_1609:
	s_mov_b64 s[20:21], -1
	s_mov_b64 s[16:17], 0
	s_cbranch_execnz .LBB46_1620
.LBB46_1610:
	v_mov_b32_e32 v6, 14
	v_cmp_gt_i16_sdwa s[16:17], v5, v6 src0_sel:BYTE_0 src1_sel:DWORD
	s_and_b64 vcc, exec, s[16:17]
	s_cbranch_vccz .LBB46_1613
; %bb.1611:
	v_mov_b32_e32 v6, 15
	v_cmp_eq_u16_sdwa s[0:1], v5, v6 src0_sel:BYTE_0 src1_sel:DWORD
	s_and_b64 vcc, exec, s[0:1]
	s_cbranch_vccz .LBB46_1616
; %bb.1612:
	global_load_ushort v6, v[0:1], off
	s_mov_b64 s[0:1], 0
	s_mov_b64 s[20:21], -1
	s_branch .LBB46_1617
.LBB46_1613:
	s_mov_b64 s[18:19], -1
                                        ; implicit-def: $vgpr6
	s_branch .LBB46_1618
.LBB46_1614:
	s_or_saveexec_b64 s[18:19], s[18:19]
	v_mov_b32_e32 v7, s15
	s_xor_b64 exec, exec, s[18:19]
	s_cbranch_execz .LBB46_1596
.LBB46_1615:
	v_cmp_ne_u16_e32 vcc, 0, v6
	s_andn2_b64 s[16:17], s[16:17], exec
	s_and_b64 s[20:21], vcc, exec
	v_mov_b32_e32 v7, 0
	s_or_b64 s[16:17], s[16:17], s[20:21]
	s_or_b64 exec, exec, s[18:19]
	s_and_saveexec_b64 s[18:19], s[16:17]
	s_cbranch_execnz .LBB46_1597
	s_branch .LBB46_1598
.LBB46_1616:
	s_mov_b64 s[0:1], -1
                                        ; implicit-def: $vgpr6
.LBB46_1617:
	s_mov_b64 s[18:19], 0
.LBB46_1618:
	s_mov_b64 s[16:17], 0
	s_and_b64 vcc, exec, s[18:19]
	s_cbranch_vccz .LBB46_1620
; %bb.1619:
	s_waitcnt vmcnt(0)
	v_mov_b32_e32 v6, 11
	v_cmp_ne_u16_sdwa s[0:1], v5, v6 src0_sel:BYTE_0 src1_sel:DWORD
	s_mov_b64 s[16:17], -1
                                        ; implicit-def: $vgpr6
.LBB46_1620:
	s_and_b64 vcc, exec, s[0:1]
	s_mov_b64 s[18:19], s[6:7]
	s_cbranch_vccnz .LBB46_1681
; %bb.1621:
	s_andn2_b64 vcc, exec, s[16:17]
	s_cbranch_vccnz .LBB46_1623
.LBB46_1622:
	global_load_ubyte v6, v[0:1], off
	s_mov_b64 s[20:21], -1
	s_waitcnt vmcnt(0)
	v_cmp_ne_u16_e32 vcc, 0, v6
	v_cndmask_b32_e64 v6, 0, 1.0, vcc
	v_lshrrev_b32_e32 v6, 16, v6
.LBB46_1623:
	s_branch .LBB46_1553
.LBB46_1624:
	s_waitcnt vmcnt(0)
	v_mov_b32_e32 v6, 5
	v_cmp_lt_i16_sdwa s[0:1], v5, v6 src0_sel:BYTE_0 src1_sel:DWORD
	s_and_b64 vcc, exec, s[0:1]
	s_cbranch_vccnz .LBB46_1629
; %bb.1625:
	v_mov_b32_e32 v6, 8
	v_cmp_lt_i16_sdwa s[0:1], v5, v6 src0_sel:BYTE_0 src1_sel:DWORD
	s_and_b64 vcc, exec, s[0:1]
	s_cbranch_vccnz .LBB46_1630
; %bb.1626:
	;; [unrolled: 5-line block ×3, first 2 shown]
	v_cmp_gt_i16_sdwa s[0:1], v5, v6 src0_sel:BYTE_0 src1_sel:DWORD
	s_and_b64 vcc, exec, s[0:1]
	s_cbranch_vccz .LBB46_1632
; %bb.1628:
	global_load_dwordx2 v[6:7], v[0:1], off
	s_movk_i32 s0, 0x7fff
	v_mov_b32_e32 v9, 0x7fc0
	s_waitcnt vmcnt(0)
	v_cvt_f32_f64_e32 v6, v[6:7]
	v_bfe_u32 v7, v6, 16, 1
	v_add3_u32 v7, v6, v7, s0
	v_lshrrev_b32_e32 v7, 16, v7
	v_cmp_o_f32_e32 vcc, v6, v6
	v_cndmask_b32_e32 v6, v9, v7, vcc
	s_mov_b64 s[0:1], 0
	s_branch .LBB46_1633
.LBB46_1629:
                                        ; implicit-def: $vgpr6
	s_branch .LBB46_1650
.LBB46_1630:
                                        ; implicit-def: $vgpr6
	s_branch .LBB46_1639
.LBB46_1631:
	s_mov_b64 s[0:1], -1
                                        ; implicit-def: $vgpr6
	s_branch .LBB46_1636
.LBB46_1632:
	s_mov_b64 s[0:1], -1
                                        ; implicit-def: $vgpr6
.LBB46_1633:
	s_andn2_b64 vcc, exec, s[0:1]
	s_cbranch_vccnz .LBB46_1635
; %bb.1634:
	global_load_dword v6, v[0:1], off
	s_movk_i32 s0, 0x7fff
	v_mov_b32_e32 v7, 0x7fc0
	s_waitcnt vmcnt(0)
	v_bfe_u32 v9, v6, 16, 1
	v_add3_u32 v9, v6, v9, s0
	v_lshrrev_b32_e32 v9, 16, v9
	v_cmp_o_f32_e32 vcc, v6, v6
	v_cndmask_b32_e32 v6, v7, v9, vcc
.LBB46_1635:
	s_mov_b64 s[0:1], 0
.LBB46_1636:
	s_andn2_b64 vcc, exec, s[0:1]
	s_cbranch_vccnz .LBB46_1638
; %bb.1637:
	global_load_dword v6, v[0:1], off
	s_movk_i32 s0, 0x7fff
	v_mov_b32_e32 v9, 0x7fc0
	s_waitcnt vmcnt(0)
	v_cvt_f32_f16_e32 v7, v6
	v_cmp_o_f16_e32 vcc, v6, v6
	v_bfe_u32 v10, v7, 16, 1
	v_add3_u32 v7, v7, v10, s0
	v_lshrrev_b32_e32 v7, 16, v7
	v_cndmask_b32_e32 v6, v9, v7, vcc
.LBB46_1638:
	s_cbranch_execnz .LBB46_1649
.LBB46_1639:
	v_mov_b32_e32 v6, 6
	v_cmp_lt_i16_sdwa s[0:1], v5, v6 src0_sel:BYTE_0 src1_sel:DWORD
	s_and_b64 vcc, exec, s[0:1]
	s_cbranch_vccnz .LBB46_1642
; %bb.1640:
	v_cmp_gt_i16_sdwa s[0:1], v5, v6 src0_sel:BYTE_0 src1_sel:DWORD
	s_and_b64 vcc, exec, s[0:1]
	s_cbranch_vccz .LBB46_1643
; %bb.1641:
	global_load_dwordx2 v[6:7], v[0:1], off
	s_movk_i32 s0, 0x7fff
	v_mov_b32_e32 v9, 0x7fc0
	s_waitcnt vmcnt(0)
	v_cvt_f32_f64_e32 v6, v[6:7]
	v_bfe_u32 v7, v6, 16, 1
	v_add3_u32 v7, v6, v7, s0
	v_lshrrev_b32_e32 v7, 16, v7
	v_cmp_o_f32_e32 vcc, v6, v6
	v_cndmask_b32_e32 v6, v9, v7, vcc
	s_mov_b64 s[0:1], 0
	s_branch .LBB46_1644
.LBB46_1642:
	s_mov_b64 s[0:1], -1
                                        ; implicit-def: $vgpr6
	s_branch .LBB46_1647
.LBB46_1643:
	s_mov_b64 s[0:1], -1
                                        ; implicit-def: $vgpr6
.LBB46_1644:
	s_andn2_b64 vcc, exec, s[0:1]
	s_cbranch_vccnz .LBB46_1646
; %bb.1645:
	global_load_dword v6, v[0:1], off
	s_movk_i32 s0, 0x7fff
	v_mov_b32_e32 v7, 0x7fc0
	s_waitcnt vmcnt(0)
	v_bfe_u32 v9, v6, 16, 1
	v_add3_u32 v9, v6, v9, s0
	v_lshrrev_b32_e32 v9, 16, v9
	v_cmp_o_f32_e32 vcc, v6, v6
	v_cndmask_b32_e32 v6, v7, v9, vcc
.LBB46_1646:
	s_mov_b64 s[0:1], 0
.LBB46_1647:
	s_andn2_b64 vcc, exec, s[0:1]
	s_cbranch_vccnz .LBB46_1649
; %bb.1648:
	global_load_ushort v6, v[0:1], off
	s_movk_i32 s0, 0x7fff
	v_mov_b32_e32 v9, 0x7fc0
	s_waitcnt vmcnt(0)
	v_cvt_f32_f16_e32 v7, v6
	v_cmp_o_f16_e32 vcc, v6, v6
	v_bfe_u32 v10, v7, 16, 1
	v_add3_u32 v7, v7, v10, s0
	v_lshrrev_b32_e32 v7, 16, v7
	v_cndmask_b32_e32 v6, v9, v7, vcc
.LBB46_1649:
	s_cbranch_execnz .LBB46_1668
.LBB46_1650:
	v_mov_b32_e32 v6, 2
	v_cmp_lt_i16_sdwa s[0:1], v5, v6 src0_sel:BYTE_0 src1_sel:DWORD
	s_and_b64 vcc, exec, s[0:1]
	s_cbranch_vccnz .LBB46_1654
; %bb.1651:
	v_mov_b32_e32 v6, 3
	v_cmp_lt_i16_sdwa s[0:1], v5, v6 src0_sel:BYTE_0 src1_sel:DWORD
	s_and_b64 vcc, exec, s[0:1]
	s_cbranch_vccnz .LBB46_1655
; %bb.1652:
	v_cmp_gt_i16_sdwa s[0:1], v5, v6 src0_sel:BYTE_0 src1_sel:DWORD
	s_and_b64 vcc, exec, s[0:1]
	s_cbranch_vccz .LBB46_1656
; %bb.1653:
	global_load_dwordx2 v[6:7], v[0:1], off
	s_movk_i32 s0, 0x7fff
	s_waitcnt vmcnt(0)
	v_xor_b32_e32 v10, v6, v7
	v_ffbh_i32_e32 v9, v7
	v_ashrrev_i32_e32 v10, 31, v10
	v_add_u32_e32 v9, -1, v9
	v_add_u32_e32 v10, 32, v10
	v_min_u32_e32 v9, v9, v10
	v_lshlrev_b64 v[6:7], v9, v[6:7]
	v_min_u32_e32 v6, 1, v6
	v_or_b32_e32 v6, v7, v6
	v_cvt_f32_i32_e32 v6, v6
	v_sub_u32_e32 v7, 32, v9
	v_ldexp_f32 v6, v6, v7
	v_bfe_u32 v7, v6, 16, 1
	v_add3_u32 v6, v6, v7, s0
	v_lshrrev_b32_e32 v6, 16, v6
	s_mov_b64 s[0:1], 0
	s_branch .LBB46_1657
.LBB46_1654:
                                        ; implicit-def: $vgpr6
	s_branch .LBB46_1663
.LBB46_1655:
	s_mov_b64 s[0:1], -1
                                        ; implicit-def: $vgpr6
	s_branch .LBB46_1660
.LBB46_1656:
	s_mov_b64 s[0:1], -1
                                        ; implicit-def: $vgpr6
.LBB46_1657:
	s_andn2_b64 vcc, exec, s[0:1]
	s_cbranch_vccnz .LBB46_1659
; %bb.1658:
	global_load_dword v6, v[0:1], off
	s_movk_i32 s0, 0x7fff
	s_waitcnt vmcnt(0)
	v_cvt_f32_i32_e32 v6, v6
	v_bfe_u32 v7, v6, 16, 1
	v_add3_u32 v6, v6, v7, s0
	v_lshrrev_b32_e32 v6, 16, v6
.LBB46_1659:
	s_mov_b64 s[0:1], 0
.LBB46_1660:
	s_andn2_b64 vcc, exec, s[0:1]
	s_cbranch_vccnz .LBB46_1662
; %bb.1661:
	global_load_sshort v6, v[0:1], off
	s_movk_i32 s0, 0x7fff
	s_waitcnt vmcnt(0)
	v_cvt_f32_i32_e32 v6, v6
	v_bfe_u32 v7, v6, 16, 1
	v_add3_u32 v6, v6, v7, s0
	v_lshrrev_b32_e32 v6, 16, v6
.LBB46_1662:
	s_cbranch_execnz .LBB46_1668
.LBB46_1663:
	v_mov_b32_e32 v6, 0
	v_cmp_gt_i16_sdwa s[0:1], v5, v6 src0_sel:BYTE_0 src1_sel:DWORD
	s_and_b64 vcc, exec, s[0:1]
	s_cbranch_vccz .LBB46_1665
; %bb.1664:
	global_load_sbyte v6, v[0:1], off
	s_movk_i32 s0, 0x7fff
	s_waitcnt vmcnt(0)
	v_cvt_f32_i32_e32 v6, v6
	v_bfe_u32 v7, v6, 16, 1
	v_add3_u32 v6, v6, v7, s0
	v_lshrrev_b32_e32 v6, 16, v6
	s_mov_b64 s[0:1], 0
	s_branch .LBB46_1666
.LBB46_1665:
	s_mov_b64 s[0:1], -1
                                        ; implicit-def: $vgpr6
.LBB46_1666:
	s_andn2_b64 vcc, exec, s[0:1]
	s_cbranch_vccnz .LBB46_1668
; %bb.1667:
	global_load_ubyte v0, v[0:1], off
	s_movk_i32 s0, 0x7fff
	s_waitcnt vmcnt(0)
	v_cvt_f32_ubyte0_e32 v0, v0
	v_bfe_u32 v1, v0, 16, 1
	v_add3_u32 v0, v0, v1, s0
	v_lshrrev_b32_e32 v6, 16, v0
.LBB46_1668:
.LBB46_1669:
	v_mul_lo_u32 v9, s14, v3
	v_ashrrev_i32_e32 v1, 31, v9
	v_mov_b32_e32 v7, s3
	v_add_co_u32_e32 v0, vcc, s2, v9
	v_addc_co_u32_e32 v1, vcc, v7, v1, vcc
	v_mov_b32_e32 v7, 11
	v_cmp_lt_i16_sdwa s[0:1], v4, v7 src0_sel:BYTE_0 src1_sel:DWORD
	s_and_b64 vcc, exec, s[0:1]
	s_cbranch_vccnz .LBB46_1676
; %bb.1670:
	v_mov_b32_e32 v7, 25
	v_cmp_gt_i16_sdwa s[0:1], v4, v7 src0_sel:BYTE_0 src1_sel:DWORD
	s_mov_b64 s[16:17], 0
	s_and_b64 vcc, exec, s[0:1]
	s_cbranch_vccz .LBB46_1678
; %bb.1671:
	v_mov_b32_e32 v7, 28
	v_cmp_gt_i16_sdwa s[0:1], v4, v7 src0_sel:BYTE_0 src1_sel:DWORD
	s_and_b64 vcc, exec, s[0:1]
	s_cbranch_vccz .LBB46_1679
; %bb.1672:
	v_mov_b32_e32 v7, 43
	v_cmp_gt_i16_sdwa s[0:1], v4, v7 src0_sel:BYTE_0 src1_sel:DWORD
	;; [unrolled: 5-line block ×3, first 2 shown]
	s_and_b64 vcc, exec, s[0:1]
	s_cbranch_vccz .LBB46_1682
; %bb.1674:
	v_mov_b32_e32 v7, 46
	v_cmp_eq_u16_sdwa s[0:1], v4, v7 src0_sel:BYTE_0 src1_sel:DWORD
	s_mov_b64 s[22:23], 0
	s_and_b64 vcc, exec, s[0:1]
	s_cbranch_vccz .LBB46_1685
; %bb.1675:
	global_load_dword v7, v[0:1], off
	s_mov_b64 s[0:1], 0
	s_mov_b64 s[20:21], -1
	s_branch .LBB46_1686
.LBB46_1676:
	s_mov_b64 s[20:21], 0
                                        ; implicit-def: $vgpr7
	s_cbranch_execnz .LBB46_1751
.LBB46_1677:
	s_andn2_b64 vcc, exec, s[20:21]
	s_cbranch_vccnz .LBB46_3032
	s_branch .LBB46_1798
.LBB46_1678:
	s_mov_b64 s[20:21], 0
	s_mov_b64 s[0:1], 0
                                        ; implicit-def: $vgpr7
	s_cbranch_execnz .LBB46_1715
	s_branch .LBB46_1747
.LBB46_1679:
	s_mov_b64 s[22:23], -1
	s_mov_b64 s[20:21], 0
	s_mov_b64 s[0:1], 0
                                        ; implicit-def: $vgpr7
	s_branch .LBB46_1696
.LBB46_1680:
	s_mov_b64 s[22:23], -1
	s_mov_b64 s[20:21], 0
	s_mov_b64 s[0:1], 0
                                        ; implicit-def: $vgpr7
	s_branch .LBB46_1691
.LBB46_1681:
	s_or_b64 s[18:19], s[6:7], exec
	s_trap 2
                                        ; implicit-def: $vgpr6
	s_cbranch_execz .LBB46_1622
	s_branch .LBB46_1623
.LBB46_1682:
	s_mov_b64 s[22:23], -1
	s_mov_b64 s[20:21], 0
	s_mov_b64 s[0:1], 0
                                        ; implicit-def: $vgpr7
	s_branch .LBB46_1686
.LBB46_1683:
	s_or_saveexec_b64 s[28:29], s[28:29]
                                        ; implicit-def: $sgpr15
	s_xor_b64 exec, exec, s[28:29]
	s_cbranch_execz .LBB46_1469
.LBB46_1684:
	s_mov_b32 s15, 0x42800000
	v_add_f32_e64 v3, |v6|, s15
	v_and_b32_e32 v3, 0xff, v3
	v_cmp_ne_u32_e32 vcc, 0, v3
	s_andn2_b64 s[26:27], s[26:27], exec
	s_and_b64 s[30:31], vcc, exec
	s_mov_b32 s15, 0
	s_or_b64 s[26:27], s[26:27], s[30:31]
	s_or_b64 exec, exec, s[28:29]
	v_mov_b32_e32 v8, s15
	s_and_saveexec_b64 s[28:29], s[26:27]
	s_cbranch_execnz .LBB46_1470
	s_branch .LBB46_1471
.LBB46_1685:
	s_mov_b64 s[0:1], -1
                                        ; implicit-def: $vgpr7
	s_mov_b64 s[20:21], 0
.LBB46_1686:
	s_and_b64 vcc, exec, s[22:23]
	s_cbranch_vccz .LBB46_1690
; %bb.1687:
	s_waitcnt vmcnt(0)
	v_mov_b32_e32 v7, 44
	v_cmp_eq_u16_sdwa s[0:1], v4, v7 src0_sel:BYTE_0 src1_sel:DWORD
	s_and_b64 vcc, exec, s[0:1]
	s_cbranch_vccz .LBB46_1689
; %bb.1688:
	global_load_ubyte v7, v[0:1], off
	s_movk_i32 s15, 0xff
	v_mov_b32_e32 v10, 0x7f800001
	v_mov_b32_e32 v11, 0x400000
	;; [unrolled: 1-line block ×3, first 2 shown]
	s_mov_b64 s[0:1], 0
	s_mov_b64 s[20:21], -1
	s_waitcnt vmcnt(0)
	v_lshlrev_b32_e32 v13, 23, v7
	v_cmp_ne_u32_e32 vcc, s15, v7
	v_cndmask_b32_e32 v10, v10, v13, vcc
	v_cmp_ne_u32_e32 vcc, 0, v7
	v_cndmask_b32_e32 v7, v11, v10, vcc
	v_add_u32_e32 v10, 0x7fff, v7
	v_lshrrev_b32_e32 v10, 16, v10
	v_cmp_o_f32_e32 vcc, v7, v7
	v_cndmask_b32_e32 v7, v12, v10, vcc
	s_branch .LBB46_1690
.LBB46_1689:
	s_mov_b64 s[0:1], -1
                                        ; implicit-def: $vgpr7
.LBB46_1690:
	s_mov_b64 s[22:23], 0
.LBB46_1691:
	s_and_b64 vcc, exec, s[22:23]
	s_cbranch_vccz .LBB46_1695
; %bb.1692:
	s_waitcnt vmcnt(0)
	v_mov_b32_e32 v7, 29
	v_cmp_eq_u16_sdwa s[0:1], v4, v7 src0_sel:BYTE_0 src1_sel:DWORD
	s_and_b64 vcc, exec, s[0:1]
	s_cbranch_vccz .LBB46_1694
; %bb.1693:
	global_load_dwordx2 v[10:11], v[0:1], off
	s_movk_i32 s15, 0x7fff
	s_mov_b64 s[0:1], 0
	s_mov_b64 s[20:21], -1
	s_mov_b64 s[22:23], 0
	s_waitcnt vmcnt(0)
	v_ffbh_u32_e32 v7, v11
	v_min_u32_e32 v7, 32, v7
	v_lshlrev_b64 v[10:11], v7, v[10:11]
	v_min_u32_e32 v10, 1, v10
	v_or_b32_e32 v10, v11, v10
	v_cvt_f32_u32_e32 v10, v10
	v_sub_u32_e32 v7, 32, v7
	v_ldexp_f32 v7, v10, v7
	v_bfe_u32 v10, v7, 16, 1
	v_add3_u32 v7, v7, v10, s15
	v_lshrrev_b32_e32 v7, 16, v7
	s_branch .LBB46_1696
.LBB46_1694:
	s_mov_b64 s[0:1], -1
                                        ; implicit-def: $vgpr7
.LBB46_1695:
	s_mov_b64 s[22:23], 0
.LBB46_1696:
	s_and_b64 vcc, exec, s[22:23]
	s_cbranch_vccz .LBB46_1714
; %bb.1697:
	s_waitcnt vmcnt(0)
	v_mov_b32_e32 v7, 27
	v_cmp_lt_i16_sdwa s[20:21], v4, v7 src0_sel:BYTE_0 src1_sel:DWORD
	s_and_b64 vcc, exec, s[20:21]
	s_cbranch_vccnz .LBB46_1700
; %bb.1698:
	v_cmp_gt_i16_sdwa s[20:21], v4, v7 src0_sel:BYTE_0 src1_sel:DWORD
	s_and_b64 vcc, exec, s[20:21]
	s_cbranch_vccz .LBB46_1701
; %bb.1699:
	global_load_dword v7, v[0:1], off
	s_movk_i32 s15, 0x7fff
	s_mov_b64 s[20:21], 0
	s_waitcnt vmcnt(0)
	v_cvt_f32_u32_e32 v7, v7
	v_bfe_u32 v10, v7, 16, 1
	v_add3_u32 v7, v7, v10, s15
	v_lshrrev_b32_e32 v7, 16, v7
	s_branch .LBB46_1702
.LBB46_1700:
	s_mov_b64 s[20:21], -1
                                        ; implicit-def: $vgpr7
	s_branch .LBB46_1705
.LBB46_1701:
	s_mov_b64 s[20:21], -1
                                        ; implicit-def: $vgpr7
.LBB46_1702:
	s_andn2_b64 vcc, exec, s[20:21]
	s_cbranch_vccnz .LBB46_1704
; %bb.1703:
	global_load_ushort v7, v[0:1], off
	s_movk_i32 s15, 0x7fff
	s_waitcnt vmcnt(0)
	v_cvt_f32_u32_e32 v7, v7
	v_bfe_u32 v10, v7, 16, 1
	v_add3_u32 v7, v7, v10, s15
	v_lshrrev_b32_e32 v7, 16, v7
.LBB46_1704:
	s_mov_b64 s[20:21], 0
.LBB46_1705:
	s_andn2_b64 vcc, exec, s[20:21]
	s_cbranch_vccnz .LBB46_1713
; %bb.1706:
	global_load_ubyte v7, v[0:1], off
	s_movk_i32 s15, 0x7f
	s_mov_b64 s[20:21], 0
	s_waitcnt vmcnt(0)
	v_cmp_lt_i16_e32 vcc, s15, v7
                                        ; implicit-def: $sgpr15
	s_and_saveexec_b64 s[22:23], vcc
	s_xor_b64 s[22:23], exec, s[22:23]
	s_cbranch_execz .LBB46_1726
; %bb.1707:
	s_movk_i32 s15, 0x80
	v_cmp_eq_u16_e32 vcc, s15, v7
	s_mov_b64 s[20:21], -1
                                        ; implicit-def: $sgpr15
	s_and_saveexec_b64 s[24:25], vcc
; %bb.1708:
	s_mov_b32 s15, 0x7f800001
	s_xor_b64 s[20:21], exec, -1
; %bb.1709:
	s_or_b64 exec, exec, s[24:25]
	s_and_b64 s[20:21], s[20:21], exec
	s_or_saveexec_b64 s[22:23], s[22:23]
	v_mov_b32_e32 v10, s15
	s_xor_b64 exec, exec, s[22:23]
	s_cbranch_execnz .LBB46_1727
.LBB46_1710:
	s_or_b64 exec, exec, s[22:23]
	s_and_saveexec_b64 s[22:23], s[20:21]
	s_cbranch_execz .LBB46_1712
.LBB46_1711:
	v_lshlrev_b32_e32 v10, 24, v7
	v_and_b32_e32 v7, 0xffff, v7
	v_and_b32_e32 v11, 7, v7
	v_ffbh_u32_e32 v13, v11
	v_min_u32_e32 v13, 32, v13
	v_subrev_u32_e32 v14, 28, v13
	v_bfe_u32 v12, v7, 3, 4
	v_lshlrev_b32_e32 v7, v14, v7
	v_sub_u32_e32 v13, 29, v13
	v_and_b32_e32 v7, 7, v7
	v_cmp_eq_u32_e32 vcc, 0, v12
	v_cndmask_b32_e32 v12, v12, v13, vcc
	v_cndmask_b32_e32 v7, v11, v7, vcc
	v_mov_b32_e32 v11, 0x3b800000
	v_lshlrev_b32_e32 v7, 20, v7
	v_and_b32_e32 v10, 0x80000000, v10
	v_lshl_add_u32 v11, v12, 23, v11
	v_or3_b32 v10, v10, v11, v7
.LBB46_1712:
	s_or_b64 exec, exec, s[22:23]
	v_bfe_u32 v7, v10, 16, 1
	s_movk_i32 s15, 0x7fff
	v_add3_u32 v7, v10, v7, s15
	v_lshrrev_b32_e32 v7, 16, v7
	v_mov_b32_e32 v11, 0x7fc0
	v_cmp_o_f32_e32 vcc, v10, v10
	v_cndmask_b32_e32 v7, v11, v7, vcc
.LBB46_1713:
	s_mov_b64 s[20:21], -1
.LBB46_1714:
	s_branch .LBB46_1747
.LBB46_1715:
	s_waitcnt vmcnt(0)
	v_mov_b32_e32 v7, 22
	v_cmp_gt_i16_sdwa s[16:17], v4, v7 src0_sel:BYTE_0 src1_sel:DWORD
	s_and_b64 vcc, exec, s[16:17]
	s_cbranch_vccz .LBB46_1725
; %bb.1716:
	v_mov_b32_e32 v7, 24
	v_cmp_lt_i16_sdwa s[16:17], v4, v7 src0_sel:BYTE_0 src1_sel:DWORD
	s_and_b64 vcc, exec, s[16:17]
	s_cbranch_vccnz .LBB46_1728
; %bb.1717:
	v_cmp_gt_i16_sdwa s[16:17], v4, v7 src0_sel:BYTE_0 src1_sel:DWORD
	s_and_b64 vcc, exec, s[16:17]
	s_cbranch_vccz .LBB46_1729
; %bb.1718:
	global_load_ubyte v7, v[0:1], off
	s_movk_i32 s15, 0x7f
	s_mov_b64 s[16:17], 0
	s_waitcnt vmcnt(0)
	v_cmp_lt_i16_e32 vcc, s15, v7
                                        ; implicit-def: $sgpr15
	s_and_saveexec_b64 s[20:21], vcc
	s_xor_b64 s[20:21], exec, s[20:21]
	s_cbranch_execz .LBB46_1741
; %bb.1719:
	s_movk_i32 s15, 0x80
	v_cmp_eq_u16_e32 vcc, s15, v7
	s_mov_b64 s[16:17], -1
                                        ; implicit-def: $sgpr15
	s_and_saveexec_b64 s[22:23], vcc
; %bb.1720:
	s_mov_b32 s15, 0x7f800001
	s_xor_b64 s[16:17], exec, -1
; %bb.1721:
	s_or_b64 exec, exec, s[22:23]
	s_and_b64 s[16:17], s[16:17], exec
	s_or_saveexec_b64 s[20:21], s[20:21]
	v_mov_b32_e32 v10, s15
	s_xor_b64 exec, exec, s[20:21]
	s_cbranch_execnz .LBB46_1742
.LBB46_1722:
	s_or_b64 exec, exec, s[20:21]
	s_and_saveexec_b64 s[20:21], s[16:17]
	s_cbranch_execz .LBB46_1724
.LBB46_1723:
	v_lshlrev_b32_e32 v10, 24, v7
	v_and_b32_e32 v7, 0xffff, v7
	v_and_b32_e32 v11, 3, v7
	v_ffbh_u32_e32 v13, v11
	v_min_u32_e32 v13, 32, v13
	v_subrev_u32_e32 v14, 29, v13
	v_bfe_u32 v12, v7, 2, 5
	v_lshlrev_b32_e32 v7, v14, v7
	v_sub_u32_e32 v13, 30, v13
	v_and_b32_e32 v7, 3, v7
	v_cmp_eq_u32_e32 vcc, 0, v12
	v_cndmask_b32_e32 v12, v12, v13, vcc
	v_cndmask_b32_e32 v7, v11, v7, vcc
	v_mov_b32_e32 v11, 0x37800000
	v_lshlrev_b32_e32 v7, 21, v7
	v_and_b32_e32 v10, 0x80000000, v10
	v_lshl_add_u32 v11, v12, 23, v11
	v_or3_b32 v10, v10, v11, v7
.LBB46_1724:
	s_or_b64 exec, exec, s[20:21]
	v_bfe_u32 v7, v10, 16, 1
	s_movk_i32 s15, 0x7fff
	v_add3_u32 v7, v10, v7, s15
	v_lshrrev_b32_e32 v7, 16, v7
	v_mov_b32_e32 v11, 0x7fc0
	v_cmp_o_f32_e32 vcc, v10, v10
	v_cndmask_b32_e32 v7, v11, v7, vcc
	s_mov_b64 s[16:17], 0
	s_branch .LBB46_1730
.LBB46_1725:
	s_mov_b64 s[16:17], -1
                                        ; implicit-def: $vgpr7
	s_branch .LBB46_1736
.LBB46_1726:
	s_or_saveexec_b64 s[22:23], s[22:23]
	v_mov_b32_e32 v10, s15
	s_xor_b64 exec, exec, s[22:23]
	s_cbranch_execz .LBB46_1710
.LBB46_1727:
	v_cmp_ne_u16_e32 vcc, 0, v7
	s_andn2_b64 s[20:21], s[20:21], exec
	s_and_b64 s[24:25], vcc, exec
	v_mov_b32_e32 v10, 0
	s_or_b64 s[20:21], s[20:21], s[24:25]
	s_or_b64 exec, exec, s[22:23]
	s_and_saveexec_b64 s[22:23], s[20:21]
	s_cbranch_execnz .LBB46_1711
	s_branch .LBB46_1712
.LBB46_1728:
	s_mov_b64 s[16:17], -1
                                        ; implicit-def: $vgpr7
	s_branch .LBB46_1733
.LBB46_1729:
	s_mov_b64 s[16:17], -1
                                        ; implicit-def: $vgpr7
.LBB46_1730:
	s_and_b64 vcc, exec, s[16:17]
	s_cbranch_vccz .LBB46_1732
; %bb.1731:
	global_load_ubyte v7, v[0:1], off
	s_mov_b32 s15, 0x7f800000
	s_brev_b32 s16, 1
	s_movk_i32 s17, 0x7fff
	v_mov_b32_e32 v10, 0x7fc0
	s_waitcnt vmcnt(0)
	v_lshlrev_b32_e32 v7, 24, v7
	v_and_b32_e32 v11, 0x7f000000, v7
	v_ffbh_u32_e32 v12, v11
	v_min_u32_e32 v12, 32, v12
	v_sub_u32_e64 v12, v12, 4 clamp
	v_lshlrev_b32_e32 v14, v12, v11
	v_lshlrev_b32_e32 v12, 23, v12
	v_lshrrev_b32_e32 v14, 4, v14
	v_add_u32_e32 v13, 0x1000000, v11
	v_sub_u32_e32 v12, v14, v12
	v_ashrrev_i32_e32 v13, 8, v13
	v_add_u32_e32 v12, 0x3c000000, v12
	v_and_or_b32 v12, v13, s15, v12
	v_cmp_ne_u32_e32 vcc, 0, v11
	v_cndmask_b32_e32 v11, 0, v12, vcc
	v_and_or_b32 v7, v7, s16, v11
	v_bfe_u32 v11, v11, 16, 1
	v_add3_u32 v11, v7, v11, s17
	v_lshrrev_b32_e32 v11, 16, v11
	v_cmp_o_f32_e32 vcc, v7, v7
	v_cndmask_b32_e32 v7, v10, v11, vcc
.LBB46_1732:
	s_mov_b64 s[16:17], 0
.LBB46_1733:
	s_andn2_b64 vcc, exec, s[16:17]
	s_cbranch_vccnz .LBB46_1735
; %bb.1734:
	global_load_ubyte v7, v[0:1], off
	s_movk_i32 s15, 0x7f00
	s_brev_b32 s16, 16
	s_brev_b32 s17, 1
	s_movk_i32 s20, 0x7fff
	v_mov_b32_e32 v10, 0x7fc0
	s_waitcnt vmcnt(0)
	v_lshlrev_b16_e32 v11, 8, v7
	v_lshlrev_b32_e32 v7, 25, v7
	v_lshrrev_b32_e32 v12, 4, v7
	v_and_or_b32 v13, v11, s15, 0.5
	v_or_b32_e32 v12, 0x70000000, v12
	v_add_f32_e32 v13, -0.5, v13
	v_mul_f32_e32 v12, 0x7800000, v12
	v_cmp_gt_u32_e32 vcc, s16, v7
	v_bfe_i32 v11, v11, 0, 16
	v_cndmask_b32_e32 v7, v12, v13, vcc
	v_and_or_b32 v11, v11, s17, v7
	v_bfe_u32 v7, v7, 16, 1
	v_add3_u32 v7, v11, v7, s20
	v_lshrrev_b32_e32 v7, 16, v7
	v_cmp_o_f32_e32 vcc, v11, v11
	v_cndmask_b32_e32 v7, v10, v7, vcc
.LBB46_1735:
	s_mov_b64 s[16:17], 0
	s_mov_b64 s[20:21], -1
.LBB46_1736:
	s_andn2_b64 vcc, exec, s[16:17]
	s_mov_b64 s[16:17], 0
	s_cbranch_vccnz .LBB46_1747
; %bb.1737:
	v_mov_b32_e32 v7, 14
	v_cmp_gt_i16_sdwa s[16:17], v4, v7 src0_sel:BYTE_0 src1_sel:DWORD
	s_and_b64 vcc, exec, s[16:17]
	s_cbranch_vccz .LBB46_1740
; %bb.1738:
	v_mov_b32_e32 v7, 15
	v_cmp_eq_u16_sdwa s[0:1], v4, v7 src0_sel:BYTE_0 src1_sel:DWORD
	s_and_b64 vcc, exec, s[0:1]
	s_cbranch_vccz .LBB46_1743
; %bb.1739:
	global_load_ushort v7, v[0:1], off
	s_mov_b64 s[0:1], 0
	s_mov_b64 s[20:21], -1
	s_branch .LBB46_1744
.LBB46_1740:
	s_mov_b64 s[22:23], -1
                                        ; implicit-def: $vgpr7
	s_branch .LBB46_1745
.LBB46_1741:
	s_or_saveexec_b64 s[20:21], s[20:21]
	v_mov_b32_e32 v10, s15
	s_xor_b64 exec, exec, s[20:21]
	s_cbranch_execz .LBB46_1722
.LBB46_1742:
	v_cmp_ne_u16_e32 vcc, 0, v7
	s_andn2_b64 s[16:17], s[16:17], exec
	s_and_b64 s[22:23], vcc, exec
	v_mov_b32_e32 v10, 0
	s_or_b64 s[16:17], s[16:17], s[22:23]
	s_or_b64 exec, exec, s[20:21]
	s_and_saveexec_b64 s[20:21], s[16:17]
	s_cbranch_execnz .LBB46_1723
	s_branch .LBB46_1724
.LBB46_1743:
	s_mov_b64 s[0:1], -1
                                        ; implicit-def: $vgpr7
.LBB46_1744:
	s_mov_b64 s[22:23], 0
.LBB46_1745:
	s_mov_b64 s[16:17], 0
	s_and_b64 vcc, exec, s[22:23]
	s_cbranch_vccz .LBB46_1747
; %bb.1746:
	s_waitcnt vmcnt(0)
	v_mov_b32_e32 v7, 11
	v_cmp_ne_u16_sdwa s[0:1], v4, v7 src0_sel:BYTE_0 src1_sel:DWORD
	s_mov_b64 s[16:17], -1
                                        ; implicit-def: $vgpr7
.LBB46_1747:
	s_and_b64 vcc, exec, s[0:1]
	s_cbranch_vccnz .LBB46_1810
; %bb.1748:
	s_andn2_b64 vcc, exec, s[16:17]
	s_cbranch_vccnz .LBB46_1750
.LBB46_1749:
	global_load_ubyte v7, v[0:1], off
	s_mov_b64 s[20:21], -1
	s_waitcnt vmcnt(0)
	v_cmp_ne_u16_e32 vcc, 0, v7
	v_cndmask_b32_e64 v7, 0, 1.0, vcc
	v_lshrrev_b32_e32 v7, 16, v7
.LBB46_1750:
	s_branch .LBB46_1677
.LBB46_1751:
	s_waitcnt vmcnt(0)
	v_mov_b32_e32 v7, 5
	v_cmp_lt_i16_sdwa s[0:1], v4, v7 src0_sel:BYTE_0 src1_sel:DWORD
	s_and_b64 vcc, exec, s[0:1]
	s_cbranch_vccnz .LBB46_1756
; %bb.1752:
	v_mov_b32_e32 v7, 8
	v_cmp_lt_i16_sdwa s[0:1], v4, v7 src0_sel:BYTE_0 src1_sel:DWORD
	s_and_b64 vcc, exec, s[0:1]
	s_cbranch_vccnz .LBB46_1757
; %bb.1753:
	;; [unrolled: 5-line block ×3, first 2 shown]
	v_cmp_gt_i16_sdwa s[0:1], v4, v7 src0_sel:BYTE_0 src1_sel:DWORD
	s_and_b64 vcc, exec, s[0:1]
	s_cbranch_vccz .LBB46_1759
; %bb.1755:
	global_load_dwordx2 v[10:11], v[0:1], off
	s_movk_i32 s0, 0x7fff
	v_mov_b32_e32 v7, 0x7fc0
	s_waitcnt vmcnt(0)
	v_cvt_f32_f64_e32 v10, v[10:11]
	v_bfe_u32 v11, v10, 16, 1
	v_add3_u32 v11, v10, v11, s0
	v_lshrrev_b32_e32 v11, 16, v11
	v_cmp_o_f32_e32 vcc, v10, v10
	v_cndmask_b32_e32 v7, v7, v11, vcc
	s_mov_b64 s[0:1], 0
	s_branch .LBB46_1760
.LBB46_1756:
                                        ; implicit-def: $vgpr7
	s_branch .LBB46_1778
.LBB46_1757:
	s_mov_b64 s[0:1], -1
                                        ; implicit-def: $vgpr7
	s_branch .LBB46_1766
.LBB46_1758:
	s_mov_b64 s[0:1], -1
                                        ; implicit-def: $vgpr7
	s_branch .LBB46_1763
.LBB46_1759:
	s_mov_b64 s[0:1], -1
                                        ; implicit-def: $vgpr7
.LBB46_1760:
	s_andn2_b64 vcc, exec, s[0:1]
	s_cbranch_vccnz .LBB46_1762
; %bb.1761:
	global_load_dword v7, v[0:1], off
	s_movk_i32 s0, 0x7fff
	v_mov_b32_e32 v10, 0x7fc0
	s_waitcnt vmcnt(0)
	v_bfe_u32 v11, v7, 16, 1
	v_add3_u32 v11, v7, v11, s0
	v_lshrrev_b32_e32 v11, 16, v11
	v_cmp_o_f32_e32 vcc, v7, v7
	v_cndmask_b32_e32 v7, v10, v11, vcc
.LBB46_1762:
	s_mov_b64 s[0:1], 0
.LBB46_1763:
	s_andn2_b64 vcc, exec, s[0:1]
	s_cbranch_vccnz .LBB46_1765
; %bb.1764:
	global_load_dword v7, v[0:1], off
	s_movk_i32 s0, 0x7fff
	v_mov_b32_e32 v11, 0x7fc0
	s_waitcnt vmcnt(0)
	v_cvt_f32_f16_e32 v10, v7
	v_cmp_o_f16_e32 vcc, v7, v7
	v_bfe_u32 v12, v10, 16, 1
	v_add3_u32 v10, v10, v12, s0
	v_lshrrev_b32_e32 v10, 16, v10
	v_cndmask_b32_e32 v7, v11, v10, vcc
.LBB46_1765:
	s_mov_b64 s[0:1], 0
.LBB46_1766:
	s_andn2_b64 vcc, exec, s[0:1]
	s_cbranch_vccnz .LBB46_1777
; %bb.1767:
	v_mov_b32_e32 v7, 6
	v_cmp_lt_i16_sdwa s[0:1], v4, v7 src0_sel:BYTE_0 src1_sel:DWORD
	s_and_b64 vcc, exec, s[0:1]
	s_cbranch_vccnz .LBB46_1770
; %bb.1768:
	v_cmp_gt_i16_sdwa s[0:1], v4, v7 src0_sel:BYTE_0 src1_sel:DWORD
	s_and_b64 vcc, exec, s[0:1]
	s_cbranch_vccz .LBB46_1771
; %bb.1769:
	global_load_dwordx2 v[10:11], v[0:1], off
	s_movk_i32 s0, 0x7fff
	v_mov_b32_e32 v7, 0x7fc0
	s_waitcnt vmcnt(0)
	v_cvt_f32_f64_e32 v10, v[10:11]
	v_bfe_u32 v11, v10, 16, 1
	v_add3_u32 v11, v10, v11, s0
	v_lshrrev_b32_e32 v11, 16, v11
	v_cmp_o_f32_e32 vcc, v10, v10
	v_cndmask_b32_e32 v7, v7, v11, vcc
	s_mov_b64 s[0:1], 0
	s_branch .LBB46_1772
.LBB46_1770:
	s_mov_b64 s[0:1], -1
                                        ; implicit-def: $vgpr7
	s_branch .LBB46_1775
.LBB46_1771:
	s_mov_b64 s[0:1], -1
                                        ; implicit-def: $vgpr7
.LBB46_1772:
	s_andn2_b64 vcc, exec, s[0:1]
	s_cbranch_vccnz .LBB46_1774
; %bb.1773:
	global_load_dword v7, v[0:1], off
	s_movk_i32 s0, 0x7fff
	v_mov_b32_e32 v10, 0x7fc0
	s_waitcnt vmcnt(0)
	v_bfe_u32 v11, v7, 16, 1
	v_add3_u32 v11, v7, v11, s0
	v_lshrrev_b32_e32 v11, 16, v11
	v_cmp_o_f32_e32 vcc, v7, v7
	v_cndmask_b32_e32 v7, v10, v11, vcc
.LBB46_1774:
	s_mov_b64 s[0:1], 0
.LBB46_1775:
	s_andn2_b64 vcc, exec, s[0:1]
	s_cbranch_vccnz .LBB46_1777
; %bb.1776:
	global_load_ushort v7, v[0:1], off
	s_movk_i32 s0, 0x7fff
	v_mov_b32_e32 v11, 0x7fc0
	s_waitcnt vmcnt(0)
	v_cvt_f32_f16_e32 v10, v7
	v_cmp_o_f16_e32 vcc, v7, v7
	v_bfe_u32 v12, v10, 16, 1
	v_add3_u32 v10, v10, v12, s0
	v_lshrrev_b32_e32 v10, 16, v10
	v_cndmask_b32_e32 v7, v11, v10, vcc
.LBB46_1777:
	s_cbranch_execnz .LBB46_1797
.LBB46_1778:
	v_mov_b32_e32 v7, 2
	v_cmp_lt_i16_sdwa s[0:1], v4, v7 src0_sel:BYTE_0 src1_sel:DWORD
	s_and_b64 vcc, exec, s[0:1]
	s_cbranch_vccnz .LBB46_1782
; %bb.1779:
	v_mov_b32_e32 v7, 3
	v_cmp_lt_i16_sdwa s[0:1], v4, v7 src0_sel:BYTE_0 src1_sel:DWORD
	s_and_b64 vcc, exec, s[0:1]
	s_cbranch_vccnz .LBB46_1783
; %bb.1780:
	v_cmp_gt_i16_sdwa s[0:1], v4, v7 src0_sel:BYTE_0 src1_sel:DWORD
	s_and_b64 vcc, exec, s[0:1]
	s_cbranch_vccz .LBB46_1784
; %bb.1781:
	global_load_dwordx2 v[10:11], v[0:1], off
	s_movk_i32 s0, 0x7fff
	s_waitcnt vmcnt(0)
	v_xor_b32_e32 v12, v10, v11
	v_ffbh_i32_e32 v7, v11
	v_ashrrev_i32_e32 v12, 31, v12
	v_add_u32_e32 v7, -1, v7
	v_add_u32_e32 v12, 32, v12
	v_min_u32_e32 v7, v7, v12
	v_lshlrev_b64 v[10:11], v7, v[10:11]
	v_min_u32_e32 v10, 1, v10
	v_or_b32_e32 v10, v11, v10
	v_cvt_f32_i32_e32 v10, v10
	v_sub_u32_e32 v7, 32, v7
	v_ldexp_f32 v7, v10, v7
	v_bfe_u32 v10, v7, 16, 1
	v_add3_u32 v7, v7, v10, s0
	v_lshrrev_b32_e32 v7, 16, v7
	s_mov_b64 s[0:1], 0
	s_branch .LBB46_1785
.LBB46_1782:
	s_mov_b64 s[0:1], -1
                                        ; implicit-def: $vgpr7
	s_branch .LBB46_1791
.LBB46_1783:
	s_mov_b64 s[0:1], -1
                                        ; implicit-def: $vgpr7
	s_branch .LBB46_1788
.LBB46_1784:
	s_mov_b64 s[0:1], -1
                                        ; implicit-def: $vgpr7
.LBB46_1785:
	s_andn2_b64 vcc, exec, s[0:1]
	s_cbranch_vccnz .LBB46_1787
; %bb.1786:
	global_load_dword v7, v[0:1], off
	s_movk_i32 s0, 0x7fff
	s_waitcnt vmcnt(0)
	v_cvt_f32_i32_e32 v7, v7
	v_bfe_u32 v10, v7, 16, 1
	v_add3_u32 v7, v7, v10, s0
	v_lshrrev_b32_e32 v7, 16, v7
.LBB46_1787:
	s_mov_b64 s[0:1], 0
.LBB46_1788:
	s_andn2_b64 vcc, exec, s[0:1]
	s_cbranch_vccnz .LBB46_1790
; %bb.1789:
	global_load_sshort v7, v[0:1], off
	s_movk_i32 s0, 0x7fff
	s_waitcnt vmcnt(0)
	v_cvt_f32_i32_e32 v7, v7
	v_bfe_u32 v10, v7, 16, 1
	v_add3_u32 v7, v7, v10, s0
	v_lshrrev_b32_e32 v7, 16, v7
.LBB46_1790:
	s_mov_b64 s[0:1], 0
.LBB46_1791:
	s_andn2_b64 vcc, exec, s[0:1]
	s_cbranch_vccnz .LBB46_1797
; %bb.1792:
	v_mov_b32_e32 v7, 0
	v_cmp_gt_i16_sdwa s[0:1], v4, v7 src0_sel:BYTE_0 src1_sel:DWORD
	s_and_b64 vcc, exec, s[0:1]
	s_cbranch_vccz .LBB46_1794
; %bb.1793:
	global_load_sbyte v7, v[0:1], off
	s_movk_i32 s0, 0x7fff
	s_waitcnt vmcnt(0)
	v_cvt_f32_i32_e32 v7, v7
	v_bfe_u32 v10, v7, 16, 1
	v_add3_u32 v7, v7, v10, s0
	v_lshrrev_b32_e32 v7, 16, v7
	s_mov_b64 s[0:1], 0
	s_branch .LBB46_1795
.LBB46_1794:
	s_mov_b64 s[0:1], -1
                                        ; implicit-def: $vgpr7
.LBB46_1795:
	s_andn2_b64 vcc, exec, s[0:1]
	s_cbranch_vccnz .LBB46_1797
; %bb.1796:
	global_load_ubyte v0, v[0:1], off
	s_movk_i32 s0, 0x7fff
	s_waitcnt vmcnt(0)
	v_cvt_f32_ubyte0_e32 v0, v0
	v_bfe_u32 v1, v0, 16, 1
	v_add3_u32 v0, v0, v1, s0
	v_lshrrev_b32_e32 v7, 16, v0
.LBB46_1797:
.LBB46_1798:
	s_lshl_b32 s13, s13, 7
	v_add_u32_e32 v10, s13, v8
	v_ashrrev_i32_e32 v1, 31, v10
	v_mov_b32_e32 v8, s11
	v_add_co_u32_e32 v0, vcc, s10, v10
	v_addc_co_u32_e32 v1, vcc, v8, v1, vcc
	v_mov_b32_e32 v8, 11
	v_cmp_lt_i16_sdwa s[0:1], v5, v8 src0_sel:BYTE_0 src1_sel:DWORD
	s_and_b64 vcc, exec, s[0:1]
	s_cbranch_vccnz .LBB46_1805
; %bb.1799:
	v_mov_b32_e32 v8, 25
	v_cmp_gt_i16_sdwa s[0:1], v5, v8 src0_sel:BYTE_0 src1_sel:DWORD
	s_mov_b64 s[16:17], 0
	s_and_b64 vcc, exec, s[0:1]
	s_cbranch_vccz .LBB46_1807
; %bb.1800:
	v_mov_b32_e32 v8, 28
	v_cmp_gt_i16_sdwa s[0:1], v5, v8 src0_sel:BYTE_0 src1_sel:DWORD
	s_and_b64 vcc, exec, s[0:1]
	s_cbranch_vccz .LBB46_1808
; %bb.1801:
	v_mov_b32_e32 v8, 43
	v_cmp_gt_i16_sdwa s[0:1], v5, v8 src0_sel:BYTE_0 src1_sel:DWORD
	;; [unrolled: 5-line block ×3, first 2 shown]
	s_and_b64 vcc, exec, s[0:1]
	s_cbranch_vccz .LBB46_1811
; %bb.1803:
	v_mov_b32_e32 v8, 46
	v_cmp_eq_u16_sdwa s[0:1], v5, v8 src0_sel:BYTE_0 src1_sel:DWORD
	s_mov_b64 s[22:23], 0
	s_and_b64 vcc, exec, s[0:1]
	s_cbranch_vccz .LBB46_1812
; %bb.1804:
	global_load_dword v8, v[0:1], off
	s_mov_b64 s[0:1], 0
	s_mov_b64 s[20:21], -1
	s_branch .LBB46_1813
.LBB46_1805:
	s_mov_b64 s[20:21], 0
                                        ; implicit-def: $vgpr8
	s_cbranch_execnz .LBB46_1879
.LBB46_1806:
	s_andn2_b64 vcc, exec, s[20:21]
	s_cbranch_vccnz .LBB46_3032
	s_branch .LBB46_1927
.LBB46_1807:
	s_mov_b64 s[22:23], -1
	s_mov_b64 s[20:21], 0
	s_mov_b64 s[0:1], 0
                                        ; implicit-def: $vgpr8
	s_branch .LBB46_1842
.LBB46_1808:
	s_mov_b64 s[22:23], -1
	s_mov_b64 s[20:21], 0
	s_mov_b64 s[0:1], 0
                                        ; implicit-def: $vgpr8
	s_branch .LBB46_1823
.LBB46_1809:
	s_mov_b64 s[22:23], -1
	s_mov_b64 s[20:21], 0
	s_mov_b64 s[0:1], 0
                                        ; implicit-def: $vgpr8
	s_branch .LBB46_1818
.LBB46_1810:
	s_trap 2
	s_or_b64 s[18:19], s[18:19], exec
                                        ; implicit-def: $vgpr7
	s_cbranch_execz .LBB46_1749
	s_branch .LBB46_1750
.LBB46_1811:
	s_mov_b64 s[22:23], -1
	s_mov_b64 s[20:21], 0
	s_mov_b64 s[0:1], 0
                                        ; implicit-def: $vgpr8
	s_branch .LBB46_1813
.LBB46_1812:
	s_mov_b64 s[0:1], -1
                                        ; implicit-def: $vgpr8
	s_mov_b64 s[20:21], 0
.LBB46_1813:
	s_and_b64 vcc, exec, s[22:23]
	s_cbranch_vccz .LBB46_1817
; %bb.1814:
	s_waitcnt vmcnt(0)
	v_mov_b32_e32 v8, 44
	v_cmp_eq_u16_sdwa s[0:1], v5, v8 src0_sel:BYTE_0 src1_sel:DWORD
	s_and_b64 vcc, exec, s[0:1]
	s_cbranch_vccz .LBB46_1816
; %bb.1815:
	global_load_ubyte v8, v[0:1], off
	s_movk_i32 s15, 0xff
	v_mov_b32_e32 v11, 0x7f800001
	v_mov_b32_e32 v12, 0x400000
	v_mov_b32_e32 v13, 0x7fc0
	s_mov_b64 s[0:1], 0
	s_mov_b64 s[20:21], -1
	s_waitcnt vmcnt(0)
	v_lshlrev_b32_e32 v14, 23, v8
	v_cmp_ne_u32_e32 vcc, s15, v8
	v_cndmask_b32_e32 v11, v11, v14, vcc
	v_cmp_ne_u32_e32 vcc, 0, v8
	v_cndmask_b32_e32 v8, v12, v11, vcc
	v_add_u32_e32 v11, 0x7fff, v8
	v_lshrrev_b32_e32 v11, 16, v11
	v_cmp_o_f32_e32 vcc, v8, v8
	v_cndmask_b32_e32 v8, v13, v11, vcc
	s_branch .LBB46_1817
.LBB46_1816:
	s_mov_b64 s[0:1], -1
                                        ; implicit-def: $vgpr8
.LBB46_1817:
	s_mov_b64 s[22:23], 0
.LBB46_1818:
	s_and_b64 vcc, exec, s[22:23]
	s_cbranch_vccz .LBB46_1822
; %bb.1819:
	s_waitcnt vmcnt(0)
	v_mov_b32_e32 v8, 29
	v_cmp_eq_u16_sdwa s[0:1], v5, v8 src0_sel:BYTE_0 src1_sel:DWORD
	s_and_b64 vcc, exec, s[0:1]
	s_cbranch_vccz .LBB46_1821
; %bb.1820:
	global_load_dwordx2 v[12:13], v[0:1], off
	s_movk_i32 s15, 0x7fff
	s_mov_b64 s[0:1], 0
	s_mov_b64 s[20:21], -1
	s_mov_b64 s[22:23], 0
	s_waitcnt vmcnt(0)
	v_ffbh_u32_e32 v8, v13
	v_min_u32_e32 v8, 32, v8
	v_lshlrev_b64 v[12:13], v8, v[12:13]
	v_min_u32_e32 v11, 1, v12
	v_or_b32_e32 v11, v13, v11
	v_cvt_f32_u32_e32 v11, v11
	v_sub_u32_e32 v8, 32, v8
	v_ldexp_f32 v8, v11, v8
	v_bfe_u32 v11, v8, 16, 1
	v_add3_u32 v8, v8, v11, s15
	v_lshrrev_b32_e32 v8, 16, v8
	s_branch .LBB46_1823
.LBB46_1821:
	s_mov_b64 s[0:1], -1
                                        ; implicit-def: $vgpr8
.LBB46_1822:
	s_mov_b64 s[22:23], 0
.LBB46_1823:
	s_and_b64 vcc, exec, s[22:23]
	s_cbranch_vccz .LBB46_1841
; %bb.1824:
	s_waitcnt vmcnt(0)
	v_mov_b32_e32 v8, 27
	v_cmp_lt_i16_sdwa s[20:21], v5, v8 src0_sel:BYTE_0 src1_sel:DWORD
	s_and_b64 vcc, exec, s[20:21]
	s_cbranch_vccnz .LBB46_1827
; %bb.1825:
	v_cmp_gt_i16_sdwa s[20:21], v5, v8 src0_sel:BYTE_0 src1_sel:DWORD
	s_and_b64 vcc, exec, s[20:21]
	s_cbranch_vccz .LBB46_1828
; %bb.1826:
	global_load_dword v8, v[0:1], off
	s_movk_i32 s15, 0x7fff
	s_mov_b64 s[20:21], 0
	s_waitcnt vmcnt(0)
	v_cvt_f32_u32_e32 v8, v8
	v_bfe_u32 v11, v8, 16, 1
	v_add3_u32 v8, v8, v11, s15
	v_lshrrev_b32_e32 v8, 16, v8
	s_branch .LBB46_1829
.LBB46_1827:
	s_mov_b64 s[20:21], -1
                                        ; implicit-def: $vgpr8
	s_branch .LBB46_1832
.LBB46_1828:
	s_mov_b64 s[20:21], -1
                                        ; implicit-def: $vgpr8
.LBB46_1829:
	s_andn2_b64 vcc, exec, s[20:21]
	s_cbranch_vccnz .LBB46_1831
; %bb.1830:
	global_load_ushort v8, v[0:1], off
	s_movk_i32 s15, 0x7fff
	s_waitcnt vmcnt(0)
	v_cvt_f32_u32_e32 v8, v8
	v_bfe_u32 v11, v8, 16, 1
	v_add3_u32 v8, v8, v11, s15
	v_lshrrev_b32_e32 v8, 16, v8
.LBB46_1831:
	s_mov_b64 s[20:21], 0
.LBB46_1832:
	s_andn2_b64 vcc, exec, s[20:21]
	s_cbranch_vccnz .LBB46_1840
; %bb.1833:
	global_load_ubyte v8, v[0:1], off
	s_movk_i32 s15, 0x7f
	s_mov_b64 s[20:21], 0
	s_waitcnt vmcnt(0)
	v_cmp_lt_i16_e32 vcc, s15, v8
                                        ; implicit-def: $sgpr15
	s_and_saveexec_b64 s[22:23], vcc
	s_xor_b64 s[22:23], exec, s[22:23]
	s_cbranch_execz .LBB46_1854
; %bb.1834:
	s_movk_i32 s15, 0x80
	v_cmp_eq_u16_e32 vcc, s15, v8
	s_mov_b64 s[20:21], -1
                                        ; implicit-def: $sgpr15
	s_and_saveexec_b64 s[24:25], vcc
; %bb.1835:
	s_mov_b32 s15, 0x7f800001
	s_xor_b64 s[20:21], exec, -1
; %bb.1836:
	s_or_b64 exec, exec, s[24:25]
	s_and_b64 s[20:21], s[20:21], exec
	s_or_saveexec_b64 s[22:23], s[22:23]
	v_mov_b32_e32 v11, s15
	s_xor_b64 exec, exec, s[22:23]
	s_cbranch_execnz .LBB46_1855
.LBB46_1837:
	s_or_b64 exec, exec, s[22:23]
	s_and_saveexec_b64 s[22:23], s[20:21]
	s_cbranch_execz .LBB46_1839
.LBB46_1838:
	v_lshlrev_b32_e32 v11, 24, v8
	v_and_b32_e32 v8, 0xffff, v8
	v_and_b32_e32 v12, 7, v8
	v_ffbh_u32_e32 v14, v12
	v_min_u32_e32 v14, 32, v14
	v_subrev_u32_e32 v15, 28, v14
	v_bfe_u32 v13, v8, 3, 4
	v_lshlrev_b32_e32 v8, v15, v8
	v_sub_u32_e32 v14, 29, v14
	v_and_b32_e32 v8, 7, v8
	v_cmp_eq_u32_e32 vcc, 0, v13
	v_cndmask_b32_e32 v13, v13, v14, vcc
	v_cndmask_b32_e32 v8, v12, v8, vcc
	v_mov_b32_e32 v12, 0x3b800000
	v_lshlrev_b32_e32 v8, 20, v8
	v_and_b32_e32 v11, 0x80000000, v11
	v_lshl_add_u32 v12, v13, 23, v12
	v_or3_b32 v11, v11, v12, v8
.LBB46_1839:
	s_or_b64 exec, exec, s[22:23]
	v_bfe_u32 v8, v11, 16, 1
	s_movk_i32 s15, 0x7fff
	v_add3_u32 v8, v11, v8, s15
	v_lshrrev_b32_e32 v8, 16, v8
	v_mov_b32_e32 v12, 0x7fc0
	v_cmp_o_f32_e32 vcc, v11, v11
	v_cndmask_b32_e32 v8, v12, v8, vcc
.LBB46_1840:
	s_mov_b64 s[20:21], -1
.LBB46_1841:
	s_mov_b64 s[22:23], 0
.LBB46_1842:
	s_and_b64 vcc, exec, s[22:23]
	s_cbranch_vccz .LBB46_1875
; %bb.1843:
	s_waitcnt vmcnt(0)
	v_mov_b32_e32 v8, 22
	v_cmp_gt_i16_sdwa s[16:17], v5, v8 src0_sel:BYTE_0 src1_sel:DWORD
	s_and_b64 vcc, exec, s[16:17]
	s_cbranch_vccz .LBB46_1853
; %bb.1844:
	v_mov_b32_e32 v8, 24
	v_cmp_lt_i16_sdwa s[16:17], v5, v8 src0_sel:BYTE_0 src1_sel:DWORD
	s_and_b64 vcc, exec, s[16:17]
	s_cbranch_vccnz .LBB46_1856
; %bb.1845:
	v_cmp_gt_i16_sdwa s[16:17], v5, v8 src0_sel:BYTE_0 src1_sel:DWORD
	s_and_b64 vcc, exec, s[16:17]
	s_cbranch_vccz .LBB46_1857
; %bb.1846:
	global_load_ubyte v8, v[0:1], off
	s_movk_i32 s15, 0x7f
	s_mov_b64 s[16:17], 0
	s_waitcnt vmcnt(0)
	v_cmp_lt_i16_e32 vcc, s15, v8
                                        ; implicit-def: $sgpr15
	s_and_saveexec_b64 s[20:21], vcc
	s_xor_b64 s[20:21], exec, s[20:21]
	s_cbranch_execz .LBB46_1869
; %bb.1847:
	s_movk_i32 s15, 0x80
	v_cmp_eq_u16_e32 vcc, s15, v8
	s_mov_b64 s[16:17], -1
                                        ; implicit-def: $sgpr15
	s_and_saveexec_b64 s[22:23], vcc
; %bb.1848:
	s_mov_b32 s15, 0x7f800001
	s_xor_b64 s[16:17], exec, -1
; %bb.1849:
	s_or_b64 exec, exec, s[22:23]
	s_and_b64 s[16:17], s[16:17], exec
	s_or_saveexec_b64 s[20:21], s[20:21]
	v_mov_b32_e32 v11, s15
	s_xor_b64 exec, exec, s[20:21]
	s_cbranch_execnz .LBB46_1870
.LBB46_1850:
	s_or_b64 exec, exec, s[20:21]
	s_and_saveexec_b64 s[20:21], s[16:17]
	s_cbranch_execz .LBB46_1852
.LBB46_1851:
	v_lshlrev_b32_e32 v11, 24, v8
	v_and_b32_e32 v8, 0xffff, v8
	v_and_b32_e32 v12, 3, v8
	v_ffbh_u32_e32 v14, v12
	v_min_u32_e32 v14, 32, v14
	v_subrev_u32_e32 v15, 29, v14
	v_bfe_u32 v13, v8, 2, 5
	v_lshlrev_b32_e32 v8, v15, v8
	v_sub_u32_e32 v14, 30, v14
	v_and_b32_e32 v8, 3, v8
	v_cmp_eq_u32_e32 vcc, 0, v13
	v_cndmask_b32_e32 v13, v13, v14, vcc
	v_cndmask_b32_e32 v8, v12, v8, vcc
	v_mov_b32_e32 v12, 0x37800000
	v_lshlrev_b32_e32 v8, 21, v8
	v_and_b32_e32 v11, 0x80000000, v11
	v_lshl_add_u32 v12, v13, 23, v12
	v_or3_b32 v11, v11, v12, v8
.LBB46_1852:
	s_or_b64 exec, exec, s[20:21]
	v_bfe_u32 v8, v11, 16, 1
	s_movk_i32 s15, 0x7fff
	v_add3_u32 v8, v11, v8, s15
	v_lshrrev_b32_e32 v8, 16, v8
	v_mov_b32_e32 v12, 0x7fc0
	v_cmp_o_f32_e32 vcc, v11, v11
	v_cndmask_b32_e32 v8, v12, v8, vcc
	s_mov_b64 s[16:17], 0
	s_branch .LBB46_1858
.LBB46_1853:
	s_mov_b64 s[16:17], -1
                                        ; implicit-def: $vgpr8
	s_branch .LBB46_1864
.LBB46_1854:
	s_or_saveexec_b64 s[22:23], s[22:23]
	v_mov_b32_e32 v11, s15
	s_xor_b64 exec, exec, s[22:23]
	s_cbranch_execz .LBB46_1837
.LBB46_1855:
	v_cmp_ne_u16_e32 vcc, 0, v8
	s_andn2_b64 s[20:21], s[20:21], exec
	s_and_b64 s[24:25], vcc, exec
	v_mov_b32_e32 v11, 0
	s_or_b64 s[20:21], s[20:21], s[24:25]
	s_or_b64 exec, exec, s[22:23]
	s_and_saveexec_b64 s[22:23], s[20:21]
	s_cbranch_execnz .LBB46_1838
	s_branch .LBB46_1839
.LBB46_1856:
	s_mov_b64 s[16:17], -1
                                        ; implicit-def: $vgpr8
	s_branch .LBB46_1861
.LBB46_1857:
	s_mov_b64 s[16:17], -1
                                        ; implicit-def: $vgpr8
.LBB46_1858:
	s_and_b64 vcc, exec, s[16:17]
	s_cbranch_vccz .LBB46_1860
; %bb.1859:
	global_load_ubyte v8, v[0:1], off
	s_mov_b32 s15, 0x7f800000
	s_brev_b32 s16, 1
	s_movk_i32 s17, 0x7fff
	v_mov_b32_e32 v11, 0x7fc0
	s_waitcnt vmcnt(0)
	v_lshlrev_b32_e32 v8, 24, v8
	v_and_b32_e32 v12, 0x7f000000, v8
	v_ffbh_u32_e32 v13, v12
	v_min_u32_e32 v13, 32, v13
	v_sub_u32_e64 v13, v13, 4 clamp
	v_lshlrev_b32_e32 v15, v13, v12
	v_lshlrev_b32_e32 v13, 23, v13
	v_lshrrev_b32_e32 v15, 4, v15
	v_add_u32_e32 v14, 0x1000000, v12
	v_sub_u32_e32 v13, v15, v13
	v_ashrrev_i32_e32 v14, 8, v14
	v_add_u32_e32 v13, 0x3c000000, v13
	v_and_or_b32 v13, v14, s15, v13
	v_cmp_ne_u32_e32 vcc, 0, v12
	v_cndmask_b32_e32 v12, 0, v13, vcc
	v_and_or_b32 v8, v8, s16, v12
	v_bfe_u32 v12, v12, 16, 1
	v_add3_u32 v12, v8, v12, s17
	v_lshrrev_b32_e32 v12, 16, v12
	v_cmp_o_f32_e32 vcc, v8, v8
	v_cndmask_b32_e32 v8, v11, v12, vcc
.LBB46_1860:
	s_mov_b64 s[16:17], 0
.LBB46_1861:
	s_andn2_b64 vcc, exec, s[16:17]
	s_cbranch_vccnz .LBB46_1863
; %bb.1862:
	global_load_ubyte v8, v[0:1], off
	s_movk_i32 s15, 0x7f00
	s_brev_b32 s16, 16
	s_brev_b32 s17, 1
	s_movk_i32 s20, 0x7fff
	v_mov_b32_e32 v11, 0x7fc0
	s_waitcnt vmcnt(0)
	v_lshlrev_b16_e32 v12, 8, v8
	v_lshlrev_b32_e32 v8, 25, v8
	v_lshrrev_b32_e32 v13, 4, v8
	v_and_or_b32 v14, v12, s15, 0.5
	v_or_b32_e32 v13, 0x70000000, v13
	v_add_f32_e32 v14, -0.5, v14
	v_mul_f32_e32 v13, 0x7800000, v13
	v_cmp_gt_u32_e32 vcc, s16, v8
	v_bfe_i32 v12, v12, 0, 16
	v_cndmask_b32_e32 v8, v13, v14, vcc
	v_and_or_b32 v12, v12, s17, v8
	v_bfe_u32 v8, v8, 16, 1
	v_add3_u32 v8, v12, v8, s20
	v_lshrrev_b32_e32 v8, 16, v8
	v_cmp_o_f32_e32 vcc, v12, v12
	v_cndmask_b32_e32 v8, v11, v8, vcc
.LBB46_1863:
	s_mov_b64 s[16:17], 0
	s_mov_b64 s[20:21], -1
.LBB46_1864:
	s_andn2_b64 vcc, exec, s[16:17]
	s_mov_b64 s[16:17], 0
	s_cbranch_vccnz .LBB46_1875
; %bb.1865:
	v_mov_b32_e32 v8, 14
	v_cmp_gt_i16_sdwa s[16:17], v5, v8 src0_sel:BYTE_0 src1_sel:DWORD
	s_and_b64 vcc, exec, s[16:17]
	s_cbranch_vccz .LBB46_1868
; %bb.1866:
	v_mov_b32_e32 v8, 15
	v_cmp_eq_u16_sdwa s[0:1], v5, v8 src0_sel:BYTE_0 src1_sel:DWORD
	s_and_b64 vcc, exec, s[0:1]
	s_cbranch_vccz .LBB46_1871
; %bb.1867:
	global_load_ushort v8, v[0:1], off
	s_mov_b64 s[0:1], 0
	s_mov_b64 s[20:21], -1
	s_branch .LBB46_1872
.LBB46_1868:
	s_mov_b64 s[22:23], -1
                                        ; implicit-def: $vgpr8
	s_branch .LBB46_1873
.LBB46_1869:
	s_or_saveexec_b64 s[20:21], s[20:21]
	v_mov_b32_e32 v11, s15
	s_xor_b64 exec, exec, s[20:21]
	s_cbranch_execz .LBB46_1850
.LBB46_1870:
	v_cmp_ne_u16_e32 vcc, 0, v8
	s_andn2_b64 s[16:17], s[16:17], exec
	s_and_b64 s[22:23], vcc, exec
	v_mov_b32_e32 v11, 0
	s_or_b64 s[16:17], s[16:17], s[22:23]
	s_or_b64 exec, exec, s[20:21]
	s_and_saveexec_b64 s[20:21], s[16:17]
	s_cbranch_execnz .LBB46_1851
	s_branch .LBB46_1852
.LBB46_1871:
	s_mov_b64 s[0:1], -1
                                        ; implicit-def: $vgpr8
.LBB46_1872:
	s_mov_b64 s[22:23], 0
.LBB46_1873:
	s_mov_b64 s[16:17], 0
	s_and_b64 vcc, exec, s[22:23]
	s_cbranch_vccz .LBB46_1875
; %bb.1874:
	s_waitcnt vmcnt(0)
	v_mov_b32_e32 v8, 11
	v_cmp_ne_u16_sdwa s[0:1], v5, v8 src0_sel:BYTE_0 src1_sel:DWORD
	s_mov_b64 s[16:17], -1
                                        ; implicit-def: $vgpr8
.LBB46_1875:
	s_and_b64 vcc, exec, s[0:1]
	s_cbranch_vccnz .LBB46_1938
; %bb.1876:
	s_andn2_b64 vcc, exec, s[16:17]
	s_cbranch_vccnz .LBB46_1878
.LBB46_1877:
	global_load_ubyte v8, v[0:1], off
	s_mov_b64 s[20:21], -1
	s_waitcnt vmcnt(0)
	v_cmp_ne_u16_e32 vcc, 0, v8
	v_cndmask_b32_e64 v8, 0, 1.0, vcc
	v_lshrrev_b32_e32 v8, 16, v8
.LBB46_1878:
	s_branch .LBB46_1806
.LBB46_1879:
	s_waitcnt vmcnt(0)
	v_mov_b32_e32 v8, 5
	v_cmp_lt_i16_sdwa s[0:1], v5, v8 src0_sel:BYTE_0 src1_sel:DWORD
	s_and_b64 vcc, exec, s[0:1]
	s_cbranch_vccnz .LBB46_1884
; %bb.1880:
	v_mov_b32_e32 v8, 8
	v_cmp_lt_i16_sdwa s[0:1], v5, v8 src0_sel:BYTE_0 src1_sel:DWORD
	s_and_b64 vcc, exec, s[0:1]
	s_cbranch_vccnz .LBB46_1885
; %bb.1881:
	;; [unrolled: 5-line block ×3, first 2 shown]
	v_cmp_gt_i16_sdwa s[0:1], v5, v8 src0_sel:BYTE_0 src1_sel:DWORD
	s_and_b64 vcc, exec, s[0:1]
	s_cbranch_vccz .LBB46_1887
; %bb.1883:
	global_load_dwordx2 v[12:13], v[0:1], off
	s_movk_i32 s0, 0x7fff
	v_mov_b32_e32 v8, 0x7fc0
	s_waitcnt vmcnt(0)
	v_cvt_f32_f64_e32 v11, v[12:13]
	v_bfe_u32 v12, v11, 16, 1
	v_add3_u32 v12, v11, v12, s0
	v_lshrrev_b32_e32 v12, 16, v12
	v_cmp_o_f32_e32 vcc, v11, v11
	v_cndmask_b32_e32 v8, v8, v12, vcc
	s_mov_b64 s[0:1], 0
	s_branch .LBB46_1888
.LBB46_1884:
	s_mov_b64 s[0:1], -1
                                        ; implicit-def: $vgpr8
	s_branch .LBB46_1906
.LBB46_1885:
	s_mov_b64 s[0:1], -1
                                        ; implicit-def: $vgpr8
	s_branch .LBB46_1894
.LBB46_1886:
	s_mov_b64 s[0:1], -1
                                        ; implicit-def: $vgpr8
	s_branch .LBB46_1891
.LBB46_1887:
	s_mov_b64 s[0:1], -1
                                        ; implicit-def: $vgpr8
.LBB46_1888:
	s_andn2_b64 vcc, exec, s[0:1]
	s_cbranch_vccnz .LBB46_1890
; %bb.1889:
	global_load_dword v8, v[0:1], off
	s_movk_i32 s0, 0x7fff
	v_mov_b32_e32 v11, 0x7fc0
	s_waitcnt vmcnt(0)
	v_bfe_u32 v12, v8, 16, 1
	v_add3_u32 v12, v8, v12, s0
	v_lshrrev_b32_e32 v12, 16, v12
	v_cmp_o_f32_e32 vcc, v8, v8
	v_cndmask_b32_e32 v8, v11, v12, vcc
.LBB46_1890:
	s_mov_b64 s[0:1], 0
.LBB46_1891:
	s_andn2_b64 vcc, exec, s[0:1]
	s_cbranch_vccnz .LBB46_1893
; %bb.1892:
	global_load_dword v8, v[0:1], off
	s_movk_i32 s0, 0x7fff
	v_mov_b32_e32 v12, 0x7fc0
	s_waitcnt vmcnt(0)
	v_cvt_f32_f16_e32 v11, v8
	v_cmp_o_f16_e32 vcc, v8, v8
	v_bfe_u32 v13, v11, 16, 1
	v_add3_u32 v11, v11, v13, s0
	v_lshrrev_b32_e32 v11, 16, v11
	v_cndmask_b32_e32 v8, v12, v11, vcc
.LBB46_1893:
	s_mov_b64 s[0:1], 0
.LBB46_1894:
	s_andn2_b64 vcc, exec, s[0:1]
	s_cbranch_vccnz .LBB46_1905
; %bb.1895:
	v_mov_b32_e32 v8, 6
	v_cmp_lt_i16_sdwa s[0:1], v5, v8 src0_sel:BYTE_0 src1_sel:DWORD
	s_and_b64 vcc, exec, s[0:1]
	s_cbranch_vccnz .LBB46_1898
; %bb.1896:
	v_cmp_gt_i16_sdwa s[0:1], v5, v8 src0_sel:BYTE_0 src1_sel:DWORD
	s_and_b64 vcc, exec, s[0:1]
	s_cbranch_vccz .LBB46_1899
; %bb.1897:
	global_load_dwordx2 v[12:13], v[0:1], off
	s_movk_i32 s0, 0x7fff
	v_mov_b32_e32 v8, 0x7fc0
	s_waitcnt vmcnt(0)
	v_cvt_f32_f64_e32 v11, v[12:13]
	v_bfe_u32 v12, v11, 16, 1
	v_add3_u32 v12, v11, v12, s0
	v_lshrrev_b32_e32 v12, 16, v12
	v_cmp_o_f32_e32 vcc, v11, v11
	v_cndmask_b32_e32 v8, v8, v12, vcc
	s_mov_b64 s[0:1], 0
	s_branch .LBB46_1900
.LBB46_1898:
	s_mov_b64 s[0:1], -1
                                        ; implicit-def: $vgpr8
	s_branch .LBB46_1903
.LBB46_1899:
	s_mov_b64 s[0:1], -1
                                        ; implicit-def: $vgpr8
.LBB46_1900:
	s_andn2_b64 vcc, exec, s[0:1]
	s_cbranch_vccnz .LBB46_1902
; %bb.1901:
	global_load_dword v8, v[0:1], off
	s_movk_i32 s0, 0x7fff
	v_mov_b32_e32 v11, 0x7fc0
	s_waitcnt vmcnt(0)
	v_bfe_u32 v12, v8, 16, 1
	v_add3_u32 v12, v8, v12, s0
	v_lshrrev_b32_e32 v12, 16, v12
	v_cmp_o_f32_e32 vcc, v8, v8
	v_cndmask_b32_e32 v8, v11, v12, vcc
.LBB46_1902:
	s_mov_b64 s[0:1], 0
.LBB46_1903:
	s_andn2_b64 vcc, exec, s[0:1]
	s_cbranch_vccnz .LBB46_1905
; %bb.1904:
	global_load_ushort v8, v[0:1], off
	s_movk_i32 s0, 0x7fff
	v_mov_b32_e32 v12, 0x7fc0
	s_waitcnt vmcnt(0)
	v_cvt_f32_f16_e32 v11, v8
	v_cmp_o_f16_e32 vcc, v8, v8
	v_bfe_u32 v13, v11, 16, 1
	v_add3_u32 v11, v11, v13, s0
	v_lshrrev_b32_e32 v11, 16, v11
	v_cndmask_b32_e32 v8, v12, v11, vcc
.LBB46_1905:
	s_mov_b64 s[0:1], 0
.LBB46_1906:
	s_andn2_b64 vcc, exec, s[0:1]
	s_cbranch_vccnz .LBB46_1926
; %bb.1907:
	v_mov_b32_e32 v8, 2
	v_cmp_lt_i16_sdwa s[0:1], v5, v8 src0_sel:BYTE_0 src1_sel:DWORD
	s_and_b64 vcc, exec, s[0:1]
	s_cbranch_vccnz .LBB46_1911
; %bb.1908:
	v_mov_b32_e32 v8, 3
	v_cmp_lt_i16_sdwa s[0:1], v5, v8 src0_sel:BYTE_0 src1_sel:DWORD
	s_and_b64 vcc, exec, s[0:1]
	s_cbranch_vccnz .LBB46_1912
; %bb.1909:
	v_cmp_gt_i16_sdwa s[0:1], v5, v8 src0_sel:BYTE_0 src1_sel:DWORD
	s_and_b64 vcc, exec, s[0:1]
	s_cbranch_vccz .LBB46_1913
; %bb.1910:
	global_load_dwordx2 v[12:13], v[0:1], off
	s_movk_i32 s0, 0x7fff
	s_waitcnt vmcnt(0)
	v_xor_b32_e32 v11, v12, v13
	v_ffbh_i32_e32 v8, v13
	v_ashrrev_i32_e32 v11, 31, v11
	v_add_u32_e32 v8, -1, v8
	v_add_u32_e32 v11, 32, v11
	v_min_u32_e32 v8, v8, v11
	v_lshlrev_b64 v[12:13], v8, v[12:13]
	v_min_u32_e32 v11, 1, v12
	v_or_b32_e32 v11, v13, v11
	v_cvt_f32_i32_e32 v11, v11
	v_sub_u32_e32 v8, 32, v8
	v_ldexp_f32 v8, v11, v8
	v_bfe_u32 v11, v8, 16, 1
	v_add3_u32 v8, v8, v11, s0
	v_lshrrev_b32_e32 v8, 16, v8
	s_mov_b64 s[0:1], 0
	s_branch .LBB46_1914
.LBB46_1911:
	s_mov_b64 s[0:1], -1
                                        ; implicit-def: $vgpr8
	s_branch .LBB46_1920
.LBB46_1912:
	s_mov_b64 s[0:1], -1
                                        ; implicit-def: $vgpr8
	s_branch .LBB46_1917
.LBB46_1913:
	s_mov_b64 s[0:1], -1
                                        ; implicit-def: $vgpr8
.LBB46_1914:
	s_andn2_b64 vcc, exec, s[0:1]
	s_cbranch_vccnz .LBB46_1916
; %bb.1915:
	global_load_dword v8, v[0:1], off
	s_movk_i32 s0, 0x7fff
	s_waitcnt vmcnt(0)
	v_cvt_f32_i32_e32 v8, v8
	v_bfe_u32 v11, v8, 16, 1
	v_add3_u32 v8, v8, v11, s0
	v_lshrrev_b32_e32 v8, 16, v8
.LBB46_1916:
	s_mov_b64 s[0:1], 0
.LBB46_1917:
	s_andn2_b64 vcc, exec, s[0:1]
	s_cbranch_vccnz .LBB46_1919
; %bb.1918:
	global_load_sshort v8, v[0:1], off
	s_movk_i32 s0, 0x7fff
	s_waitcnt vmcnt(0)
	v_cvt_f32_i32_e32 v8, v8
	v_bfe_u32 v11, v8, 16, 1
	v_add3_u32 v8, v8, v11, s0
	v_lshrrev_b32_e32 v8, 16, v8
.LBB46_1919:
	s_mov_b64 s[0:1], 0
.LBB46_1920:
	s_andn2_b64 vcc, exec, s[0:1]
	s_cbranch_vccnz .LBB46_1926
; %bb.1921:
	v_mov_b32_e32 v8, 0
	v_cmp_gt_i16_sdwa s[0:1], v5, v8 src0_sel:BYTE_0 src1_sel:DWORD
	s_and_b64 vcc, exec, s[0:1]
	s_cbranch_vccz .LBB46_1923
; %bb.1922:
	global_load_sbyte v8, v[0:1], off
	s_movk_i32 s0, 0x7fff
	s_waitcnt vmcnt(0)
	v_cvt_f32_i32_e32 v8, v8
	v_bfe_u32 v11, v8, 16, 1
	v_add3_u32 v8, v8, v11, s0
	v_lshrrev_b32_e32 v8, 16, v8
	s_mov_b64 s[0:1], 0
	s_branch .LBB46_1924
.LBB46_1923:
	s_mov_b64 s[0:1], -1
                                        ; implicit-def: $vgpr8
.LBB46_1924:
	s_andn2_b64 vcc, exec, s[0:1]
	s_cbranch_vccnz .LBB46_1926
; %bb.1925:
	global_load_ubyte v0, v[0:1], off
	s_movk_i32 s0, 0x7fff
	s_waitcnt vmcnt(0)
	v_cvt_f32_ubyte0_e32 v0, v0
	v_bfe_u32 v1, v0, 16, 1
	v_add3_u32 v0, v0, v1, s0
	v_lshrrev_b32_e32 v8, 16, v0
.LBB46_1926:
.LBB46_1927:
	s_lshl_b32 s24, s14, 7
	v_add_u32_e32 v11, s24, v9
	v_ashrrev_i32_e32 v1, 31, v11
	v_mov_b32_e32 v9, s3
	v_add_co_u32_e32 v0, vcc, s2, v11
	v_addc_co_u32_e32 v1, vcc, v9, v1, vcc
	v_mov_b32_e32 v9, 11
	v_cmp_lt_i16_sdwa s[0:1], v4, v9 src0_sel:BYTE_0 src1_sel:DWORD
	s_and_b64 vcc, exec, s[0:1]
	s_cbranch_vccnz .LBB46_1934
; %bb.1928:
	v_mov_b32_e32 v9, 25
	v_cmp_gt_i16_sdwa s[0:1], v4, v9 src0_sel:BYTE_0 src1_sel:DWORD
	s_mov_b64 s[14:15], 0
	s_and_b64 vcc, exec, s[0:1]
	s_cbranch_vccz .LBB46_1935
; %bb.1929:
	v_mov_b32_e32 v9, 28
	v_cmp_gt_i16_sdwa s[0:1], v4, v9 src0_sel:BYTE_0 src1_sel:DWORD
	s_and_b64 vcc, exec, s[0:1]
	s_cbranch_vccz .LBB46_1936
; %bb.1930:
	v_mov_b32_e32 v9, 43
	v_cmp_gt_i16_sdwa s[0:1], v4, v9 src0_sel:BYTE_0 src1_sel:DWORD
	;; [unrolled: 5-line block ×3, first 2 shown]
	s_and_b64 vcc, exec, s[0:1]
	s_cbranch_vccz .LBB46_1939
; %bb.1932:
	v_mov_b32_e32 v9, 46
	v_cmp_eq_u16_sdwa s[0:1], v4, v9 src0_sel:BYTE_0 src1_sel:DWORD
	s_mov_b64 s[20:21], 0
	s_and_b64 vcc, exec, s[0:1]
	s_cbranch_vccz .LBB46_1940
; %bb.1933:
	global_load_dword v9, v[0:1], off
	s_mov_b64 s[0:1], 0
	s_mov_b64 s[16:17], -1
	s_branch .LBB46_1941
.LBB46_1934:
	s_mov_b64 s[0:1], -1
	s_mov_b64 s[16:17], 0
                                        ; implicit-def: $vgpr9
	s_branch .LBB46_2007
.LBB46_1935:
	s_mov_b64 s[20:21], -1
	s_mov_b64 s[16:17], 0
	s_mov_b64 s[0:1], 0
                                        ; implicit-def: $vgpr9
	s_branch .LBB46_1970
.LBB46_1936:
	s_mov_b64 s[20:21], -1
	s_mov_b64 s[16:17], 0
	s_mov_b64 s[0:1], 0
                                        ; implicit-def: $vgpr9
	s_branch .LBB46_1951
.LBB46_1937:
	s_mov_b64 s[20:21], -1
	s_mov_b64 s[16:17], 0
	s_mov_b64 s[0:1], 0
                                        ; implicit-def: $vgpr9
	s_branch .LBB46_1946
.LBB46_1938:
	s_trap 2
	s_or_b64 s[18:19], s[18:19], exec
                                        ; implicit-def: $vgpr8
	s_cbranch_execz .LBB46_1877
	s_branch .LBB46_1878
.LBB46_1939:
	s_mov_b64 s[20:21], -1
	s_mov_b64 s[16:17], 0
	s_mov_b64 s[0:1], 0
                                        ; implicit-def: $vgpr9
	s_branch .LBB46_1941
.LBB46_1940:
	s_mov_b64 s[0:1], -1
                                        ; implicit-def: $vgpr9
	s_mov_b64 s[16:17], 0
.LBB46_1941:
	s_and_b64 vcc, exec, s[20:21]
	s_cbranch_vccz .LBB46_1945
; %bb.1942:
	s_waitcnt vmcnt(0)
	v_mov_b32_e32 v9, 44
	v_cmp_eq_u16_sdwa s[0:1], v4, v9 src0_sel:BYTE_0 src1_sel:DWORD
	s_and_b64 vcc, exec, s[0:1]
	s_cbranch_vccz .LBB46_1944
; %bb.1943:
	global_load_ubyte v9, v[0:1], off
	s_movk_i32 s16, 0xff
	v_mov_b32_e32 v12, 0x7f800001
	v_mov_b32_e32 v13, 0x400000
	;; [unrolled: 1-line block ×3, first 2 shown]
	s_mov_b64 s[0:1], 0
	s_waitcnt vmcnt(0)
	v_lshlrev_b32_e32 v15, 23, v9
	v_cmp_ne_u32_e32 vcc, s16, v9
	v_cndmask_b32_e32 v12, v12, v15, vcc
	v_cmp_ne_u32_e32 vcc, 0, v9
	v_cndmask_b32_e32 v9, v13, v12, vcc
	v_add_u32_e32 v12, 0x7fff, v9
	v_lshrrev_b32_e32 v12, 16, v12
	v_cmp_o_f32_e32 vcc, v9, v9
	v_cndmask_b32_e32 v9, v14, v12, vcc
	s_mov_b64 s[16:17], -1
	s_branch .LBB46_1945
.LBB46_1944:
	s_mov_b64 s[0:1], -1
                                        ; implicit-def: $vgpr9
.LBB46_1945:
	s_mov_b64 s[20:21], 0
.LBB46_1946:
	s_and_b64 vcc, exec, s[20:21]
	s_cbranch_vccz .LBB46_1950
; %bb.1947:
	s_waitcnt vmcnt(0)
	v_mov_b32_e32 v9, 29
	v_cmp_eq_u16_sdwa s[0:1], v4, v9 src0_sel:BYTE_0 src1_sel:DWORD
	s_and_b64 vcc, exec, s[0:1]
	s_cbranch_vccz .LBB46_1949
; %bb.1948:
	global_load_dwordx2 v[12:13], v[0:1], off
	s_movk_i32 s16, 0x7fff
	s_mov_b64 s[0:1], 0
	s_mov_b64 s[20:21], 0
	s_waitcnt vmcnt(0)
	v_ffbh_u32_e32 v9, v13
	v_min_u32_e32 v9, 32, v9
	v_lshlrev_b64 v[12:13], v9, v[12:13]
	v_min_u32_e32 v12, 1, v12
	v_or_b32_e32 v12, v13, v12
	v_cvt_f32_u32_e32 v12, v12
	v_sub_u32_e32 v9, 32, v9
	v_ldexp_f32 v9, v12, v9
	v_bfe_u32 v12, v9, 16, 1
	v_add3_u32 v9, v9, v12, s16
	v_lshrrev_b32_e32 v9, 16, v9
	s_mov_b64 s[16:17], -1
	s_branch .LBB46_1951
.LBB46_1949:
	s_mov_b64 s[0:1], -1
                                        ; implicit-def: $vgpr9
.LBB46_1950:
	s_mov_b64 s[20:21], 0
.LBB46_1951:
	s_and_b64 vcc, exec, s[20:21]
	s_cbranch_vccz .LBB46_1969
; %bb.1952:
	s_waitcnt vmcnt(0)
	v_mov_b32_e32 v9, 27
	v_cmp_lt_i16_sdwa s[16:17], v4, v9 src0_sel:BYTE_0 src1_sel:DWORD
	s_and_b64 vcc, exec, s[16:17]
	s_cbranch_vccnz .LBB46_1955
; %bb.1953:
	v_cmp_gt_i16_sdwa s[16:17], v4, v9 src0_sel:BYTE_0 src1_sel:DWORD
	s_and_b64 vcc, exec, s[16:17]
	s_cbranch_vccz .LBB46_1956
; %bb.1954:
	global_load_dword v9, v[0:1], off
	s_movk_i32 s16, 0x7fff
	s_waitcnt vmcnt(0)
	v_cvt_f32_u32_e32 v9, v9
	v_bfe_u32 v12, v9, 16, 1
	v_add3_u32 v9, v9, v12, s16
	v_lshrrev_b32_e32 v9, 16, v9
	s_mov_b64 s[16:17], 0
	s_branch .LBB46_1957
.LBB46_1955:
	s_mov_b64 s[16:17], -1
                                        ; implicit-def: $vgpr9
	s_branch .LBB46_1960
.LBB46_1956:
	s_mov_b64 s[16:17], -1
                                        ; implicit-def: $vgpr9
.LBB46_1957:
	s_andn2_b64 vcc, exec, s[16:17]
	s_cbranch_vccnz .LBB46_1959
; %bb.1958:
	global_load_ushort v9, v[0:1], off
	s_movk_i32 s16, 0x7fff
	s_waitcnt vmcnt(0)
	v_cvt_f32_u32_e32 v9, v9
	v_bfe_u32 v12, v9, 16, 1
	v_add3_u32 v9, v9, v12, s16
	v_lshrrev_b32_e32 v9, 16, v9
.LBB46_1959:
	s_mov_b64 s[16:17], 0
.LBB46_1960:
	s_andn2_b64 vcc, exec, s[16:17]
	s_cbranch_vccnz .LBB46_1968
; %bb.1961:
	global_load_ubyte v9, v[0:1], off
	s_movk_i32 s16, 0x7f
                                        ; implicit-def: $sgpr25
	s_waitcnt vmcnt(0)
	v_cmp_lt_i16_e32 vcc, s16, v9
	s_mov_b64 s[16:17], 0
	s_and_saveexec_b64 s[20:21], vcc
	s_xor_b64 s[20:21], exec, s[20:21]
	s_cbranch_execz .LBB46_1982
; %bb.1962:
	s_movk_i32 s16, 0x80
	v_cmp_eq_u16_e32 vcc, s16, v9
	s_mov_b64 s[16:17], -1
                                        ; implicit-def: $sgpr25
	s_and_saveexec_b64 s[22:23], vcc
; %bb.1963:
	s_mov_b32 s25, 0x7f800001
	s_xor_b64 s[16:17], exec, -1
; %bb.1964:
	s_or_b64 exec, exec, s[22:23]
	s_and_b64 s[16:17], s[16:17], exec
	s_or_saveexec_b64 s[20:21], s[20:21]
	v_mov_b32_e32 v12, s25
	s_xor_b64 exec, exec, s[20:21]
	s_cbranch_execnz .LBB46_1983
.LBB46_1965:
	s_or_b64 exec, exec, s[20:21]
	s_and_saveexec_b64 s[20:21], s[16:17]
	s_cbranch_execz .LBB46_1967
.LBB46_1966:
	v_lshlrev_b32_e32 v12, 24, v9
	v_and_b32_e32 v9, 0xffff, v9
	v_and_b32_e32 v13, 7, v9
	v_ffbh_u32_e32 v15, v13
	v_min_u32_e32 v15, 32, v15
	v_subrev_u32_e32 v16, 28, v15
	v_bfe_u32 v14, v9, 3, 4
	v_lshlrev_b32_e32 v9, v16, v9
	v_sub_u32_e32 v15, 29, v15
	v_and_b32_e32 v9, 7, v9
	v_cmp_eq_u32_e32 vcc, 0, v14
	v_cndmask_b32_e32 v14, v14, v15, vcc
	v_cndmask_b32_e32 v9, v13, v9, vcc
	v_mov_b32_e32 v13, 0x3b800000
	v_lshlrev_b32_e32 v9, 20, v9
	v_and_b32_e32 v12, 0x80000000, v12
	v_lshl_add_u32 v13, v14, 23, v13
	v_or3_b32 v12, v12, v13, v9
.LBB46_1967:
	s_or_b64 exec, exec, s[20:21]
	v_bfe_u32 v9, v12, 16, 1
	s_movk_i32 s16, 0x7fff
	v_add3_u32 v9, v12, v9, s16
	v_lshrrev_b32_e32 v9, 16, v9
	v_mov_b32_e32 v13, 0x7fc0
	v_cmp_o_f32_e32 vcc, v12, v12
	v_cndmask_b32_e32 v9, v13, v9, vcc
.LBB46_1968:
	s_mov_b64 s[16:17], -1
.LBB46_1969:
	s_mov_b64 s[20:21], 0
.LBB46_1970:
	s_and_b64 vcc, exec, s[20:21]
	s_cbranch_vccz .LBB46_2003
; %bb.1971:
	s_waitcnt vmcnt(0)
	v_mov_b32_e32 v9, 22
	v_cmp_gt_i16_sdwa s[14:15], v4, v9 src0_sel:BYTE_0 src1_sel:DWORD
	s_and_b64 vcc, exec, s[14:15]
	s_cbranch_vccz .LBB46_1981
; %bb.1972:
	v_mov_b32_e32 v9, 24
	v_cmp_lt_i16_sdwa s[14:15], v4, v9 src0_sel:BYTE_0 src1_sel:DWORD
	s_and_b64 vcc, exec, s[14:15]
	s_cbranch_vccnz .LBB46_1984
; %bb.1973:
	v_cmp_gt_i16_sdwa s[14:15], v4, v9 src0_sel:BYTE_0 src1_sel:DWORD
	s_and_b64 vcc, exec, s[14:15]
	s_cbranch_vccz .LBB46_1985
; %bb.1974:
	global_load_ubyte v9, v[0:1], off
	s_movk_i32 s14, 0x7f
                                        ; implicit-def: $sgpr22
	s_waitcnt vmcnt(0)
	v_cmp_lt_i16_e32 vcc, s14, v9
	s_mov_b64 s[14:15], 0
	s_and_saveexec_b64 s[16:17], vcc
	s_xor_b64 s[16:17], exec, s[16:17]
	s_cbranch_execz .LBB46_1997
; %bb.1975:
	s_movk_i32 s14, 0x80
	v_cmp_eq_u16_e32 vcc, s14, v9
	s_mov_b64 s[14:15], -1
                                        ; implicit-def: $sgpr22
	s_and_saveexec_b64 s[20:21], vcc
; %bb.1976:
	s_mov_b32 s22, 0x7f800001
	s_xor_b64 s[14:15], exec, -1
; %bb.1977:
	s_or_b64 exec, exec, s[20:21]
	s_and_b64 s[14:15], s[14:15], exec
	s_or_saveexec_b64 s[16:17], s[16:17]
	v_mov_b32_e32 v12, s22
	s_xor_b64 exec, exec, s[16:17]
	s_cbranch_execnz .LBB46_1998
.LBB46_1978:
	s_or_b64 exec, exec, s[16:17]
	s_and_saveexec_b64 s[16:17], s[14:15]
	s_cbranch_execz .LBB46_1980
.LBB46_1979:
	v_lshlrev_b32_e32 v12, 24, v9
	v_and_b32_e32 v9, 0xffff, v9
	v_and_b32_e32 v13, 3, v9
	v_ffbh_u32_e32 v15, v13
	v_min_u32_e32 v15, 32, v15
	v_subrev_u32_e32 v16, 29, v15
	v_bfe_u32 v14, v9, 2, 5
	v_lshlrev_b32_e32 v9, v16, v9
	v_sub_u32_e32 v15, 30, v15
	v_and_b32_e32 v9, 3, v9
	v_cmp_eq_u32_e32 vcc, 0, v14
	v_cndmask_b32_e32 v14, v14, v15, vcc
	v_cndmask_b32_e32 v9, v13, v9, vcc
	v_mov_b32_e32 v13, 0x37800000
	v_lshlrev_b32_e32 v9, 21, v9
	v_and_b32_e32 v12, 0x80000000, v12
	v_lshl_add_u32 v13, v14, 23, v13
	v_or3_b32 v12, v12, v13, v9
.LBB46_1980:
	s_or_b64 exec, exec, s[16:17]
	v_bfe_u32 v9, v12, 16, 1
	s_movk_i32 s14, 0x7fff
	v_add3_u32 v9, v12, v9, s14
	v_lshrrev_b32_e32 v9, 16, v9
	v_mov_b32_e32 v13, 0x7fc0
	v_cmp_o_f32_e32 vcc, v12, v12
	v_cndmask_b32_e32 v9, v13, v9, vcc
	s_mov_b64 s[14:15], 0
	s_branch .LBB46_1986
.LBB46_1981:
	s_mov_b64 s[14:15], -1
                                        ; implicit-def: $vgpr9
	s_branch .LBB46_1992
.LBB46_1982:
	s_or_saveexec_b64 s[20:21], s[20:21]
	v_mov_b32_e32 v12, s25
	s_xor_b64 exec, exec, s[20:21]
	s_cbranch_execz .LBB46_1965
.LBB46_1983:
	v_cmp_ne_u16_e32 vcc, 0, v9
	s_andn2_b64 s[16:17], s[16:17], exec
	s_and_b64 s[22:23], vcc, exec
	v_mov_b32_e32 v12, 0
	s_or_b64 s[16:17], s[16:17], s[22:23]
	s_or_b64 exec, exec, s[20:21]
	s_and_saveexec_b64 s[20:21], s[16:17]
	s_cbranch_execnz .LBB46_1966
	s_branch .LBB46_1967
.LBB46_1984:
	s_mov_b64 s[14:15], -1
                                        ; implicit-def: $vgpr9
	s_branch .LBB46_1989
.LBB46_1985:
	s_mov_b64 s[14:15], -1
                                        ; implicit-def: $vgpr9
.LBB46_1986:
	s_and_b64 vcc, exec, s[14:15]
	s_cbranch_vccz .LBB46_1988
; %bb.1987:
	global_load_ubyte v9, v[0:1], off
	s_mov_b32 s14, 0x7f800000
	s_brev_b32 s15, 1
	s_movk_i32 s16, 0x7fff
	v_mov_b32_e32 v12, 0x7fc0
	s_waitcnt vmcnt(0)
	v_lshlrev_b32_e32 v9, 24, v9
	v_and_b32_e32 v13, 0x7f000000, v9
	v_ffbh_u32_e32 v14, v13
	v_min_u32_e32 v14, 32, v14
	v_sub_u32_e64 v14, v14, 4 clamp
	v_lshlrev_b32_e32 v16, v14, v13
	v_lshlrev_b32_e32 v14, 23, v14
	v_lshrrev_b32_e32 v16, 4, v16
	v_add_u32_e32 v15, 0x1000000, v13
	v_sub_u32_e32 v14, v16, v14
	v_ashrrev_i32_e32 v15, 8, v15
	v_add_u32_e32 v14, 0x3c000000, v14
	v_and_or_b32 v14, v15, s14, v14
	v_cmp_ne_u32_e32 vcc, 0, v13
	v_cndmask_b32_e32 v13, 0, v14, vcc
	v_and_or_b32 v9, v9, s15, v13
	v_bfe_u32 v13, v13, 16, 1
	v_add3_u32 v13, v9, v13, s16
	v_lshrrev_b32_e32 v13, 16, v13
	v_cmp_o_f32_e32 vcc, v9, v9
	v_cndmask_b32_e32 v9, v12, v13, vcc
.LBB46_1988:
	s_mov_b64 s[14:15], 0
.LBB46_1989:
	s_andn2_b64 vcc, exec, s[14:15]
	s_cbranch_vccnz .LBB46_1991
; %bb.1990:
	global_load_ubyte v9, v[0:1], off
	s_movk_i32 s14, 0x7f00
	s_brev_b32 s15, 16
	s_brev_b32 s16, 1
	s_movk_i32 s17, 0x7fff
	v_mov_b32_e32 v12, 0x7fc0
	s_waitcnt vmcnt(0)
	v_lshlrev_b16_e32 v13, 8, v9
	v_lshlrev_b32_e32 v9, 25, v9
	v_lshrrev_b32_e32 v14, 4, v9
	v_and_or_b32 v15, v13, s14, 0.5
	v_or_b32_e32 v14, 0x70000000, v14
	v_add_f32_e32 v15, -0.5, v15
	v_mul_f32_e32 v14, 0x7800000, v14
	v_cmp_gt_u32_e32 vcc, s15, v9
	v_bfe_i32 v13, v13, 0, 16
	v_cndmask_b32_e32 v9, v14, v15, vcc
	v_and_or_b32 v13, v13, s16, v9
	v_bfe_u32 v9, v9, 16, 1
	v_add3_u32 v9, v13, v9, s17
	v_lshrrev_b32_e32 v9, 16, v9
	v_cmp_o_f32_e32 vcc, v13, v13
	v_cndmask_b32_e32 v9, v12, v9, vcc
.LBB46_1991:
	s_mov_b64 s[14:15], 0
	s_mov_b64 s[16:17], -1
.LBB46_1992:
	s_andn2_b64 vcc, exec, s[14:15]
	s_mov_b64 s[14:15], 0
	s_cbranch_vccnz .LBB46_2003
; %bb.1993:
	v_mov_b32_e32 v9, 14
	v_cmp_gt_i16_sdwa s[14:15], v4, v9 src0_sel:BYTE_0 src1_sel:DWORD
	s_and_b64 vcc, exec, s[14:15]
	s_cbranch_vccz .LBB46_1996
; %bb.1994:
	v_mov_b32_e32 v9, 15
	v_cmp_eq_u16_sdwa s[0:1], v4, v9 src0_sel:BYTE_0 src1_sel:DWORD
	s_and_b64 vcc, exec, s[0:1]
	s_cbranch_vccz .LBB46_1999
; %bb.1995:
	global_load_ushort v9, v[0:1], off
	s_mov_b64 s[0:1], 0
	s_mov_b64 s[16:17], -1
	s_branch .LBB46_2000
.LBB46_1996:
	s_mov_b64 s[20:21], -1
                                        ; implicit-def: $vgpr9
	s_branch .LBB46_2001
.LBB46_1997:
	s_or_saveexec_b64 s[16:17], s[16:17]
	v_mov_b32_e32 v12, s22
	s_xor_b64 exec, exec, s[16:17]
	s_cbranch_execz .LBB46_1978
.LBB46_1998:
	v_cmp_ne_u16_e32 vcc, 0, v9
	s_andn2_b64 s[14:15], s[14:15], exec
	s_and_b64 s[20:21], vcc, exec
	v_mov_b32_e32 v12, 0
	s_or_b64 s[14:15], s[14:15], s[20:21]
	s_or_b64 exec, exec, s[16:17]
	s_and_saveexec_b64 s[16:17], s[14:15]
	s_cbranch_execnz .LBB46_1979
	s_branch .LBB46_1980
.LBB46_1999:
	s_mov_b64 s[0:1], -1
                                        ; implicit-def: $vgpr9
.LBB46_2000:
	s_mov_b64 s[20:21], 0
.LBB46_2001:
	s_mov_b64 s[14:15], 0
	s_and_b64 vcc, exec, s[20:21]
	s_cbranch_vccz .LBB46_2003
; %bb.2002:
	s_waitcnt vmcnt(0)
	v_mov_b32_e32 v9, 11
	v_cmp_ne_u16_sdwa s[0:1], v4, v9 src0_sel:BYTE_0 src1_sel:DWORD
	s_mov_b64 s[14:15], -1
                                        ; implicit-def: $vgpr9
.LBB46_2003:
	s_and_b64 vcc, exec, s[0:1]
	s_cbranch_vccnz .LBB46_2068
; %bb.2004:
	s_andn2_b64 vcc, exec, s[14:15]
	s_cbranch_vccnz .LBB46_2006
.LBB46_2005:
	global_load_ubyte v9, v[0:1], off
	s_mov_b64 s[16:17], -1
	s_waitcnt vmcnt(0)
	v_cmp_ne_u16_e32 vcc, 0, v9
	v_cndmask_b32_e64 v9, 0, 1.0, vcc
	v_lshrrev_b32_e32 v9, 16, v9
.LBB46_2006:
	s_mov_b64 s[0:1], 0
.LBB46_2007:
	s_and_b64 vcc, exec, s[0:1]
	s_cbranch_vccz .LBB46_2056
; %bb.2008:
	s_waitcnt vmcnt(0)
	v_mov_b32_e32 v9, 5
	v_cmp_lt_i16_sdwa s[0:1], v4, v9 src0_sel:BYTE_0 src1_sel:DWORD
	s_and_b64 vcc, exec, s[0:1]
	s_cbranch_vccnz .LBB46_2013
; %bb.2009:
	v_mov_b32_e32 v9, 8
	v_cmp_lt_i16_sdwa s[0:1], v4, v9 src0_sel:BYTE_0 src1_sel:DWORD
	s_and_b64 vcc, exec, s[0:1]
	s_cbranch_vccnz .LBB46_2014
; %bb.2010:
	;; [unrolled: 5-line block ×3, first 2 shown]
	v_cmp_gt_i16_sdwa s[0:1], v4, v9 src0_sel:BYTE_0 src1_sel:DWORD
	s_and_b64 vcc, exec, s[0:1]
	s_cbranch_vccz .LBB46_2016
; %bb.2012:
	global_load_dwordx2 v[12:13], v[0:1], off
	s_movk_i32 s0, 0x7fff
	v_mov_b32_e32 v9, 0x7fc0
	s_waitcnt vmcnt(0)
	v_cvt_f32_f64_e32 v12, v[12:13]
	v_bfe_u32 v13, v12, 16, 1
	v_add3_u32 v13, v12, v13, s0
	v_lshrrev_b32_e32 v13, 16, v13
	v_cmp_o_f32_e32 vcc, v12, v12
	v_cndmask_b32_e32 v9, v9, v13, vcc
	s_mov_b64 s[0:1], 0
	s_branch .LBB46_2017
.LBB46_2013:
	s_mov_b64 s[0:1], -1
                                        ; implicit-def: $vgpr9
	s_branch .LBB46_2035
.LBB46_2014:
	s_mov_b64 s[0:1], -1
                                        ; implicit-def: $vgpr9
	s_branch .LBB46_2023
.LBB46_2015:
	s_mov_b64 s[0:1], -1
                                        ; implicit-def: $vgpr9
	s_branch .LBB46_2020
.LBB46_2016:
	s_mov_b64 s[0:1], -1
                                        ; implicit-def: $vgpr9
.LBB46_2017:
	s_andn2_b64 vcc, exec, s[0:1]
	s_cbranch_vccnz .LBB46_2019
; %bb.2018:
	global_load_dword v9, v[0:1], off
	s_movk_i32 s0, 0x7fff
	v_mov_b32_e32 v12, 0x7fc0
	s_waitcnt vmcnt(0)
	v_bfe_u32 v13, v9, 16, 1
	v_add3_u32 v13, v9, v13, s0
	v_lshrrev_b32_e32 v13, 16, v13
	v_cmp_o_f32_e32 vcc, v9, v9
	v_cndmask_b32_e32 v9, v12, v13, vcc
.LBB46_2019:
	s_mov_b64 s[0:1], 0
.LBB46_2020:
	s_andn2_b64 vcc, exec, s[0:1]
	s_cbranch_vccnz .LBB46_2022
; %bb.2021:
	global_load_dword v9, v[0:1], off
	s_movk_i32 s0, 0x7fff
	v_mov_b32_e32 v13, 0x7fc0
	s_waitcnt vmcnt(0)
	v_cvt_f32_f16_e32 v12, v9
	v_cmp_o_f16_e32 vcc, v9, v9
	v_bfe_u32 v14, v12, 16, 1
	v_add3_u32 v12, v12, v14, s0
	v_lshrrev_b32_e32 v12, 16, v12
	v_cndmask_b32_e32 v9, v13, v12, vcc
.LBB46_2022:
	s_mov_b64 s[0:1], 0
.LBB46_2023:
	s_andn2_b64 vcc, exec, s[0:1]
	s_cbranch_vccnz .LBB46_2034
; %bb.2024:
	v_mov_b32_e32 v9, 6
	v_cmp_lt_i16_sdwa s[0:1], v4, v9 src0_sel:BYTE_0 src1_sel:DWORD
	s_and_b64 vcc, exec, s[0:1]
	s_cbranch_vccnz .LBB46_2027
; %bb.2025:
	v_cmp_gt_i16_sdwa s[0:1], v4, v9 src0_sel:BYTE_0 src1_sel:DWORD
	s_and_b64 vcc, exec, s[0:1]
	s_cbranch_vccz .LBB46_2028
; %bb.2026:
	global_load_dwordx2 v[12:13], v[0:1], off
	s_movk_i32 s0, 0x7fff
	v_mov_b32_e32 v9, 0x7fc0
	s_waitcnt vmcnt(0)
	v_cvt_f32_f64_e32 v12, v[12:13]
	v_bfe_u32 v13, v12, 16, 1
	v_add3_u32 v13, v12, v13, s0
	v_lshrrev_b32_e32 v13, 16, v13
	v_cmp_o_f32_e32 vcc, v12, v12
	v_cndmask_b32_e32 v9, v9, v13, vcc
	s_mov_b64 s[0:1], 0
	s_branch .LBB46_2029
.LBB46_2027:
	s_mov_b64 s[0:1], -1
                                        ; implicit-def: $vgpr9
	s_branch .LBB46_2032
.LBB46_2028:
	s_mov_b64 s[0:1], -1
                                        ; implicit-def: $vgpr9
.LBB46_2029:
	s_andn2_b64 vcc, exec, s[0:1]
	s_cbranch_vccnz .LBB46_2031
; %bb.2030:
	global_load_dword v9, v[0:1], off
	s_movk_i32 s0, 0x7fff
	v_mov_b32_e32 v12, 0x7fc0
	s_waitcnt vmcnt(0)
	v_bfe_u32 v13, v9, 16, 1
	v_add3_u32 v13, v9, v13, s0
	v_lshrrev_b32_e32 v13, 16, v13
	v_cmp_o_f32_e32 vcc, v9, v9
	v_cndmask_b32_e32 v9, v12, v13, vcc
.LBB46_2031:
	s_mov_b64 s[0:1], 0
.LBB46_2032:
	s_andn2_b64 vcc, exec, s[0:1]
	s_cbranch_vccnz .LBB46_2034
; %bb.2033:
	global_load_ushort v9, v[0:1], off
	s_movk_i32 s0, 0x7fff
	v_mov_b32_e32 v13, 0x7fc0
	s_waitcnt vmcnt(0)
	v_cvt_f32_f16_e32 v12, v9
	v_cmp_o_f16_e32 vcc, v9, v9
	v_bfe_u32 v14, v12, 16, 1
	v_add3_u32 v12, v12, v14, s0
	v_lshrrev_b32_e32 v12, 16, v12
	v_cndmask_b32_e32 v9, v13, v12, vcc
.LBB46_2034:
	s_mov_b64 s[0:1], 0
.LBB46_2035:
	s_andn2_b64 vcc, exec, s[0:1]
	s_cbranch_vccnz .LBB46_2055
; %bb.2036:
	v_mov_b32_e32 v9, 2
	v_cmp_lt_i16_sdwa s[0:1], v4, v9 src0_sel:BYTE_0 src1_sel:DWORD
	s_and_b64 vcc, exec, s[0:1]
	s_cbranch_vccnz .LBB46_2040
; %bb.2037:
	v_mov_b32_e32 v9, 3
	v_cmp_lt_i16_sdwa s[0:1], v4, v9 src0_sel:BYTE_0 src1_sel:DWORD
	s_and_b64 vcc, exec, s[0:1]
	s_cbranch_vccnz .LBB46_2041
; %bb.2038:
	v_cmp_gt_i16_sdwa s[0:1], v4, v9 src0_sel:BYTE_0 src1_sel:DWORD
	s_and_b64 vcc, exec, s[0:1]
	s_cbranch_vccz .LBB46_2042
; %bb.2039:
	global_load_dwordx2 v[12:13], v[0:1], off
	s_movk_i32 s0, 0x7fff
	s_waitcnt vmcnt(0)
	v_xor_b32_e32 v14, v12, v13
	v_ffbh_i32_e32 v9, v13
	v_ashrrev_i32_e32 v14, 31, v14
	v_add_u32_e32 v9, -1, v9
	v_add_u32_e32 v14, 32, v14
	v_min_u32_e32 v9, v9, v14
	v_lshlrev_b64 v[12:13], v9, v[12:13]
	v_min_u32_e32 v12, 1, v12
	v_or_b32_e32 v12, v13, v12
	v_cvt_f32_i32_e32 v12, v12
	v_sub_u32_e32 v9, 32, v9
	v_ldexp_f32 v9, v12, v9
	v_bfe_u32 v12, v9, 16, 1
	v_add3_u32 v9, v9, v12, s0
	v_lshrrev_b32_e32 v9, 16, v9
	s_mov_b64 s[0:1], 0
	s_branch .LBB46_2043
.LBB46_2040:
	s_mov_b64 s[0:1], -1
                                        ; implicit-def: $vgpr9
	s_branch .LBB46_2049
.LBB46_2041:
	s_mov_b64 s[0:1], -1
                                        ; implicit-def: $vgpr9
	s_branch .LBB46_2046
.LBB46_2042:
	s_mov_b64 s[0:1], -1
                                        ; implicit-def: $vgpr9
.LBB46_2043:
	s_andn2_b64 vcc, exec, s[0:1]
	s_cbranch_vccnz .LBB46_2045
; %bb.2044:
	global_load_dword v9, v[0:1], off
	s_movk_i32 s0, 0x7fff
	s_waitcnt vmcnt(0)
	v_cvt_f32_i32_e32 v9, v9
	v_bfe_u32 v12, v9, 16, 1
	v_add3_u32 v9, v9, v12, s0
	v_lshrrev_b32_e32 v9, 16, v9
.LBB46_2045:
	s_mov_b64 s[0:1], 0
.LBB46_2046:
	s_andn2_b64 vcc, exec, s[0:1]
	s_cbranch_vccnz .LBB46_2048
; %bb.2047:
	global_load_sshort v9, v[0:1], off
	s_movk_i32 s0, 0x7fff
	s_waitcnt vmcnt(0)
	v_cvt_f32_i32_e32 v9, v9
	v_bfe_u32 v12, v9, 16, 1
	v_add3_u32 v9, v9, v12, s0
	v_lshrrev_b32_e32 v9, 16, v9
.LBB46_2048:
	s_mov_b64 s[0:1], 0
.LBB46_2049:
	s_andn2_b64 vcc, exec, s[0:1]
	s_cbranch_vccnz .LBB46_2055
; %bb.2050:
	v_mov_b32_e32 v9, 0
	v_cmp_gt_i16_sdwa s[0:1], v4, v9 src0_sel:BYTE_0 src1_sel:DWORD
	s_and_b64 vcc, exec, s[0:1]
	s_cbranch_vccz .LBB46_2052
; %bb.2051:
	global_load_sbyte v9, v[0:1], off
	s_movk_i32 s0, 0x7fff
	s_waitcnt vmcnt(0)
	v_cvt_f32_i32_e32 v9, v9
	v_bfe_u32 v12, v9, 16, 1
	v_add3_u32 v9, v9, v12, s0
	v_lshrrev_b32_e32 v9, 16, v9
	s_mov_b64 s[0:1], 0
	s_branch .LBB46_2053
.LBB46_2052:
	s_mov_b64 s[0:1], -1
                                        ; implicit-def: $vgpr9
.LBB46_2053:
	s_andn2_b64 vcc, exec, s[0:1]
	s_cbranch_vccnz .LBB46_2055
; %bb.2054:
	global_load_ubyte v0, v[0:1], off
	s_movk_i32 s0, 0x7fff
	s_waitcnt vmcnt(0)
	v_cvt_f32_ubyte0_e32 v0, v0
	v_bfe_u32 v1, v0, 16, 1
	v_add3_u32 v0, v0, v1, s0
	v_lshrrev_b32_e32 v9, 16, v0
.LBB46_2055:
	s_mov_b64 s[16:17], -1
.LBB46_2056:
	s_andn2_b64 vcc, exec, s[16:17]
	s_cbranch_vccnz .LBB46_3032
; %bb.2057:
	v_add_u32_e32 v12, s13, v10
	v_ashrrev_i32_e32 v1, 31, v12
	v_mov_b32_e32 v10, s11
	v_add_co_u32_e32 v0, vcc, s10, v12
	v_addc_co_u32_e32 v1, vcc, v10, v1, vcc
	v_mov_b32_e32 v10, 11
	v_cmp_lt_i16_sdwa s[0:1], v5, v10 src0_sel:BYTE_0 src1_sel:DWORD
	s_and_b64 vcc, exec, s[0:1]
	s_cbranch_vccnz .LBB46_2064
; %bb.2058:
	v_mov_b32_e32 v10, 25
	v_cmp_gt_i16_sdwa s[0:1], v5, v10 src0_sel:BYTE_0 src1_sel:DWORD
	s_mov_b64 s[14:15], 0
	s_and_b64 vcc, exec, s[0:1]
	s_cbranch_vccz .LBB46_2065
; %bb.2059:
	v_mov_b32_e32 v10, 28
	v_cmp_gt_i16_sdwa s[0:1], v5, v10 src0_sel:BYTE_0 src1_sel:DWORD
	s_and_b64 vcc, exec, s[0:1]
	s_cbranch_vccz .LBB46_2066
; %bb.2060:
	v_mov_b32_e32 v10, 43
	v_cmp_gt_i16_sdwa s[0:1], v5, v10 src0_sel:BYTE_0 src1_sel:DWORD
	;; [unrolled: 5-line block ×3, first 2 shown]
	s_and_b64 vcc, exec, s[0:1]
	s_cbranch_vccz .LBB46_2069
; %bb.2062:
	v_mov_b32_e32 v10, 46
	v_cmp_eq_u16_sdwa s[0:1], v5, v10 src0_sel:BYTE_0 src1_sel:DWORD
	s_mov_b64 s[20:21], 0
	s_and_b64 vcc, exec, s[0:1]
	s_cbranch_vccz .LBB46_2070
; %bb.2063:
	global_load_dword v10, v[0:1], off
	s_mov_b64 s[0:1], 0
	s_mov_b64 s[16:17], -1
	s_branch .LBB46_2071
.LBB46_2064:
	s_mov_b64 s[0:1], -1
	s_mov_b64 s[16:17], 0
                                        ; implicit-def: $vgpr10
	s_branch .LBB46_2137
.LBB46_2065:
	s_mov_b64 s[20:21], -1
	s_mov_b64 s[16:17], 0
	s_mov_b64 s[0:1], 0
                                        ; implicit-def: $vgpr10
	s_branch .LBB46_2100
.LBB46_2066:
	s_mov_b64 s[20:21], -1
	s_mov_b64 s[16:17], 0
	s_mov_b64 s[0:1], 0
                                        ; implicit-def: $vgpr10
	s_branch .LBB46_2081
.LBB46_2067:
	s_mov_b64 s[20:21], -1
	s_mov_b64 s[16:17], 0
	s_mov_b64 s[0:1], 0
                                        ; implicit-def: $vgpr10
	s_branch .LBB46_2076
.LBB46_2068:
	s_trap 2
	s_or_b64 s[18:19], s[18:19], exec
                                        ; implicit-def: $vgpr9
	s_cbranch_execz .LBB46_2005
	s_branch .LBB46_2006
.LBB46_2069:
	s_mov_b64 s[20:21], -1
	s_mov_b64 s[16:17], 0
	s_mov_b64 s[0:1], 0
                                        ; implicit-def: $vgpr10
	s_branch .LBB46_2071
.LBB46_2070:
	s_mov_b64 s[0:1], -1
                                        ; implicit-def: $vgpr10
	s_mov_b64 s[16:17], 0
.LBB46_2071:
	s_and_b64 vcc, exec, s[20:21]
	s_cbranch_vccz .LBB46_2075
; %bb.2072:
	s_waitcnt vmcnt(0)
	v_mov_b32_e32 v10, 44
	v_cmp_eq_u16_sdwa s[0:1], v5, v10 src0_sel:BYTE_0 src1_sel:DWORD
	s_and_b64 vcc, exec, s[0:1]
	s_cbranch_vccz .LBB46_2074
; %bb.2073:
	global_load_ubyte v10, v[0:1], off
	s_movk_i32 s16, 0xff
	v_mov_b32_e32 v13, 0x7f800001
	v_mov_b32_e32 v14, 0x400000
	;; [unrolled: 1-line block ×3, first 2 shown]
	s_mov_b64 s[0:1], 0
	s_waitcnt vmcnt(0)
	v_lshlrev_b32_e32 v16, 23, v10
	v_cmp_ne_u32_e32 vcc, s16, v10
	v_cndmask_b32_e32 v13, v13, v16, vcc
	v_cmp_ne_u32_e32 vcc, 0, v10
	v_cndmask_b32_e32 v10, v14, v13, vcc
	v_add_u32_e32 v13, 0x7fff, v10
	v_lshrrev_b32_e32 v13, 16, v13
	v_cmp_o_f32_e32 vcc, v10, v10
	v_cndmask_b32_e32 v10, v15, v13, vcc
	s_mov_b64 s[16:17], -1
	s_branch .LBB46_2075
.LBB46_2074:
	s_mov_b64 s[0:1], -1
                                        ; implicit-def: $vgpr10
.LBB46_2075:
	s_mov_b64 s[20:21], 0
.LBB46_2076:
	s_and_b64 vcc, exec, s[20:21]
	s_cbranch_vccz .LBB46_2080
; %bb.2077:
	s_waitcnt vmcnt(0)
	v_mov_b32_e32 v10, 29
	v_cmp_eq_u16_sdwa s[0:1], v5, v10 src0_sel:BYTE_0 src1_sel:DWORD
	s_and_b64 vcc, exec, s[0:1]
	s_cbranch_vccz .LBB46_2079
; %bb.2078:
	global_load_dwordx2 v[14:15], v[0:1], off
	s_movk_i32 s16, 0x7fff
	s_mov_b64 s[0:1], 0
	s_mov_b64 s[20:21], 0
	s_waitcnt vmcnt(0)
	v_ffbh_u32_e32 v10, v15
	v_min_u32_e32 v10, 32, v10
	v_lshlrev_b64 v[14:15], v10, v[14:15]
	v_min_u32_e32 v13, 1, v14
	v_or_b32_e32 v13, v15, v13
	v_cvt_f32_u32_e32 v13, v13
	v_sub_u32_e32 v10, 32, v10
	v_ldexp_f32 v10, v13, v10
	v_bfe_u32 v13, v10, 16, 1
	v_add3_u32 v10, v10, v13, s16
	v_lshrrev_b32_e32 v10, 16, v10
	s_mov_b64 s[16:17], -1
	s_branch .LBB46_2081
.LBB46_2079:
	s_mov_b64 s[0:1], -1
                                        ; implicit-def: $vgpr10
.LBB46_2080:
	s_mov_b64 s[20:21], 0
.LBB46_2081:
	s_and_b64 vcc, exec, s[20:21]
	s_cbranch_vccz .LBB46_2099
; %bb.2082:
	s_waitcnt vmcnt(0)
	v_mov_b32_e32 v10, 27
	v_cmp_lt_i16_sdwa s[16:17], v5, v10 src0_sel:BYTE_0 src1_sel:DWORD
	s_and_b64 vcc, exec, s[16:17]
	s_cbranch_vccnz .LBB46_2085
; %bb.2083:
	v_cmp_gt_i16_sdwa s[16:17], v5, v10 src0_sel:BYTE_0 src1_sel:DWORD
	s_and_b64 vcc, exec, s[16:17]
	s_cbranch_vccz .LBB46_2086
; %bb.2084:
	global_load_dword v10, v[0:1], off
	s_movk_i32 s16, 0x7fff
	s_waitcnt vmcnt(0)
	v_cvt_f32_u32_e32 v10, v10
	v_bfe_u32 v13, v10, 16, 1
	v_add3_u32 v10, v10, v13, s16
	v_lshrrev_b32_e32 v10, 16, v10
	s_mov_b64 s[16:17], 0
	s_branch .LBB46_2087
.LBB46_2085:
	s_mov_b64 s[16:17], -1
                                        ; implicit-def: $vgpr10
	s_branch .LBB46_2090
.LBB46_2086:
	s_mov_b64 s[16:17], -1
                                        ; implicit-def: $vgpr10
.LBB46_2087:
	s_andn2_b64 vcc, exec, s[16:17]
	s_cbranch_vccnz .LBB46_2089
; %bb.2088:
	global_load_ushort v10, v[0:1], off
	s_movk_i32 s16, 0x7fff
	s_waitcnt vmcnt(0)
	v_cvt_f32_u32_e32 v10, v10
	v_bfe_u32 v13, v10, 16, 1
	v_add3_u32 v10, v10, v13, s16
	v_lshrrev_b32_e32 v10, 16, v10
.LBB46_2089:
	s_mov_b64 s[16:17], 0
.LBB46_2090:
	s_andn2_b64 vcc, exec, s[16:17]
	s_cbranch_vccnz .LBB46_2098
; %bb.2091:
	global_load_ubyte v10, v[0:1], off
	s_movk_i32 s16, 0x7f
                                        ; implicit-def: $sgpr25
	s_waitcnt vmcnt(0)
	v_cmp_lt_i16_e32 vcc, s16, v10
	s_mov_b64 s[16:17], 0
	s_and_saveexec_b64 s[20:21], vcc
	s_xor_b64 s[20:21], exec, s[20:21]
	s_cbranch_execz .LBB46_2112
; %bb.2092:
	s_movk_i32 s16, 0x80
	v_cmp_eq_u16_e32 vcc, s16, v10
	s_mov_b64 s[16:17], -1
                                        ; implicit-def: $sgpr25
	s_and_saveexec_b64 s[22:23], vcc
; %bb.2093:
	s_mov_b32 s25, 0x7f800001
	s_xor_b64 s[16:17], exec, -1
; %bb.2094:
	s_or_b64 exec, exec, s[22:23]
	s_and_b64 s[16:17], s[16:17], exec
	s_or_saveexec_b64 s[20:21], s[20:21]
	v_mov_b32_e32 v13, s25
	s_xor_b64 exec, exec, s[20:21]
	s_cbranch_execnz .LBB46_2113
.LBB46_2095:
	s_or_b64 exec, exec, s[20:21]
	s_and_saveexec_b64 s[20:21], s[16:17]
	s_cbranch_execz .LBB46_2097
.LBB46_2096:
	v_lshlrev_b32_e32 v13, 24, v10
	v_and_b32_e32 v10, 0xffff, v10
	v_and_b32_e32 v14, 7, v10
	v_ffbh_u32_e32 v16, v14
	v_min_u32_e32 v16, 32, v16
	v_subrev_u32_e32 v17, 28, v16
	v_bfe_u32 v15, v10, 3, 4
	v_lshlrev_b32_e32 v10, v17, v10
	v_sub_u32_e32 v16, 29, v16
	v_and_b32_e32 v10, 7, v10
	v_cmp_eq_u32_e32 vcc, 0, v15
	v_cndmask_b32_e32 v15, v15, v16, vcc
	v_cndmask_b32_e32 v10, v14, v10, vcc
	v_mov_b32_e32 v14, 0x3b800000
	v_lshlrev_b32_e32 v10, 20, v10
	v_and_b32_e32 v13, 0x80000000, v13
	v_lshl_add_u32 v14, v15, 23, v14
	v_or3_b32 v13, v13, v14, v10
.LBB46_2097:
	s_or_b64 exec, exec, s[20:21]
	v_bfe_u32 v10, v13, 16, 1
	s_movk_i32 s16, 0x7fff
	v_add3_u32 v10, v13, v10, s16
	v_lshrrev_b32_e32 v10, 16, v10
	v_mov_b32_e32 v14, 0x7fc0
	v_cmp_o_f32_e32 vcc, v13, v13
	v_cndmask_b32_e32 v10, v14, v10, vcc
.LBB46_2098:
	s_mov_b64 s[16:17], -1
.LBB46_2099:
	s_mov_b64 s[20:21], 0
.LBB46_2100:
	s_and_b64 vcc, exec, s[20:21]
	s_cbranch_vccz .LBB46_2133
; %bb.2101:
	s_waitcnt vmcnt(0)
	v_mov_b32_e32 v10, 22
	v_cmp_gt_i16_sdwa s[14:15], v5, v10 src0_sel:BYTE_0 src1_sel:DWORD
	s_and_b64 vcc, exec, s[14:15]
	s_cbranch_vccz .LBB46_2111
; %bb.2102:
	v_mov_b32_e32 v10, 24
	v_cmp_lt_i16_sdwa s[14:15], v5, v10 src0_sel:BYTE_0 src1_sel:DWORD
	s_and_b64 vcc, exec, s[14:15]
	s_cbranch_vccnz .LBB46_2114
; %bb.2103:
	v_cmp_gt_i16_sdwa s[14:15], v5, v10 src0_sel:BYTE_0 src1_sel:DWORD
	s_and_b64 vcc, exec, s[14:15]
	s_cbranch_vccz .LBB46_2115
; %bb.2104:
	global_load_ubyte v10, v[0:1], off
	s_movk_i32 s14, 0x7f
                                        ; implicit-def: $sgpr22
	s_waitcnt vmcnt(0)
	v_cmp_lt_i16_e32 vcc, s14, v10
	s_mov_b64 s[14:15], 0
	s_and_saveexec_b64 s[16:17], vcc
	s_xor_b64 s[16:17], exec, s[16:17]
	s_cbranch_execz .LBB46_2127
; %bb.2105:
	s_movk_i32 s14, 0x80
	v_cmp_eq_u16_e32 vcc, s14, v10
	s_mov_b64 s[14:15], -1
                                        ; implicit-def: $sgpr22
	s_and_saveexec_b64 s[20:21], vcc
; %bb.2106:
	s_mov_b32 s22, 0x7f800001
	s_xor_b64 s[14:15], exec, -1
; %bb.2107:
	s_or_b64 exec, exec, s[20:21]
	s_and_b64 s[14:15], s[14:15], exec
	s_or_saveexec_b64 s[16:17], s[16:17]
	v_mov_b32_e32 v13, s22
	s_xor_b64 exec, exec, s[16:17]
	s_cbranch_execnz .LBB46_2128
.LBB46_2108:
	s_or_b64 exec, exec, s[16:17]
	s_and_saveexec_b64 s[16:17], s[14:15]
	s_cbranch_execz .LBB46_2110
.LBB46_2109:
	v_lshlrev_b32_e32 v13, 24, v10
	v_and_b32_e32 v10, 0xffff, v10
	v_and_b32_e32 v14, 3, v10
	v_ffbh_u32_e32 v16, v14
	v_min_u32_e32 v16, 32, v16
	v_subrev_u32_e32 v17, 29, v16
	v_bfe_u32 v15, v10, 2, 5
	v_lshlrev_b32_e32 v10, v17, v10
	v_sub_u32_e32 v16, 30, v16
	v_and_b32_e32 v10, 3, v10
	v_cmp_eq_u32_e32 vcc, 0, v15
	v_cndmask_b32_e32 v15, v15, v16, vcc
	v_cndmask_b32_e32 v10, v14, v10, vcc
	v_mov_b32_e32 v14, 0x37800000
	v_lshlrev_b32_e32 v10, 21, v10
	v_and_b32_e32 v13, 0x80000000, v13
	v_lshl_add_u32 v14, v15, 23, v14
	v_or3_b32 v13, v13, v14, v10
.LBB46_2110:
	s_or_b64 exec, exec, s[16:17]
	v_bfe_u32 v10, v13, 16, 1
	s_movk_i32 s14, 0x7fff
	v_add3_u32 v10, v13, v10, s14
	v_lshrrev_b32_e32 v10, 16, v10
	v_mov_b32_e32 v14, 0x7fc0
	v_cmp_o_f32_e32 vcc, v13, v13
	v_cndmask_b32_e32 v10, v14, v10, vcc
	s_mov_b64 s[14:15], 0
	s_branch .LBB46_2116
.LBB46_2111:
	s_mov_b64 s[14:15], -1
                                        ; implicit-def: $vgpr10
	s_branch .LBB46_2122
.LBB46_2112:
	s_or_saveexec_b64 s[20:21], s[20:21]
	v_mov_b32_e32 v13, s25
	s_xor_b64 exec, exec, s[20:21]
	s_cbranch_execz .LBB46_2095
.LBB46_2113:
	v_cmp_ne_u16_e32 vcc, 0, v10
	s_andn2_b64 s[16:17], s[16:17], exec
	s_and_b64 s[22:23], vcc, exec
	v_mov_b32_e32 v13, 0
	s_or_b64 s[16:17], s[16:17], s[22:23]
	s_or_b64 exec, exec, s[20:21]
	s_and_saveexec_b64 s[20:21], s[16:17]
	s_cbranch_execnz .LBB46_2096
	s_branch .LBB46_2097
.LBB46_2114:
	s_mov_b64 s[14:15], -1
                                        ; implicit-def: $vgpr10
	s_branch .LBB46_2119
.LBB46_2115:
	s_mov_b64 s[14:15], -1
                                        ; implicit-def: $vgpr10
.LBB46_2116:
	s_and_b64 vcc, exec, s[14:15]
	s_cbranch_vccz .LBB46_2118
; %bb.2117:
	global_load_ubyte v10, v[0:1], off
	s_mov_b32 s14, 0x7f800000
	s_brev_b32 s15, 1
	s_movk_i32 s16, 0x7fff
	v_mov_b32_e32 v13, 0x7fc0
	s_waitcnt vmcnt(0)
	v_lshlrev_b32_e32 v10, 24, v10
	v_and_b32_e32 v14, 0x7f000000, v10
	v_ffbh_u32_e32 v15, v14
	v_min_u32_e32 v15, 32, v15
	v_sub_u32_e64 v15, v15, 4 clamp
	v_lshlrev_b32_e32 v17, v15, v14
	v_lshlrev_b32_e32 v15, 23, v15
	v_lshrrev_b32_e32 v17, 4, v17
	v_add_u32_e32 v16, 0x1000000, v14
	v_sub_u32_e32 v15, v17, v15
	v_ashrrev_i32_e32 v16, 8, v16
	v_add_u32_e32 v15, 0x3c000000, v15
	v_and_or_b32 v15, v16, s14, v15
	v_cmp_ne_u32_e32 vcc, 0, v14
	v_cndmask_b32_e32 v14, 0, v15, vcc
	v_and_or_b32 v10, v10, s15, v14
	v_bfe_u32 v14, v14, 16, 1
	v_add3_u32 v14, v10, v14, s16
	v_lshrrev_b32_e32 v14, 16, v14
	v_cmp_o_f32_e32 vcc, v10, v10
	v_cndmask_b32_e32 v10, v13, v14, vcc
.LBB46_2118:
	s_mov_b64 s[14:15], 0
.LBB46_2119:
	s_andn2_b64 vcc, exec, s[14:15]
	s_cbranch_vccnz .LBB46_2121
; %bb.2120:
	global_load_ubyte v10, v[0:1], off
	s_movk_i32 s14, 0x7f00
	s_brev_b32 s15, 16
	s_brev_b32 s16, 1
	s_movk_i32 s17, 0x7fff
	v_mov_b32_e32 v13, 0x7fc0
	s_waitcnt vmcnt(0)
	v_lshlrev_b16_e32 v14, 8, v10
	v_lshlrev_b32_e32 v10, 25, v10
	v_lshrrev_b32_e32 v15, 4, v10
	v_and_or_b32 v16, v14, s14, 0.5
	v_or_b32_e32 v15, 0x70000000, v15
	v_add_f32_e32 v16, -0.5, v16
	v_mul_f32_e32 v15, 0x7800000, v15
	v_cmp_gt_u32_e32 vcc, s15, v10
	v_bfe_i32 v14, v14, 0, 16
	v_cndmask_b32_e32 v10, v15, v16, vcc
	v_and_or_b32 v14, v14, s16, v10
	v_bfe_u32 v10, v10, 16, 1
	v_add3_u32 v10, v14, v10, s17
	v_lshrrev_b32_e32 v10, 16, v10
	v_cmp_o_f32_e32 vcc, v14, v14
	v_cndmask_b32_e32 v10, v13, v10, vcc
.LBB46_2121:
	s_mov_b64 s[14:15], 0
	s_mov_b64 s[16:17], -1
.LBB46_2122:
	s_andn2_b64 vcc, exec, s[14:15]
	s_mov_b64 s[14:15], 0
	s_cbranch_vccnz .LBB46_2133
; %bb.2123:
	v_mov_b32_e32 v10, 14
	v_cmp_gt_i16_sdwa s[14:15], v5, v10 src0_sel:BYTE_0 src1_sel:DWORD
	s_and_b64 vcc, exec, s[14:15]
	s_cbranch_vccz .LBB46_2126
; %bb.2124:
	v_mov_b32_e32 v10, 15
	v_cmp_eq_u16_sdwa s[0:1], v5, v10 src0_sel:BYTE_0 src1_sel:DWORD
	s_and_b64 vcc, exec, s[0:1]
	s_cbranch_vccz .LBB46_2129
; %bb.2125:
	global_load_ushort v10, v[0:1], off
	s_mov_b64 s[0:1], 0
	s_mov_b64 s[16:17], -1
	s_branch .LBB46_2130
.LBB46_2126:
	s_mov_b64 s[20:21], -1
                                        ; implicit-def: $vgpr10
	s_branch .LBB46_2131
.LBB46_2127:
	s_or_saveexec_b64 s[16:17], s[16:17]
	v_mov_b32_e32 v13, s22
	s_xor_b64 exec, exec, s[16:17]
	s_cbranch_execz .LBB46_2108
.LBB46_2128:
	v_cmp_ne_u16_e32 vcc, 0, v10
	s_andn2_b64 s[14:15], s[14:15], exec
	s_and_b64 s[20:21], vcc, exec
	v_mov_b32_e32 v13, 0
	s_or_b64 s[14:15], s[14:15], s[20:21]
	s_or_b64 exec, exec, s[16:17]
	s_and_saveexec_b64 s[16:17], s[14:15]
	s_cbranch_execnz .LBB46_2109
	s_branch .LBB46_2110
.LBB46_2129:
	s_mov_b64 s[0:1], -1
                                        ; implicit-def: $vgpr10
.LBB46_2130:
	s_mov_b64 s[20:21], 0
.LBB46_2131:
	s_mov_b64 s[14:15], 0
	s_and_b64 vcc, exec, s[20:21]
	s_cbranch_vccz .LBB46_2133
; %bb.2132:
	s_waitcnt vmcnt(0)
	v_mov_b32_e32 v10, 11
	v_cmp_ne_u16_sdwa s[0:1], v5, v10 src0_sel:BYTE_0 src1_sel:DWORD
	s_mov_b64 s[14:15], -1
                                        ; implicit-def: $vgpr10
.LBB46_2133:
	s_and_b64 vcc, exec, s[0:1]
	s_cbranch_vccnz .LBB46_2198
; %bb.2134:
	s_andn2_b64 vcc, exec, s[14:15]
	s_cbranch_vccnz .LBB46_2136
.LBB46_2135:
	global_load_ubyte v10, v[0:1], off
	s_mov_b64 s[16:17], -1
	s_waitcnt vmcnt(0)
	v_cmp_ne_u16_e32 vcc, 0, v10
	v_cndmask_b32_e64 v10, 0, 1.0, vcc
	v_lshrrev_b32_e32 v10, 16, v10
.LBB46_2136:
	s_mov_b64 s[0:1], 0
.LBB46_2137:
	s_and_b64 vcc, exec, s[0:1]
	s_cbranch_vccz .LBB46_2186
; %bb.2138:
	s_waitcnt vmcnt(0)
	v_mov_b32_e32 v10, 5
	v_cmp_lt_i16_sdwa s[0:1], v5, v10 src0_sel:BYTE_0 src1_sel:DWORD
	s_and_b64 vcc, exec, s[0:1]
	s_cbranch_vccnz .LBB46_2143
; %bb.2139:
	v_mov_b32_e32 v10, 8
	v_cmp_lt_i16_sdwa s[0:1], v5, v10 src0_sel:BYTE_0 src1_sel:DWORD
	s_and_b64 vcc, exec, s[0:1]
	s_cbranch_vccnz .LBB46_2144
; %bb.2140:
	;; [unrolled: 5-line block ×3, first 2 shown]
	v_cmp_gt_i16_sdwa s[0:1], v5, v10 src0_sel:BYTE_0 src1_sel:DWORD
	s_and_b64 vcc, exec, s[0:1]
	s_cbranch_vccz .LBB46_2146
; %bb.2142:
	global_load_dwordx2 v[14:15], v[0:1], off
	s_movk_i32 s0, 0x7fff
	v_mov_b32_e32 v10, 0x7fc0
	s_waitcnt vmcnt(0)
	v_cvt_f32_f64_e32 v13, v[14:15]
	v_bfe_u32 v14, v13, 16, 1
	v_add3_u32 v14, v13, v14, s0
	v_lshrrev_b32_e32 v14, 16, v14
	v_cmp_o_f32_e32 vcc, v13, v13
	v_cndmask_b32_e32 v10, v10, v14, vcc
	s_mov_b64 s[0:1], 0
	s_branch .LBB46_2147
.LBB46_2143:
	s_mov_b64 s[0:1], -1
                                        ; implicit-def: $vgpr10
	s_branch .LBB46_2165
.LBB46_2144:
	s_mov_b64 s[0:1], -1
                                        ; implicit-def: $vgpr10
	s_branch .LBB46_2153
.LBB46_2145:
	s_mov_b64 s[0:1], -1
                                        ; implicit-def: $vgpr10
	s_branch .LBB46_2150
.LBB46_2146:
	s_mov_b64 s[0:1], -1
                                        ; implicit-def: $vgpr10
.LBB46_2147:
	s_andn2_b64 vcc, exec, s[0:1]
	s_cbranch_vccnz .LBB46_2149
; %bb.2148:
	global_load_dword v10, v[0:1], off
	s_movk_i32 s0, 0x7fff
	v_mov_b32_e32 v13, 0x7fc0
	s_waitcnt vmcnt(0)
	v_bfe_u32 v14, v10, 16, 1
	v_add3_u32 v14, v10, v14, s0
	v_lshrrev_b32_e32 v14, 16, v14
	v_cmp_o_f32_e32 vcc, v10, v10
	v_cndmask_b32_e32 v10, v13, v14, vcc
.LBB46_2149:
	s_mov_b64 s[0:1], 0
.LBB46_2150:
	s_andn2_b64 vcc, exec, s[0:1]
	s_cbranch_vccnz .LBB46_2152
; %bb.2151:
	global_load_dword v10, v[0:1], off
	s_movk_i32 s0, 0x7fff
	v_mov_b32_e32 v14, 0x7fc0
	s_waitcnt vmcnt(0)
	v_cvt_f32_f16_e32 v13, v10
	v_cmp_o_f16_e32 vcc, v10, v10
	v_bfe_u32 v15, v13, 16, 1
	v_add3_u32 v13, v13, v15, s0
	v_lshrrev_b32_e32 v13, 16, v13
	v_cndmask_b32_e32 v10, v14, v13, vcc
.LBB46_2152:
	s_mov_b64 s[0:1], 0
.LBB46_2153:
	s_andn2_b64 vcc, exec, s[0:1]
	s_cbranch_vccnz .LBB46_2164
; %bb.2154:
	v_mov_b32_e32 v10, 6
	v_cmp_lt_i16_sdwa s[0:1], v5, v10 src0_sel:BYTE_0 src1_sel:DWORD
	s_and_b64 vcc, exec, s[0:1]
	s_cbranch_vccnz .LBB46_2157
; %bb.2155:
	v_cmp_gt_i16_sdwa s[0:1], v5, v10 src0_sel:BYTE_0 src1_sel:DWORD
	s_and_b64 vcc, exec, s[0:1]
	s_cbranch_vccz .LBB46_2158
; %bb.2156:
	global_load_dwordx2 v[14:15], v[0:1], off
	s_movk_i32 s0, 0x7fff
	v_mov_b32_e32 v10, 0x7fc0
	s_waitcnt vmcnt(0)
	v_cvt_f32_f64_e32 v13, v[14:15]
	v_bfe_u32 v14, v13, 16, 1
	v_add3_u32 v14, v13, v14, s0
	v_lshrrev_b32_e32 v14, 16, v14
	v_cmp_o_f32_e32 vcc, v13, v13
	v_cndmask_b32_e32 v10, v10, v14, vcc
	s_mov_b64 s[0:1], 0
	s_branch .LBB46_2159
.LBB46_2157:
	s_mov_b64 s[0:1], -1
                                        ; implicit-def: $vgpr10
	s_branch .LBB46_2162
.LBB46_2158:
	s_mov_b64 s[0:1], -1
                                        ; implicit-def: $vgpr10
.LBB46_2159:
	s_andn2_b64 vcc, exec, s[0:1]
	s_cbranch_vccnz .LBB46_2161
; %bb.2160:
	global_load_dword v10, v[0:1], off
	s_movk_i32 s0, 0x7fff
	v_mov_b32_e32 v13, 0x7fc0
	s_waitcnt vmcnt(0)
	v_bfe_u32 v14, v10, 16, 1
	v_add3_u32 v14, v10, v14, s0
	v_lshrrev_b32_e32 v14, 16, v14
	v_cmp_o_f32_e32 vcc, v10, v10
	v_cndmask_b32_e32 v10, v13, v14, vcc
.LBB46_2161:
	s_mov_b64 s[0:1], 0
.LBB46_2162:
	s_andn2_b64 vcc, exec, s[0:1]
	s_cbranch_vccnz .LBB46_2164
; %bb.2163:
	global_load_ushort v10, v[0:1], off
	s_movk_i32 s0, 0x7fff
	v_mov_b32_e32 v14, 0x7fc0
	s_waitcnt vmcnt(0)
	v_cvt_f32_f16_e32 v13, v10
	v_cmp_o_f16_e32 vcc, v10, v10
	v_bfe_u32 v15, v13, 16, 1
	v_add3_u32 v13, v13, v15, s0
	v_lshrrev_b32_e32 v13, 16, v13
	v_cndmask_b32_e32 v10, v14, v13, vcc
.LBB46_2164:
	s_mov_b64 s[0:1], 0
.LBB46_2165:
	s_andn2_b64 vcc, exec, s[0:1]
	s_cbranch_vccnz .LBB46_2185
; %bb.2166:
	v_mov_b32_e32 v10, 2
	v_cmp_lt_i16_sdwa s[0:1], v5, v10 src0_sel:BYTE_0 src1_sel:DWORD
	s_and_b64 vcc, exec, s[0:1]
	s_cbranch_vccnz .LBB46_2170
; %bb.2167:
	v_mov_b32_e32 v10, 3
	v_cmp_lt_i16_sdwa s[0:1], v5, v10 src0_sel:BYTE_0 src1_sel:DWORD
	s_and_b64 vcc, exec, s[0:1]
	s_cbranch_vccnz .LBB46_2171
; %bb.2168:
	v_cmp_gt_i16_sdwa s[0:1], v5, v10 src0_sel:BYTE_0 src1_sel:DWORD
	s_and_b64 vcc, exec, s[0:1]
	s_cbranch_vccz .LBB46_2172
; %bb.2169:
	global_load_dwordx2 v[14:15], v[0:1], off
	s_movk_i32 s0, 0x7fff
	s_waitcnt vmcnt(0)
	v_xor_b32_e32 v13, v14, v15
	v_ffbh_i32_e32 v10, v15
	v_ashrrev_i32_e32 v13, 31, v13
	v_add_u32_e32 v10, -1, v10
	v_add_u32_e32 v13, 32, v13
	v_min_u32_e32 v10, v10, v13
	v_lshlrev_b64 v[14:15], v10, v[14:15]
	v_min_u32_e32 v13, 1, v14
	v_or_b32_e32 v13, v15, v13
	v_cvt_f32_i32_e32 v13, v13
	v_sub_u32_e32 v10, 32, v10
	v_ldexp_f32 v10, v13, v10
	v_bfe_u32 v13, v10, 16, 1
	v_add3_u32 v10, v10, v13, s0
	v_lshrrev_b32_e32 v10, 16, v10
	s_mov_b64 s[0:1], 0
	s_branch .LBB46_2173
.LBB46_2170:
	s_mov_b64 s[0:1], -1
                                        ; implicit-def: $vgpr10
	s_branch .LBB46_2179
.LBB46_2171:
	s_mov_b64 s[0:1], -1
                                        ; implicit-def: $vgpr10
	s_branch .LBB46_2176
.LBB46_2172:
	s_mov_b64 s[0:1], -1
                                        ; implicit-def: $vgpr10
.LBB46_2173:
	s_andn2_b64 vcc, exec, s[0:1]
	s_cbranch_vccnz .LBB46_2175
; %bb.2174:
	global_load_dword v10, v[0:1], off
	s_movk_i32 s0, 0x7fff
	s_waitcnt vmcnt(0)
	v_cvt_f32_i32_e32 v10, v10
	v_bfe_u32 v13, v10, 16, 1
	v_add3_u32 v10, v10, v13, s0
	v_lshrrev_b32_e32 v10, 16, v10
.LBB46_2175:
	s_mov_b64 s[0:1], 0
.LBB46_2176:
	s_andn2_b64 vcc, exec, s[0:1]
	s_cbranch_vccnz .LBB46_2178
; %bb.2177:
	global_load_sshort v10, v[0:1], off
	s_movk_i32 s0, 0x7fff
	s_waitcnt vmcnt(0)
	v_cvt_f32_i32_e32 v10, v10
	v_bfe_u32 v13, v10, 16, 1
	v_add3_u32 v10, v10, v13, s0
	v_lshrrev_b32_e32 v10, 16, v10
.LBB46_2178:
	s_mov_b64 s[0:1], 0
.LBB46_2179:
	s_andn2_b64 vcc, exec, s[0:1]
	s_cbranch_vccnz .LBB46_2185
; %bb.2180:
	v_mov_b32_e32 v10, 0
	v_cmp_gt_i16_sdwa s[0:1], v5, v10 src0_sel:BYTE_0 src1_sel:DWORD
	s_and_b64 vcc, exec, s[0:1]
	s_cbranch_vccz .LBB46_2182
; %bb.2181:
	global_load_sbyte v10, v[0:1], off
	s_movk_i32 s0, 0x7fff
	s_waitcnt vmcnt(0)
	v_cvt_f32_i32_e32 v10, v10
	v_bfe_u32 v13, v10, 16, 1
	v_add3_u32 v10, v10, v13, s0
	v_lshrrev_b32_e32 v10, 16, v10
	s_mov_b64 s[0:1], 0
	s_branch .LBB46_2183
.LBB46_2182:
	s_mov_b64 s[0:1], -1
                                        ; implicit-def: $vgpr10
.LBB46_2183:
	s_andn2_b64 vcc, exec, s[0:1]
	s_cbranch_vccnz .LBB46_2185
; %bb.2184:
	global_load_ubyte v0, v[0:1], off
	s_movk_i32 s0, 0x7fff
	s_waitcnt vmcnt(0)
	v_cvt_f32_ubyte0_e32 v0, v0
	v_bfe_u32 v1, v0, 16, 1
	v_add3_u32 v0, v0, v1, s0
	v_lshrrev_b32_e32 v10, 16, v0
.LBB46_2185:
	s_mov_b64 s[16:17], -1
.LBB46_2186:
	s_andn2_b64 vcc, exec, s[16:17]
	s_cbranch_vccnz .LBB46_3032
; %bb.2187:
	v_add_u32_e32 v13, s24, v11
	v_ashrrev_i32_e32 v1, 31, v13
	v_mov_b32_e32 v11, s3
	v_add_co_u32_e32 v0, vcc, s2, v13
	v_addc_co_u32_e32 v1, vcc, v11, v1, vcc
	v_mov_b32_e32 v11, 11
	v_cmp_lt_i16_sdwa s[0:1], v4, v11 src0_sel:BYTE_0 src1_sel:DWORD
	s_and_b64 vcc, exec, s[0:1]
	s_cbranch_vccnz .LBB46_2194
; %bb.2188:
	v_mov_b32_e32 v11, 25
	v_cmp_gt_i16_sdwa s[0:1], v4, v11 src0_sel:BYTE_0 src1_sel:DWORD
	s_mov_b64 s[14:15], 0
	s_and_b64 vcc, exec, s[0:1]
	s_cbranch_vccz .LBB46_2195
; %bb.2189:
	v_mov_b32_e32 v11, 28
	v_cmp_gt_i16_sdwa s[0:1], v4, v11 src0_sel:BYTE_0 src1_sel:DWORD
	s_and_b64 vcc, exec, s[0:1]
	s_cbranch_vccz .LBB46_2196
; %bb.2190:
	v_mov_b32_e32 v11, 43
	v_cmp_gt_i16_sdwa s[0:1], v4, v11 src0_sel:BYTE_0 src1_sel:DWORD
	;; [unrolled: 5-line block ×3, first 2 shown]
	s_and_b64 vcc, exec, s[0:1]
	s_cbranch_vccz .LBB46_2199
; %bb.2192:
	v_mov_b32_e32 v11, 46
	v_cmp_eq_u16_sdwa s[0:1], v4, v11 src0_sel:BYTE_0 src1_sel:DWORD
	s_mov_b64 s[20:21], 0
	s_and_b64 vcc, exec, s[0:1]
	s_cbranch_vccz .LBB46_2202
; %bb.2193:
	global_load_dword v11, v[0:1], off
	s_mov_b64 s[0:1], 0
	s_mov_b64 s[16:17], -1
	s_branch .LBB46_2203
.LBB46_2194:
	s_mov_b64 s[0:1], -1
	s_mov_b64 s[16:17], 0
                                        ; implicit-def: $vgpr11
	s_branch .LBB46_2269
.LBB46_2195:
	s_mov_b64 s[20:21], -1
	s_mov_b64 s[16:17], 0
	s_mov_b64 s[0:1], 0
                                        ; implicit-def: $vgpr11
	s_branch .LBB46_2232
.LBB46_2196:
	s_mov_b64 s[20:21], -1
	s_mov_b64 s[16:17], 0
	s_mov_b64 s[0:1], 0
                                        ; implicit-def: $vgpr11
	s_branch .LBB46_2213
.LBB46_2197:
	s_mov_b64 s[20:21], -1
	s_mov_b64 s[16:17], 0
	s_mov_b64 s[0:1], 0
                                        ; implicit-def: $vgpr11
	s_branch .LBB46_2208
.LBB46_2198:
	s_trap 2
	s_or_b64 s[18:19], s[18:19], exec
                                        ; implicit-def: $vgpr10
	s_cbranch_execz .LBB46_2135
	s_branch .LBB46_2136
.LBB46_2199:
	s_mov_b64 s[20:21], -1
	s_mov_b64 s[16:17], 0
	s_mov_b64 s[0:1], 0
                                        ; implicit-def: $vgpr11
	s_branch .LBB46_2203
.LBB46_2200:
	s_or_saveexec_b64 s[44:45], s[44:45]
                                        ; implicit-def: $sgpr15
	s_xor_b64 exec, exec, s[44:45]
	s_cbranch_execz .LBB46_1085
.LBB46_2201:
	s_mov_b32 s15, 0x42800000
	v_add_f32_e64 v9, |v10|, s15
	v_and_b32_e32 v9, 0xff, v9
	v_cmp_ne_u32_e32 vcc, 0, v9
	s_andn2_b64 s[42:43], s[42:43], exec
	s_and_b64 s[46:47], vcc, exec
	s_mov_b32 s15, 0
	s_or_b64 s[42:43], s[42:43], s[46:47]
	s_or_b64 exec, exec, s[44:45]
	v_mov_b32_e32 v11, s15
	s_and_saveexec_b64 s[44:45], s[42:43]
	s_cbranch_execnz .LBB46_1086
	s_branch .LBB46_1087
.LBB46_2202:
	s_mov_b64 s[0:1], -1
                                        ; implicit-def: $vgpr11
	s_mov_b64 s[16:17], 0
.LBB46_2203:
	s_and_b64 vcc, exec, s[20:21]
	s_cbranch_vccz .LBB46_2207
; %bb.2204:
	s_waitcnt vmcnt(0)
	v_mov_b32_e32 v11, 44
	v_cmp_eq_u16_sdwa s[0:1], v4, v11 src0_sel:BYTE_0 src1_sel:DWORD
	s_and_b64 vcc, exec, s[0:1]
	s_cbranch_vccz .LBB46_2206
; %bb.2205:
	global_load_ubyte v11, v[0:1], off
	s_movk_i32 s16, 0xff
	v_mov_b32_e32 v14, 0x7f800001
	v_mov_b32_e32 v15, 0x400000
	;; [unrolled: 1-line block ×3, first 2 shown]
	s_mov_b64 s[0:1], 0
	s_waitcnt vmcnt(0)
	v_lshlrev_b32_e32 v17, 23, v11
	v_cmp_ne_u32_e32 vcc, s16, v11
	v_cndmask_b32_e32 v14, v14, v17, vcc
	v_cmp_ne_u32_e32 vcc, 0, v11
	v_cndmask_b32_e32 v11, v15, v14, vcc
	v_add_u32_e32 v14, 0x7fff, v11
	v_lshrrev_b32_e32 v14, 16, v14
	v_cmp_o_f32_e32 vcc, v11, v11
	v_cndmask_b32_e32 v11, v16, v14, vcc
	s_mov_b64 s[16:17], -1
	s_branch .LBB46_2207
.LBB46_2206:
	s_mov_b64 s[0:1], -1
                                        ; implicit-def: $vgpr11
.LBB46_2207:
	s_mov_b64 s[20:21], 0
.LBB46_2208:
	s_and_b64 vcc, exec, s[20:21]
	s_cbranch_vccz .LBB46_2212
; %bb.2209:
	s_waitcnt vmcnt(0)
	v_mov_b32_e32 v11, 29
	v_cmp_eq_u16_sdwa s[0:1], v4, v11 src0_sel:BYTE_0 src1_sel:DWORD
	s_and_b64 vcc, exec, s[0:1]
	s_cbranch_vccz .LBB46_2211
; %bb.2210:
	global_load_dwordx2 v[14:15], v[0:1], off
	s_movk_i32 s16, 0x7fff
	s_mov_b64 s[0:1], 0
	s_mov_b64 s[20:21], 0
	s_waitcnt vmcnt(0)
	v_ffbh_u32_e32 v11, v15
	v_min_u32_e32 v11, 32, v11
	v_lshlrev_b64 v[14:15], v11, v[14:15]
	v_min_u32_e32 v14, 1, v14
	v_or_b32_e32 v14, v15, v14
	v_cvt_f32_u32_e32 v14, v14
	v_sub_u32_e32 v11, 32, v11
	v_ldexp_f32 v11, v14, v11
	v_bfe_u32 v14, v11, 16, 1
	v_add3_u32 v11, v11, v14, s16
	v_lshrrev_b32_e32 v11, 16, v11
	s_mov_b64 s[16:17], -1
	s_branch .LBB46_2213
.LBB46_2211:
	s_mov_b64 s[0:1], -1
                                        ; implicit-def: $vgpr11
.LBB46_2212:
	s_mov_b64 s[20:21], 0
.LBB46_2213:
	s_and_b64 vcc, exec, s[20:21]
	s_cbranch_vccz .LBB46_2231
; %bb.2214:
	s_waitcnt vmcnt(0)
	v_mov_b32_e32 v11, 27
	v_cmp_lt_i16_sdwa s[16:17], v4, v11 src0_sel:BYTE_0 src1_sel:DWORD
	s_and_b64 vcc, exec, s[16:17]
	s_cbranch_vccnz .LBB46_2217
; %bb.2215:
	v_cmp_gt_i16_sdwa s[16:17], v4, v11 src0_sel:BYTE_0 src1_sel:DWORD
	s_and_b64 vcc, exec, s[16:17]
	s_cbranch_vccz .LBB46_2218
; %bb.2216:
	global_load_dword v11, v[0:1], off
	s_movk_i32 s16, 0x7fff
	s_waitcnt vmcnt(0)
	v_cvt_f32_u32_e32 v11, v11
	v_bfe_u32 v14, v11, 16, 1
	v_add3_u32 v11, v11, v14, s16
	v_lshrrev_b32_e32 v11, 16, v11
	s_mov_b64 s[16:17], 0
	s_branch .LBB46_2219
.LBB46_2217:
	s_mov_b64 s[16:17], -1
                                        ; implicit-def: $vgpr11
	s_branch .LBB46_2222
.LBB46_2218:
	s_mov_b64 s[16:17], -1
                                        ; implicit-def: $vgpr11
.LBB46_2219:
	s_andn2_b64 vcc, exec, s[16:17]
	s_cbranch_vccnz .LBB46_2221
; %bb.2220:
	global_load_ushort v11, v[0:1], off
	s_movk_i32 s16, 0x7fff
	s_waitcnt vmcnt(0)
	v_cvt_f32_u32_e32 v11, v11
	v_bfe_u32 v14, v11, 16, 1
	v_add3_u32 v11, v11, v14, s16
	v_lshrrev_b32_e32 v11, 16, v11
.LBB46_2221:
	s_mov_b64 s[16:17], 0
.LBB46_2222:
	s_andn2_b64 vcc, exec, s[16:17]
	s_cbranch_vccnz .LBB46_2230
; %bb.2223:
	global_load_ubyte v11, v[0:1], off
	s_movk_i32 s16, 0x7f
                                        ; implicit-def: $sgpr25
	s_waitcnt vmcnt(0)
	v_cmp_lt_i16_e32 vcc, s16, v11
	s_mov_b64 s[16:17], 0
	s_and_saveexec_b64 s[20:21], vcc
	s_xor_b64 s[20:21], exec, s[20:21]
	s_cbranch_execz .LBB46_2244
; %bb.2224:
	s_movk_i32 s16, 0x80
	v_cmp_eq_u16_e32 vcc, s16, v11
	s_mov_b64 s[16:17], -1
                                        ; implicit-def: $sgpr25
	s_and_saveexec_b64 s[22:23], vcc
; %bb.2225:
	s_mov_b32 s25, 0x7f800001
	s_xor_b64 s[16:17], exec, -1
; %bb.2226:
	s_or_b64 exec, exec, s[22:23]
	s_and_b64 s[16:17], s[16:17], exec
	s_or_saveexec_b64 s[20:21], s[20:21]
	v_mov_b32_e32 v14, s25
	s_xor_b64 exec, exec, s[20:21]
	s_cbranch_execnz .LBB46_2245
.LBB46_2227:
	s_or_b64 exec, exec, s[20:21]
	s_and_saveexec_b64 s[20:21], s[16:17]
	s_cbranch_execz .LBB46_2229
.LBB46_2228:
	v_lshlrev_b32_e32 v14, 24, v11
	v_and_b32_e32 v11, 0xffff, v11
	v_and_b32_e32 v15, 7, v11
	v_ffbh_u32_e32 v17, v15
	v_min_u32_e32 v17, 32, v17
	v_subrev_u32_e32 v18, 28, v17
	v_bfe_u32 v16, v11, 3, 4
	v_lshlrev_b32_e32 v11, v18, v11
	v_sub_u32_e32 v17, 29, v17
	v_and_b32_e32 v11, 7, v11
	v_cmp_eq_u32_e32 vcc, 0, v16
	v_cndmask_b32_e32 v16, v16, v17, vcc
	v_cndmask_b32_e32 v11, v15, v11, vcc
	v_mov_b32_e32 v15, 0x3b800000
	v_lshlrev_b32_e32 v11, 20, v11
	v_and_b32_e32 v14, 0x80000000, v14
	v_lshl_add_u32 v15, v16, 23, v15
	v_or3_b32 v14, v14, v15, v11
.LBB46_2229:
	s_or_b64 exec, exec, s[20:21]
	v_bfe_u32 v11, v14, 16, 1
	s_movk_i32 s16, 0x7fff
	v_add3_u32 v11, v14, v11, s16
	v_lshrrev_b32_e32 v11, 16, v11
	v_mov_b32_e32 v15, 0x7fc0
	v_cmp_o_f32_e32 vcc, v14, v14
	v_cndmask_b32_e32 v11, v15, v11, vcc
.LBB46_2230:
	s_mov_b64 s[16:17], -1
.LBB46_2231:
	s_mov_b64 s[20:21], 0
.LBB46_2232:
	s_and_b64 vcc, exec, s[20:21]
	s_cbranch_vccz .LBB46_2265
; %bb.2233:
	s_waitcnt vmcnt(0)
	v_mov_b32_e32 v11, 22
	v_cmp_gt_i16_sdwa s[14:15], v4, v11 src0_sel:BYTE_0 src1_sel:DWORD
	s_and_b64 vcc, exec, s[14:15]
	s_cbranch_vccz .LBB46_2243
; %bb.2234:
	v_mov_b32_e32 v11, 24
	v_cmp_lt_i16_sdwa s[14:15], v4, v11 src0_sel:BYTE_0 src1_sel:DWORD
	s_and_b64 vcc, exec, s[14:15]
	s_cbranch_vccnz .LBB46_2246
; %bb.2235:
	v_cmp_gt_i16_sdwa s[14:15], v4, v11 src0_sel:BYTE_0 src1_sel:DWORD
	s_and_b64 vcc, exec, s[14:15]
	s_cbranch_vccz .LBB46_2247
; %bb.2236:
	global_load_ubyte v11, v[0:1], off
	s_movk_i32 s14, 0x7f
                                        ; implicit-def: $sgpr22
	s_waitcnt vmcnt(0)
	v_cmp_lt_i16_e32 vcc, s14, v11
	s_mov_b64 s[14:15], 0
	s_and_saveexec_b64 s[16:17], vcc
	s_xor_b64 s[16:17], exec, s[16:17]
	s_cbranch_execz .LBB46_2259
; %bb.2237:
	s_movk_i32 s14, 0x80
	v_cmp_eq_u16_e32 vcc, s14, v11
	s_mov_b64 s[14:15], -1
                                        ; implicit-def: $sgpr22
	s_and_saveexec_b64 s[20:21], vcc
; %bb.2238:
	s_mov_b32 s22, 0x7f800001
	s_xor_b64 s[14:15], exec, -1
; %bb.2239:
	s_or_b64 exec, exec, s[20:21]
	s_and_b64 s[14:15], s[14:15], exec
	s_or_saveexec_b64 s[16:17], s[16:17]
	v_mov_b32_e32 v14, s22
	s_xor_b64 exec, exec, s[16:17]
	s_cbranch_execnz .LBB46_2260
.LBB46_2240:
	s_or_b64 exec, exec, s[16:17]
	s_and_saveexec_b64 s[16:17], s[14:15]
	s_cbranch_execz .LBB46_2242
.LBB46_2241:
	v_lshlrev_b32_e32 v14, 24, v11
	v_and_b32_e32 v11, 0xffff, v11
	v_and_b32_e32 v15, 3, v11
	v_ffbh_u32_e32 v17, v15
	v_min_u32_e32 v17, 32, v17
	v_subrev_u32_e32 v18, 29, v17
	v_bfe_u32 v16, v11, 2, 5
	v_lshlrev_b32_e32 v11, v18, v11
	v_sub_u32_e32 v17, 30, v17
	v_and_b32_e32 v11, 3, v11
	v_cmp_eq_u32_e32 vcc, 0, v16
	v_cndmask_b32_e32 v16, v16, v17, vcc
	v_cndmask_b32_e32 v11, v15, v11, vcc
	v_mov_b32_e32 v15, 0x37800000
	v_lshlrev_b32_e32 v11, 21, v11
	v_and_b32_e32 v14, 0x80000000, v14
	v_lshl_add_u32 v15, v16, 23, v15
	v_or3_b32 v14, v14, v15, v11
.LBB46_2242:
	s_or_b64 exec, exec, s[16:17]
	v_bfe_u32 v11, v14, 16, 1
	s_movk_i32 s14, 0x7fff
	v_add3_u32 v11, v14, v11, s14
	v_lshrrev_b32_e32 v11, 16, v11
	v_mov_b32_e32 v15, 0x7fc0
	v_cmp_o_f32_e32 vcc, v14, v14
	v_cndmask_b32_e32 v11, v15, v11, vcc
	s_mov_b64 s[14:15], 0
	s_branch .LBB46_2248
.LBB46_2243:
	s_mov_b64 s[14:15], -1
                                        ; implicit-def: $vgpr11
	s_branch .LBB46_2254
.LBB46_2244:
	s_or_saveexec_b64 s[20:21], s[20:21]
	v_mov_b32_e32 v14, s25
	s_xor_b64 exec, exec, s[20:21]
	s_cbranch_execz .LBB46_2227
.LBB46_2245:
	v_cmp_ne_u16_e32 vcc, 0, v11
	s_andn2_b64 s[16:17], s[16:17], exec
	s_and_b64 s[22:23], vcc, exec
	v_mov_b32_e32 v14, 0
	s_or_b64 s[16:17], s[16:17], s[22:23]
	s_or_b64 exec, exec, s[20:21]
	s_and_saveexec_b64 s[20:21], s[16:17]
	s_cbranch_execnz .LBB46_2228
	s_branch .LBB46_2229
.LBB46_2246:
	s_mov_b64 s[14:15], -1
                                        ; implicit-def: $vgpr11
	s_branch .LBB46_2251
.LBB46_2247:
	s_mov_b64 s[14:15], -1
                                        ; implicit-def: $vgpr11
.LBB46_2248:
	s_and_b64 vcc, exec, s[14:15]
	s_cbranch_vccz .LBB46_2250
; %bb.2249:
	global_load_ubyte v11, v[0:1], off
	s_mov_b32 s14, 0x7f800000
	s_brev_b32 s15, 1
	s_movk_i32 s16, 0x7fff
	v_mov_b32_e32 v14, 0x7fc0
	s_waitcnt vmcnt(0)
	v_lshlrev_b32_e32 v11, 24, v11
	v_and_b32_e32 v15, 0x7f000000, v11
	v_ffbh_u32_e32 v16, v15
	v_min_u32_e32 v16, 32, v16
	v_sub_u32_e64 v16, v16, 4 clamp
	v_lshlrev_b32_e32 v18, v16, v15
	v_lshlrev_b32_e32 v16, 23, v16
	v_lshrrev_b32_e32 v18, 4, v18
	v_add_u32_e32 v17, 0x1000000, v15
	v_sub_u32_e32 v16, v18, v16
	v_ashrrev_i32_e32 v17, 8, v17
	v_add_u32_e32 v16, 0x3c000000, v16
	v_and_or_b32 v16, v17, s14, v16
	v_cmp_ne_u32_e32 vcc, 0, v15
	v_cndmask_b32_e32 v15, 0, v16, vcc
	v_and_or_b32 v11, v11, s15, v15
	v_bfe_u32 v15, v15, 16, 1
	v_add3_u32 v15, v11, v15, s16
	v_lshrrev_b32_e32 v15, 16, v15
	v_cmp_o_f32_e32 vcc, v11, v11
	v_cndmask_b32_e32 v11, v14, v15, vcc
.LBB46_2250:
	s_mov_b64 s[14:15], 0
.LBB46_2251:
	s_andn2_b64 vcc, exec, s[14:15]
	s_cbranch_vccnz .LBB46_2253
; %bb.2252:
	global_load_ubyte v11, v[0:1], off
	s_movk_i32 s14, 0x7f00
	s_brev_b32 s15, 16
	s_brev_b32 s16, 1
	s_movk_i32 s17, 0x7fff
	v_mov_b32_e32 v14, 0x7fc0
	s_waitcnt vmcnt(0)
	v_lshlrev_b16_e32 v15, 8, v11
	v_lshlrev_b32_e32 v11, 25, v11
	v_lshrrev_b32_e32 v16, 4, v11
	v_and_or_b32 v17, v15, s14, 0.5
	v_or_b32_e32 v16, 0x70000000, v16
	v_add_f32_e32 v17, -0.5, v17
	v_mul_f32_e32 v16, 0x7800000, v16
	v_cmp_gt_u32_e32 vcc, s15, v11
	v_bfe_i32 v15, v15, 0, 16
	v_cndmask_b32_e32 v11, v16, v17, vcc
	v_and_or_b32 v15, v15, s16, v11
	v_bfe_u32 v11, v11, 16, 1
	v_add3_u32 v11, v15, v11, s17
	v_lshrrev_b32_e32 v11, 16, v11
	v_cmp_o_f32_e32 vcc, v15, v15
	v_cndmask_b32_e32 v11, v14, v11, vcc
.LBB46_2253:
	s_mov_b64 s[14:15], 0
	s_mov_b64 s[16:17], -1
.LBB46_2254:
	s_andn2_b64 vcc, exec, s[14:15]
	s_mov_b64 s[14:15], 0
	s_cbranch_vccnz .LBB46_2265
; %bb.2255:
	v_mov_b32_e32 v11, 14
	v_cmp_gt_i16_sdwa s[14:15], v4, v11 src0_sel:BYTE_0 src1_sel:DWORD
	s_and_b64 vcc, exec, s[14:15]
	s_cbranch_vccz .LBB46_2258
; %bb.2256:
	v_mov_b32_e32 v11, 15
	v_cmp_eq_u16_sdwa s[0:1], v4, v11 src0_sel:BYTE_0 src1_sel:DWORD
	s_and_b64 vcc, exec, s[0:1]
	s_cbranch_vccz .LBB46_2261
; %bb.2257:
	global_load_ushort v11, v[0:1], off
	s_mov_b64 s[0:1], 0
	s_mov_b64 s[16:17], -1
	s_branch .LBB46_2262
.LBB46_2258:
	s_mov_b64 s[20:21], -1
                                        ; implicit-def: $vgpr11
	s_branch .LBB46_2263
.LBB46_2259:
	s_or_saveexec_b64 s[16:17], s[16:17]
	v_mov_b32_e32 v14, s22
	s_xor_b64 exec, exec, s[16:17]
	s_cbranch_execz .LBB46_2240
.LBB46_2260:
	v_cmp_ne_u16_e32 vcc, 0, v11
	s_andn2_b64 s[14:15], s[14:15], exec
	s_and_b64 s[20:21], vcc, exec
	v_mov_b32_e32 v14, 0
	s_or_b64 s[14:15], s[14:15], s[20:21]
	s_or_b64 exec, exec, s[16:17]
	s_and_saveexec_b64 s[16:17], s[14:15]
	s_cbranch_execnz .LBB46_2241
	s_branch .LBB46_2242
.LBB46_2261:
	s_mov_b64 s[0:1], -1
                                        ; implicit-def: $vgpr11
.LBB46_2262:
	s_mov_b64 s[20:21], 0
.LBB46_2263:
	s_mov_b64 s[14:15], 0
	s_and_b64 vcc, exec, s[20:21]
	s_cbranch_vccz .LBB46_2265
; %bb.2264:
	s_waitcnt vmcnt(0)
	v_mov_b32_e32 v11, 11
	v_cmp_ne_u16_sdwa s[0:1], v4, v11 src0_sel:BYTE_0 src1_sel:DWORD
	s_mov_b64 s[14:15], -1
                                        ; implicit-def: $vgpr11
.LBB46_2265:
	s_and_b64 vcc, exec, s[0:1]
	s_cbranch_vccnz .LBB46_2330
; %bb.2266:
	s_andn2_b64 vcc, exec, s[14:15]
	s_cbranch_vccnz .LBB46_2268
.LBB46_2267:
	global_load_ubyte v11, v[0:1], off
	s_mov_b64 s[16:17], -1
	s_waitcnt vmcnt(0)
	v_cmp_ne_u16_e32 vcc, 0, v11
	v_cndmask_b32_e64 v11, 0, 1.0, vcc
	v_lshrrev_b32_e32 v11, 16, v11
.LBB46_2268:
	s_mov_b64 s[0:1], 0
.LBB46_2269:
	s_and_b64 vcc, exec, s[0:1]
	s_cbranch_vccz .LBB46_2318
; %bb.2270:
	s_waitcnt vmcnt(0)
	v_mov_b32_e32 v11, 5
	v_cmp_lt_i16_sdwa s[0:1], v4, v11 src0_sel:BYTE_0 src1_sel:DWORD
	s_and_b64 vcc, exec, s[0:1]
	s_cbranch_vccnz .LBB46_2275
; %bb.2271:
	v_mov_b32_e32 v11, 8
	v_cmp_lt_i16_sdwa s[0:1], v4, v11 src0_sel:BYTE_0 src1_sel:DWORD
	s_and_b64 vcc, exec, s[0:1]
	s_cbranch_vccnz .LBB46_2276
; %bb.2272:
	;; [unrolled: 5-line block ×3, first 2 shown]
	v_cmp_gt_i16_sdwa s[0:1], v4, v11 src0_sel:BYTE_0 src1_sel:DWORD
	s_and_b64 vcc, exec, s[0:1]
	s_cbranch_vccz .LBB46_2278
; %bb.2274:
	global_load_dwordx2 v[14:15], v[0:1], off
	s_movk_i32 s0, 0x7fff
	v_mov_b32_e32 v11, 0x7fc0
	s_waitcnt vmcnt(0)
	v_cvt_f32_f64_e32 v14, v[14:15]
	v_bfe_u32 v15, v14, 16, 1
	v_add3_u32 v15, v14, v15, s0
	v_lshrrev_b32_e32 v15, 16, v15
	v_cmp_o_f32_e32 vcc, v14, v14
	v_cndmask_b32_e32 v11, v11, v15, vcc
	s_mov_b64 s[0:1], 0
	s_branch .LBB46_2279
.LBB46_2275:
	s_mov_b64 s[0:1], -1
                                        ; implicit-def: $vgpr11
	s_branch .LBB46_2297
.LBB46_2276:
	s_mov_b64 s[0:1], -1
                                        ; implicit-def: $vgpr11
	s_branch .LBB46_2285
.LBB46_2277:
	s_mov_b64 s[0:1], -1
                                        ; implicit-def: $vgpr11
	s_branch .LBB46_2282
.LBB46_2278:
	s_mov_b64 s[0:1], -1
                                        ; implicit-def: $vgpr11
.LBB46_2279:
	s_andn2_b64 vcc, exec, s[0:1]
	s_cbranch_vccnz .LBB46_2281
; %bb.2280:
	global_load_dword v11, v[0:1], off
	s_movk_i32 s0, 0x7fff
	v_mov_b32_e32 v14, 0x7fc0
	s_waitcnt vmcnt(0)
	v_bfe_u32 v15, v11, 16, 1
	v_add3_u32 v15, v11, v15, s0
	v_lshrrev_b32_e32 v15, 16, v15
	v_cmp_o_f32_e32 vcc, v11, v11
	v_cndmask_b32_e32 v11, v14, v15, vcc
.LBB46_2281:
	s_mov_b64 s[0:1], 0
.LBB46_2282:
	s_andn2_b64 vcc, exec, s[0:1]
	s_cbranch_vccnz .LBB46_2284
; %bb.2283:
	global_load_dword v11, v[0:1], off
	s_movk_i32 s0, 0x7fff
	v_mov_b32_e32 v15, 0x7fc0
	s_waitcnt vmcnt(0)
	v_cvt_f32_f16_e32 v14, v11
	v_cmp_o_f16_e32 vcc, v11, v11
	v_bfe_u32 v16, v14, 16, 1
	v_add3_u32 v14, v14, v16, s0
	v_lshrrev_b32_e32 v14, 16, v14
	v_cndmask_b32_e32 v11, v15, v14, vcc
.LBB46_2284:
	s_mov_b64 s[0:1], 0
.LBB46_2285:
	s_andn2_b64 vcc, exec, s[0:1]
	s_cbranch_vccnz .LBB46_2296
; %bb.2286:
	v_mov_b32_e32 v11, 6
	v_cmp_lt_i16_sdwa s[0:1], v4, v11 src0_sel:BYTE_0 src1_sel:DWORD
	s_and_b64 vcc, exec, s[0:1]
	s_cbranch_vccnz .LBB46_2289
; %bb.2287:
	v_cmp_gt_i16_sdwa s[0:1], v4, v11 src0_sel:BYTE_0 src1_sel:DWORD
	s_and_b64 vcc, exec, s[0:1]
	s_cbranch_vccz .LBB46_2290
; %bb.2288:
	global_load_dwordx2 v[14:15], v[0:1], off
	s_movk_i32 s0, 0x7fff
	v_mov_b32_e32 v11, 0x7fc0
	s_waitcnt vmcnt(0)
	v_cvt_f32_f64_e32 v14, v[14:15]
	v_bfe_u32 v15, v14, 16, 1
	v_add3_u32 v15, v14, v15, s0
	v_lshrrev_b32_e32 v15, 16, v15
	v_cmp_o_f32_e32 vcc, v14, v14
	v_cndmask_b32_e32 v11, v11, v15, vcc
	s_mov_b64 s[0:1], 0
	s_branch .LBB46_2291
.LBB46_2289:
	s_mov_b64 s[0:1], -1
                                        ; implicit-def: $vgpr11
	s_branch .LBB46_2294
.LBB46_2290:
	s_mov_b64 s[0:1], -1
                                        ; implicit-def: $vgpr11
.LBB46_2291:
	s_andn2_b64 vcc, exec, s[0:1]
	s_cbranch_vccnz .LBB46_2293
; %bb.2292:
	global_load_dword v11, v[0:1], off
	s_movk_i32 s0, 0x7fff
	v_mov_b32_e32 v14, 0x7fc0
	s_waitcnt vmcnt(0)
	v_bfe_u32 v15, v11, 16, 1
	v_add3_u32 v15, v11, v15, s0
	v_lshrrev_b32_e32 v15, 16, v15
	v_cmp_o_f32_e32 vcc, v11, v11
	v_cndmask_b32_e32 v11, v14, v15, vcc
.LBB46_2293:
	s_mov_b64 s[0:1], 0
.LBB46_2294:
	s_andn2_b64 vcc, exec, s[0:1]
	s_cbranch_vccnz .LBB46_2296
; %bb.2295:
	global_load_ushort v11, v[0:1], off
	s_movk_i32 s0, 0x7fff
	v_mov_b32_e32 v15, 0x7fc0
	s_waitcnt vmcnt(0)
	v_cvt_f32_f16_e32 v14, v11
	v_cmp_o_f16_e32 vcc, v11, v11
	v_bfe_u32 v16, v14, 16, 1
	v_add3_u32 v14, v14, v16, s0
	v_lshrrev_b32_e32 v14, 16, v14
	v_cndmask_b32_e32 v11, v15, v14, vcc
.LBB46_2296:
	s_mov_b64 s[0:1], 0
.LBB46_2297:
	s_andn2_b64 vcc, exec, s[0:1]
	s_cbranch_vccnz .LBB46_2317
; %bb.2298:
	v_mov_b32_e32 v11, 2
	v_cmp_lt_i16_sdwa s[0:1], v4, v11 src0_sel:BYTE_0 src1_sel:DWORD
	s_and_b64 vcc, exec, s[0:1]
	s_cbranch_vccnz .LBB46_2302
; %bb.2299:
	v_mov_b32_e32 v11, 3
	v_cmp_lt_i16_sdwa s[0:1], v4, v11 src0_sel:BYTE_0 src1_sel:DWORD
	s_and_b64 vcc, exec, s[0:1]
	s_cbranch_vccnz .LBB46_2303
; %bb.2300:
	v_cmp_gt_i16_sdwa s[0:1], v4, v11 src0_sel:BYTE_0 src1_sel:DWORD
	s_and_b64 vcc, exec, s[0:1]
	s_cbranch_vccz .LBB46_2304
; %bb.2301:
	global_load_dwordx2 v[14:15], v[0:1], off
	s_movk_i32 s0, 0x7fff
	s_waitcnt vmcnt(0)
	v_xor_b32_e32 v16, v14, v15
	v_ffbh_i32_e32 v11, v15
	v_ashrrev_i32_e32 v16, 31, v16
	v_add_u32_e32 v11, -1, v11
	v_add_u32_e32 v16, 32, v16
	v_min_u32_e32 v11, v11, v16
	v_lshlrev_b64 v[14:15], v11, v[14:15]
	v_min_u32_e32 v14, 1, v14
	v_or_b32_e32 v14, v15, v14
	v_cvt_f32_i32_e32 v14, v14
	v_sub_u32_e32 v11, 32, v11
	v_ldexp_f32 v11, v14, v11
	v_bfe_u32 v14, v11, 16, 1
	v_add3_u32 v11, v11, v14, s0
	v_lshrrev_b32_e32 v11, 16, v11
	s_mov_b64 s[0:1], 0
	s_branch .LBB46_2305
.LBB46_2302:
	s_mov_b64 s[0:1], -1
                                        ; implicit-def: $vgpr11
	s_branch .LBB46_2311
.LBB46_2303:
	s_mov_b64 s[0:1], -1
                                        ; implicit-def: $vgpr11
	s_branch .LBB46_2308
.LBB46_2304:
	s_mov_b64 s[0:1], -1
                                        ; implicit-def: $vgpr11
.LBB46_2305:
	s_andn2_b64 vcc, exec, s[0:1]
	s_cbranch_vccnz .LBB46_2307
; %bb.2306:
	global_load_dword v11, v[0:1], off
	s_movk_i32 s0, 0x7fff
	s_waitcnt vmcnt(0)
	v_cvt_f32_i32_e32 v11, v11
	v_bfe_u32 v14, v11, 16, 1
	v_add3_u32 v11, v11, v14, s0
	v_lshrrev_b32_e32 v11, 16, v11
.LBB46_2307:
	s_mov_b64 s[0:1], 0
.LBB46_2308:
	s_andn2_b64 vcc, exec, s[0:1]
	s_cbranch_vccnz .LBB46_2310
; %bb.2309:
	global_load_sshort v11, v[0:1], off
	s_movk_i32 s0, 0x7fff
	s_waitcnt vmcnt(0)
	v_cvt_f32_i32_e32 v11, v11
	v_bfe_u32 v14, v11, 16, 1
	v_add3_u32 v11, v11, v14, s0
	v_lshrrev_b32_e32 v11, 16, v11
.LBB46_2310:
	s_mov_b64 s[0:1], 0
.LBB46_2311:
	s_andn2_b64 vcc, exec, s[0:1]
	s_cbranch_vccnz .LBB46_2317
; %bb.2312:
	v_mov_b32_e32 v11, 0
	v_cmp_gt_i16_sdwa s[0:1], v4, v11 src0_sel:BYTE_0 src1_sel:DWORD
	s_and_b64 vcc, exec, s[0:1]
	s_cbranch_vccz .LBB46_2314
; %bb.2313:
	global_load_sbyte v11, v[0:1], off
	s_movk_i32 s0, 0x7fff
	s_waitcnt vmcnt(0)
	v_cvt_f32_i32_e32 v11, v11
	v_bfe_u32 v14, v11, 16, 1
	v_add3_u32 v11, v11, v14, s0
	v_lshrrev_b32_e32 v11, 16, v11
	s_mov_b64 s[0:1], 0
	s_branch .LBB46_2315
.LBB46_2314:
	s_mov_b64 s[0:1], -1
                                        ; implicit-def: $vgpr11
.LBB46_2315:
	s_andn2_b64 vcc, exec, s[0:1]
	s_cbranch_vccnz .LBB46_2317
; %bb.2316:
	global_load_ubyte v0, v[0:1], off
	s_movk_i32 s0, 0x7fff
	s_waitcnt vmcnt(0)
	v_cvt_f32_ubyte0_e32 v0, v0
	v_bfe_u32 v1, v0, 16, 1
	v_add3_u32 v0, v0, v1, s0
	v_lshrrev_b32_e32 v11, 16, v0
.LBB46_2317:
	s_mov_b64 s[16:17], -1
.LBB46_2318:
	s_andn2_b64 vcc, exec, s[16:17]
	s_cbranch_vccnz .LBB46_3032
; %bb.2319:
	v_add_u32_e32 v0, s13, v12
	v_ashrrev_i32_e32 v1, 31, v0
	v_mov_b32_e32 v12, s11
	v_add_co_u32_e32 v0, vcc, s10, v0
	v_addc_co_u32_e32 v1, vcc, v12, v1, vcc
	v_mov_b32_e32 v12, 11
	v_cmp_lt_i16_sdwa s[0:1], v5, v12 src0_sel:BYTE_0 src1_sel:DWORD
	s_and_b64 vcc, exec, s[0:1]
	s_cbranch_vccnz .LBB46_2326
; %bb.2320:
	v_mov_b32_e32 v12, 25
	v_cmp_gt_i16_sdwa s[0:1], v5, v12 src0_sel:BYTE_0 src1_sel:DWORD
	s_mov_b64 s[10:11], 0
	s_and_b64 vcc, exec, s[0:1]
	s_cbranch_vccz .LBB46_2327
; %bb.2321:
	v_mov_b32_e32 v12, 28
	v_cmp_gt_i16_sdwa s[0:1], v5, v12 src0_sel:BYTE_0 src1_sel:DWORD
	s_and_b64 vcc, exec, s[0:1]
	s_cbranch_vccz .LBB46_2328
; %bb.2322:
	v_mov_b32_e32 v12, 43
	v_cmp_gt_i16_sdwa s[0:1], v5, v12 src0_sel:BYTE_0 src1_sel:DWORD
	;; [unrolled: 5-line block ×3, first 2 shown]
	s_and_b64 vcc, exec, s[0:1]
	s_cbranch_vccz .LBB46_2331
; %bb.2324:
	v_mov_b32_e32 v12, 46
	v_cmp_eq_u16_sdwa s[0:1], v5, v12 src0_sel:BYTE_0 src1_sel:DWORD
	s_mov_b64 s[16:17], 0
	s_and_b64 vcc, exec, s[0:1]
	s_cbranch_vccz .LBB46_2332
; %bb.2325:
	global_load_dword v12, v[0:1], off
	s_mov_b64 s[0:1], 0
	s_mov_b64 s[14:15], -1
	s_branch .LBB46_2333
.LBB46_2326:
	s_mov_b64 s[0:1], -1
	s_mov_b64 s[14:15], 0
                                        ; implicit-def: $vgpr12
	s_branch .LBB46_2399
.LBB46_2327:
	s_mov_b64 s[16:17], -1
	s_mov_b64 s[14:15], 0
	s_mov_b64 s[0:1], 0
                                        ; implicit-def: $vgpr12
	s_branch .LBB46_2362
.LBB46_2328:
	s_mov_b64 s[16:17], -1
	s_mov_b64 s[14:15], 0
	s_mov_b64 s[0:1], 0
                                        ; implicit-def: $vgpr12
	s_branch .LBB46_2343
.LBB46_2329:
	s_mov_b64 s[16:17], -1
	s_mov_b64 s[14:15], 0
	s_mov_b64 s[0:1], 0
                                        ; implicit-def: $vgpr12
	s_branch .LBB46_2338
.LBB46_2330:
	s_trap 2
	s_or_b64 s[18:19], s[18:19], exec
                                        ; implicit-def: $vgpr11
	s_cbranch_execz .LBB46_2267
	s_branch .LBB46_2268
.LBB46_2331:
	s_mov_b64 s[16:17], -1
	s_mov_b64 s[14:15], 0
	s_mov_b64 s[0:1], 0
                                        ; implicit-def: $vgpr12
	s_branch .LBB46_2333
.LBB46_2332:
	s_mov_b64 s[0:1], -1
                                        ; implicit-def: $vgpr12
	s_mov_b64 s[14:15], 0
.LBB46_2333:
	s_and_b64 vcc, exec, s[16:17]
	s_cbranch_vccz .LBB46_2337
; %bb.2334:
	s_waitcnt vmcnt(0)
	v_mov_b32_e32 v12, 44
	v_cmp_eq_u16_sdwa s[0:1], v5, v12 src0_sel:BYTE_0 src1_sel:DWORD
	s_and_b64 vcc, exec, s[0:1]
	s_cbranch_vccz .LBB46_2336
; %bb.2335:
	global_load_ubyte v12, v[0:1], off
	s_movk_i32 s13, 0xff
	v_mov_b32_e32 v14, 0x7f800001
	v_mov_b32_e32 v15, 0x400000
	;; [unrolled: 1-line block ×3, first 2 shown]
	s_mov_b64 s[0:1], 0
	s_mov_b64 s[14:15], -1
	s_waitcnt vmcnt(0)
	v_lshlrev_b32_e32 v17, 23, v12
	v_cmp_ne_u32_e32 vcc, s13, v12
	v_cndmask_b32_e32 v14, v14, v17, vcc
	v_cmp_ne_u32_e32 vcc, 0, v12
	v_cndmask_b32_e32 v12, v15, v14, vcc
	v_add_u32_e32 v14, 0x7fff, v12
	v_lshrrev_b32_e32 v14, 16, v14
	v_cmp_o_f32_e32 vcc, v12, v12
	v_cndmask_b32_e32 v12, v16, v14, vcc
	s_branch .LBB46_2337
.LBB46_2336:
	s_mov_b64 s[0:1], -1
                                        ; implicit-def: $vgpr12
.LBB46_2337:
	s_mov_b64 s[16:17], 0
.LBB46_2338:
	s_and_b64 vcc, exec, s[16:17]
	s_cbranch_vccz .LBB46_2342
; %bb.2339:
	s_waitcnt vmcnt(0)
	v_mov_b32_e32 v12, 29
	v_cmp_eq_u16_sdwa s[0:1], v5, v12 src0_sel:BYTE_0 src1_sel:DWORD
	s_and_b64 vcc, exec, s[0:1]
	s_cbranch_vccz .LBB46_2341
; %bb.2340:
	global_load_dwordx2 v[14:15], v[0:1], off
	s_movk_i32 s13, 0x7fff
	s_mov_b64 s[0:1], 0
	s_mov_b64 s[14:15], -1
	s_mov_b64 s[16:17], 0
	s_waitcnt vmcnt(0)
	v_ffbh_u32_e32 v12, v15
	v_min_u32_e32 v12, 32, v12
	v_lshlrev_b64 v[14:15], v12, v[14:15]
	v_min_u32_e32 v14, 1, v14
	v_or_b32_e32 v14, v15, v14
	v_cvt_f32_u32_e32 v14, v14
	v_sub_u32_e32 v12, 32, v12
	v_ldexp_f32 v12, v14, v12
	v_bfe_u32 v14, v12, 16, 1
	v_add3_u32 v12, v12, v14, s13
	v_lshrrev_b32_e32 v12, 16, v12
	s_branch .LBB46_2343
.LBB46_2341:
	s_mov_b64 s[0:1], -1
                                        ; implicit-def: $vgpr12
.LBB46_2342:
	s_mov_b64 s[16:17], 0
.LBB46_2343:
	s_and_b64 vcc, exec, s[16:17]
	s_cbranch_vccz .LBB46_2361
; %bb.2344:
	s_waitcnt vmcnt(0)
	v_mov_b32_e32 v12, 27
	v_cmp_lt_i16_sdwa s[14:15], v5, v12 src0_sel:BYTE_0 src1_sel:DWORD
	s_and_b64 vcc, exec, s[14:15]
	s_cbranch_vccnz .LBB46_2347
; %bb.2345:
	v_cmp_gt_i16_sdwa s[14:15], v5, v12 src0_sel:BYTE_0 src1_sel:DWORD
	s_and_b64 vcc, exec, s[14:15]
	s_cbranch_vccz .LBB46_2348
; %bb.2346:
	global_load_dword v12, v[0:1], off
	s_movk_i32 s13, 0x7fff
	s_mov_b64 s[14:15], 0
	s_waitcnt vmcnt(0)
	v_cvt_f32_u32_e32 v12, v12
	v_bfe_u32 v14, v12, 16, 1
	v_add3_u32 v12, v12, v14, s13
	v_lshrrev_b32_e32 v12, 16, v12
	s_branch .LBB46_2349
.LBB46_2347:
	s_mov_b64 s[14:15], -1
                                        ; implicit-def: $vgpr12
	s_branch .LBB46_2352
.LBB46_2348:
	s_mov_b64 s[14:15], -1
                                        ; implicit-def: $vgpr12
.LBB46_2349:
	s_andn2_b64 vcc, exec, s[14:15]
	s_cbranch_vccnz .LBB46_2351
; %bb.2350:
	global_load_ushort v12, v[0:1], off
	s_movk_i32 s13, 0x7fff
	s_waitcnt vmcnt(0)
	v_cvt_f32_u32_e32 v12, v12
	v_bfe_u32 v14, v12, 16, 1
	v_add3_u32 v12, v12, v14, s13
	v_lshrrev_b32_e32 v12, 16, v12
.LBB46_2351:
	s_mov_b64 s[14:15], 0
.LBB46_2352:
	s_andn2_b64 vcc, exec, s[14:15]
	s_cbranch_vccnz .LBB46_2360
; %bb.2353:
	global_load_ubyte v12, v[0:1], off
	s_movk_i32 s13, 0x7f
	s_mov_b64 s[14:15], 0
	s_waitcnt vmcnt(0)
	v_cmp_lt_i16_e32 vcc, s13, v12
                                        ; implicit-def: $sgpr13
	s_and_saveexec_b64 s[16:17], vcc
	s_xor_b64 s[16:17], exec, s[16:17]
	s_cbranch_execz .LBB46_2374
; %bb.2354:
	s_movk_i32 s13, 0x80
	v_cmp_eq_u16_e32 vcc, s13, v12
	s_mov_b64 s[14:15], -1
                                        ; implicit-def: $sgpr13
	s_and_saveexec_b64 s[20:21], vcc
; %bb.2355:
	s_mov_b32 s13, 0x7f800001
	s_xor_b64 s[14:15], exec, -1
; %bb.2356:
	s_or_b64 exec, exec, s[20:21]
	s_and_b64 s[14:15], s[14:15], exec
	s_or_saveexec_b64 s[16:17], s[16:17]
	v_mov_b32_e32 v14, s13
	s_xor_b64 exec, exec, s[16:17]
	s_cbranch_execnz .LBB46_2375
.LBB46_2357:
	s_or_b64 exec, exec, s[16:17]
	s_and_saveexec_b64 s[16:17], s[14:15]
	s_cbranch_execz .LBB46_2359
.LBB46_2358:
	v_lshlrev_b32_e32 v14, 24, v12
	v_and_b32_e32 v12, 0xffff, v12
	v_and_b32_e32 v15, 7, v12
	v_ffbh_u32_e32 v17, v15
	v_min_u32_e32 v17, 32, v17
	v_subrev_u32_e32 v18, 28, v17
	v_bfe_u32 v16, v12, 3, 4
	v_lshlrev_b32_e32 v12, v18, v12
	v_sub_u32_e32 v17, 29, v17
	v_and_b32_e32 v12, 7, v12
	v_cmp_eq_u32_e32 vcc, 0, v16
	v_cndmask_b32_e32 v16, v16, v17, vcc
	v_cndmask_b32_e32 v12, v15, v12, vcc
	v_mov_b32_e32 v15, 0x3b800000
	v_lshlrev_b32_e32 v12, 20, v12
	v_and_b32_e32 v14, 0x80000000, v14
	v_lshl_add_u32 v15, v16, 23, v15
	v_or3_b32 v14, v14, v15, v12
.LBB46_2359:
	s_or_b64 exec, exec, s[16:17]
	v_bfe_u32 v12, v14, 16, 1
	s_movk_i32 s13, 0x7fff
	v_add3_u32 v12, v14, v12, s13
	v_lshrrev_b32_e32 v12, 16, v12
	v_mov_b32_e32 v15, 0x7fc0
	v_cmp_o_f32_e32 vcc, v14, v14
	v_cndmask_b32_e32 v12, v15, v12, vcc
.LBB46_2360:
	s_mov_b64 s[14:15], -1
.LBB46_2361:
	s_mov_b64 s[16:17], 0
.LBB46_2362:
	s_and_b64 vcc, exec, s[16:17]
	s_cbranch_vccz .LBB46_2395
; %bb.2363:
	s_waitcnt vmcnt(0)
	v_mov_b32_e32 v12, 22
	v_cmp_gt_i16_sdwa s[10:11], v5, v12 src0_sel:BYTE_0 src1_sel:DWORD
	s_and_b64 vcc, exec, s[10:11]
	s_cbranch_vccz .LBB46_2373
; %bb.2364:
	v_mov_b32_e32 v12, 24
	v_cmp_lt_i16_sdwa s[10:11], v5, v12 src0_sel:BYTE_0 src1_sel:DWORD
	s_and_b64 vcc, exec, s[10:11]
	s_cbranch_vccnz .LBB46_2376
; %bb.2365:
	v_cmp_gt_i16_sdwa s[10:11], v5, v12 src0_sel:BYTE_0 src1_sel:DWORD
	s_and_b64 vcc, exec, s[10:11]
	s_cbranch_vccz .LBB46_2377
; %bb.2366:
	global_load_ubyte v12, v[0:1], off
	s_movk_i32 s10, 0x7f
                                        ; implicit-def: $sgpr13
	s_waitcnt vmcnt(0)
	v_cmp_lt_i16_e32 vcc, s10, v12
	s_mov_b64 s[10:11], 0
	s_and_saveexec_b64 s[14:15], vcc
	s_xor_b64 s[14:15], exec, s[14:15]
	s_cbranch_execz .LBB46_2389
; %bb.2367:
	s_movk_i32 s10, 0x80
	v_cmp_eq_u16_e32 vcc, s10, v12
	s_mov_b64 s[10:11], -1
                                        ; implicit-def: $sgpr13
	s_and_saveexec_b64 s[16:17], vcc
; %bb.2368:
	s_mov_b32 s13, 0x7f800001
	s_xor_b64 s[10:11], exec, -1
; %bb.2369:
	s_or_b64 exec, exec, s[16:17]
	s_and_b64 s[10:11], s[10:11], exec
	s_or_saveexec_b64 s[14:15], s[14:15]
	v_mov_b32_e32 v14, s13
	s_xor_b64 exec, exec, s[14:15]
	s_cbranch_execnz .LBB46_2390
.LBB46_2370:
	s_or_b64 exec, exec, s[14:15]
	s_and_saveexec_b64 s[14:15], s[10:11]
	s_cbranch_execz .LBB46_2372
.LBB46_2371:
	v_lshlrev_b32_e32 v14, 24, v12
	v_and_b32_e32 v12, 0xffff, v12
	v_and_b32_e32 v15, 3, v12
	v_ffbh_u32_e32 v17, v15
	v_min_u32_e32 v17, 32, v17
	v_subrev_u32_e32 v18, 29, v17
	v_bfe_u32 v16, v12, 2, 5
	v_lshlrev_b32_e32 v12, v18, v12
	v_sub_u32_e32 v17, 30, v17
	v_and_b32_e32 v12, 3, v12
	v_cmp_eq_u32_e32 vcc, 0, v16
	v_cndmask_b32_e32 v16, v16, v17, vcc
	v_cndmask_b32_e32 v12, v15, v12, vcc
	v_mov_b32_e32 v15, 0x37800000
	v_lshlrev_b32_e32 v12, 21, v12
	v_and_b32_e32 v14, 0x80000000, v14
	v_lshl_add_u32 v15, v16, 23, v15
	v_or3_b32 v14, v14, v15, v12
.LBB46_2372:
	s_or_b64 exec, exec, s[14:15]
	v_bfe_u32 v12, v14, 16, 1
	s_movk_i32 s10, 0x7fff
	v_add3_u32 v12, v14, v12, s10
	v_lshrrev_b32_e32 v12, 16, v12
	v_mov_b32_e32 v15, 0x7fc0
	v_cmp_o_f32_e32 vcc, v14, v14
	v_cndmask_b32_e32 v12, v15, v12, vcc
	s_mov_b64 s[10:11], 0
	s_branch .LBB46_2378
.LBB46_2373:
	s_mov_b64 s[10:11], -1
                                        ; implicit-def: $vgpr12
	s_branch .LBB46_2384
.LBB46_2374:
	s_or_saveexec_b64 s[16:17], s[16:17]
	v_mov_b32_e32 v14, s13
	s_xor_b64 exec, exec, s[16:17]
	s_cbranch_execz .LBB46_2357
.LBB46_2375:
	v_cmp_ne_u16_e32 vcc, 0, v12
	s_andn2_b64 s[14:15], s[14:15], exec
	s_and_b64 s[20:21], vcc, exec
	v_mov_b32_e32 v14, 0
	s_or_b64 s[14:15], s[14:15], s[20:21]
	s_or_b64 exec, exec, s[16:17]
	s_and_saveexec_b64 s[16:17], s[14:15]
	s_cbranch_execnz .LBB46_2358
	s_branch .LBB46_2359
.LBB46_2376:
	s_mov_b64 s[10:11], -1
                                        ; implicit-def: $vgpr12
	s_branch .LBB46_2381
.LBB46_2377:
	s_mov_b64 s[10:11], -1
                                        ; implicit-def: $vgpr12
.LBB46_2378:
	s_and_b64 vcc, exec, s[10:11]
	s_cbranch_vccz .LBB46_2380
; %bb.2379:
	global_load_ubyte v12, v[0:1], off
	s_mov_b32 s10, 0x7f800000
	s_brev_b32 s11, 1
	s_movk_i32 s13, 0x7fff
	v_mov_b32_e32 v14, 0x7fc0
	s_waitcnt vmcnt(0)
	v_lshlrev_b32_e32 v12, 24, v12
	v_and_b32_e32 v15, 0x7f000000, v12
	v_ffbh_u32_e32 v16, v15
	v_min_u32_e32 v16, 32, v16
	v_sub_u32_e64 v16, v16, 4 clamp
	v_lshlrev_b32_e32 v18, v16, v15
	v_lshlrev_b32_e32 v16, 23, v16
	v_lshrrev_b32_e32 v18, 4, v18
	v_add_u32_e32 v17, 0x1000000, v15
	v_sub_u32_e32 v16, v18, v16
	v_ashrrev_i32_e32 v17, 8, v17
	v_add_u32_e32 v16, 0x3c000000, v16
	v_and_or_b32 v16, v17, s10, v16
	v_cmp_ne_u32_e32 vcc, 0, v15
	v_cndmask_b32_e32 v15, 0, v16, vcc
	v_and_or_b32 v12, v12, s11, v15
	v_bfe_u32 v15, v15, 16, 1
	v_add3_u32 v15, v12, v15, s13
	v_lshrrev_b32_e32 v15, 16, v15
	v_cmp_o_f32_e32 vcc, v12, v12
	v_cndmask_b32_e32 v12, v14, v15, vcc
.LBB46_2380:
	s_mov_b64 s[10:11], 0
.LBB46_2381:
	s_andn2_b64 vcc, exec, s[10:11]
	s_cbranch_vccnz .LBB46_2383
; %bb.2382:
	global_load_ubyte v12, v[0:1], off
	s_movk_i32 s10, 0x7f00
	s_brev_b32 s11, 16
	s_brev_b32 s13, 1
	s_movk_i32 s14, 0x7fff
	v_mov_b32_e32 v14, 0x7fc0
	s_waitcnt vmcnt(0)
	v_lshlrev_b16_e32 v15, 8, v12
	v_lshlrev_b32_e32 v12, 25, v12
	v_lshrrev_b32_e32 v16, 4, v12
	v_and_or_b32 v17, v15, s10, 0.5
	v_or_b32_e32 v16, 0x70000000, v16
	v_add_f32_e32 v17, -0.5, v17
	v_mul_f32_e32 v16, 0x7800000, v16
	v_cmp_gt_u32_e32 vcc, s11, v12
	v_bfe_i32 v15, v15, 0, 16
	v_cndmask_b32_e32 v12, v16, v17, vcc
	v_and_or_b32 v15, v15, s13, v12
	v_bfe_u32 v12, v12, 16, 1
	v_add3_u32 v12, v15, v12, s14
	v_lshrrev_b32_e32 v12, 16, v12
	v_cmp_o_f32_e32 vcc, v15, v15
	v_cndmask_b32_e32 v12, v14, v12, vcc
.LBB46_2383:
	s_mov_b64 s[10:11], 0
	s_mov_b64 s[14:15], -1
.LBB46_2384:
	s_andn2_b64 vcc, exec, s[10:11]
	s_mov_b64 s[10:11], 0
	s_cbranch_vccnz .LBB46_2395
; %bb.2385:
	v_mov_b32_e32 v12, 14
	v_cmp_gt_i16_sdwa s[10:11], v5, v12 src0_sel:BYTE_0 src1_sel:DWORD
	s_and_b64 vcc, exec, s[10:11]
	s_cbranch_vccz .LBB46_2388
; %bb.2386:
	v_mov_b32_e32 v12, 15
	v_cmp_eq_u16_sdwa s[0:1], v5, v12 src0_sel:BYTE_0 src1_sel:DWORD
	s_and_b64 vcc, exec, s[0:1]
	s_cbranch_vccz .LBB46_2391
; %bb.2387:
	global_load_ushort v12, v[0:1], off
	s_mov_b64 s[0:1], 0
	s_mov_b64 s[14:15], -1
	s_branch .LBB46_2392
.LBB46_2388:
	s_mov_b64 s[16:17], -1
                                        ; implicit-def: $vgpr12
	s_branch .LBB46_2393
.LBB46_2389:
	s_or_saveexec_b64 s[14:15], s[14:15]
	v_mov_b32_e32 v14, s13
	s_xor_b64 exec, exec, s[14:15]
	s_cbranch_execz .LBB46_2370
.LBB46_2390:
	v_cmp_ne_u16_e32 vcc, 0, v12
	s_andn2_b64 s[10:11], s[10:11], exec
	s_and_b64 s[16:17], vcc, exec
	v_mov_b32_e32 v14, 0
	s_or_b64 s[10:11], s[10:11], s[16:17]
	s_or_b64 exec, exec, s[14:15]
	s_and_saveexec_b64 s[14:15], s[10:11]
	s_cbranch_execnz .LBB46_2371
	s_branch .LBB46_2372
.LBB46_2391:
	s_mov_b64 s[0:1], -1
                                        ; implicit-def: $vgpr12
.LBB46_2392:
	s_mov_b64 s[16:17], 0
.LBB46_2393:
	s_mov_b64 s[10:11], 0
	s_and_b64 vcc, exec, s[16:17]
	s_cbranch_vccz .LBB46_2395
; %bb.2394:
	s_waitcnt vmcnt(0)
	v_mov_b32_e32 v12, 11
	v_cmp_ne_u16_sdwa s[0:1], v5, v12 src0_sel:BYTE_0 src1_sel:DWORD
	s_mov_b64 s[10:11], -1
                                        ; implicit-def: $vgpr12
.LBB46_2395:
	s_and_b64 vcc, exec, s[0:1]
	s_cbranch_vccnz .LBB46_2460
; %bb.2396:
	s_andn2_b64 vcc, exec, s[10:11]
	s_cbranch_vccnz .LBB46_2398
.LBB46_2397:
	global_load_ubyte v12, v[0:1], off
	s_mov_b64 s[14:15], -1
	s_waitcnt vmcnt(0)
	v_cmp_ne_u16_e32 vcc, 0, v12
	v_cndmask_b32_e64 v12, 0, 1.0, vcc
	v_lshrrev_b32_e32 v12, 16, v12
.LBB46_2398:
	s_mov_b64 s[0:1], 0
.LBB46_2399:
	s_and_b64 vcc, exec, s[0:1]
	s_cbranch_vccz .LBB46_2448
; %bb.2400:
	s_waitcnt vmcnt(0)
	v_mov_b32_e32 v12, 5
	v_cmp_lt_i16_sdwa s[0:1], v5, v12 src0_sel:BYTE_0 src1_sel:DWORD
	s_and_b64 vcc, exec, s[0:1]
	s_cbranch_vccnz .LBB46_2405
; %bb.2401:
	v_mov_b32_e32 v12, 8
	v_cmp_lt_i16_sdwa s[0:1], v5, v12 src0_sel:BYTE_0 src1_sel:DWORD
	s_and_b64 vcc, exec, s[0:1]
	s_cbranch_vccnz .LBB46_2406
; %bb.2402:
	v_mov_b32_e32 v12, 9
	v_cmp_lt_i16_sdwa s[0:1], v5, v12 src0_sel:BYTE_0 src1_sel:DWORD
	s_and_b64 vcc, exec, s[0:1]
	s_cbranch_vccnz .LBB46_2407
; %bb.2403:
	v_cmp_gt_i16_sdwa s[0:1], v5, v12 src0_sel:BYTE_0 src1_sel:DWORD
	s_and_b64 vcc, exec, s[0:1]
	s_cbranch_vccz .LBB46_2408
; %bb.2404:
	global_load_dwordx2 v[14:15], v[0:1], off
	s_movk_i32 s0, 0x7fff
	v_mov_b32_e32 v12, 0x7fc0
	s_waitcnt vmcnt(0)
	v_cvt_f32_f64_e32 v14, v[14:15]
	v_bfe_u32 v15, v14, 16, 1
	v_add3_u32 v15, v14, v15, s0
	v_lshrrev_b32_e32 v15, 16, v15
	v_cmp_o_f32_e32 vcc, v14, v14
	v_cndmask_b32_e32 v12, v12, v15, vcc
	s_mov_b64 s[0:1], 0
	s_branch .LBB46_2409
.LBB46_2405:
	s_mov_b64 s[0:1], -1
                                        ; implicit-def: $vgpr12
	s_branch .LBB46_2427
.LBB46_2406:
	s_mov_b64 s[0:1], -1
                                        ; implicit-def: $vgpr12
	s_branch .LBB46_2415
.LBB46_2407:
	s_mov_b64 s[0:1], -1
                                        ; implicit-def: $vgpr12
	s_branch .LBB46_2412
.LBB46_2408:
	s_mov_b64 s[0:1], -1
                                        ; implicit-def: $vgpr12
.LBB46_2409:
	s_andn2_b64 vcc, exec, s[0:1]
	s_cbranch_vccnz .LBB46_2411
; %bb.2410:
	global_load_dword v12, v[0:1], off
	s_movk_i32 s0, 0x7fff
	v_mov_b32_e32 v14, 0x7fc0
	s_waitcnt vmcnt(0)
	v_bfe_u32 v15, v12, 16, 1
	v_add3_u32 v15, v12, v15, s0
	v_lshrrev_b32_e32 v15, 16, v15
	v_cmp_o_f32_e32 vcc, v12, v12
	v_cndmask_b32_e32 v12, v14, v15, vcc
.LBB46_2411:
	s_mov_b64 s[0:1], 0
.LBB46_2412:
	s_andn2_b64 vcc, exec, s[0:1]
	s_cbranch_vccnz .LBB46_2414
; %bb.2413:
	global_load_dword v12, v[0:1], off
	s_movk_i32 s0, 0x7fff
	v_mov_b32_e32 v15, 0x7fc0
	s_waitcnt vmcnt(0)
	v_cvt_f32_f16_e32 v14, v12
	v_cmp_o_f16_e32 vcc, v12, v12
	v_bfe_u32 v16, v14, 16, 1
	v_add3_u32 v14, v14, v16, s0
	v_lshrrev_b32_e32 v14, 16, v14
	v_cndmask_b32_e32 v12, v15, v14, vcc
.LBB46_2414:
	s_mov_b64 s[0:1], 0
.LBB46_2415:
	s_andn2_b64 vcc, exec, s[0:1]
	s_cbranch_vccnz .LBB46_2426
; %bb.2416:
	v_mov_b32_e32 v12, 6
	v_cmp_lt_i16_sdwa s[0:1], v5, v12 src0_sel:BYTE_0 src1_sel:DWORD
	s_and_b64 vcc, exec, s[0:1]
	s_cbranch_vccnz .LBB46_2419
; %bb.2417:
	v_cmp_gt_i16_sdwa s[0:1], v5, v12 src0_sel:BYTE_0 src1_sel:DWORD
	s_and_b64 vcc, exec, s[0:1]
	s_cbranch_vccz .LBB46_2420
; %bb.2418:
	global_load_dwordx2 v[14:15], v[0:1], off
	s_movk_i32 s0, 0x7fff
	v_mov_b32_e32 v12, 0x7fc0
	s_waitcnt vmcnt(0)
	v_cvt_f32_f64_e32 v14, v[14:15]
	v_bfe_u32 v15, v14, 16, 1
	v_add3_u32 v15, v14, v15, s0
	v_lshrrev_b32_e32 v15, 16, v15
	v_cmp_o_f32_e32 vcc, v14, v14
	v_cndmask_b32_e32 v12, v12, v15, vcc
	s_mov_b64 s[0:1], 0
	s_branch .LBB46_2421
.LBB46_2419:
	s_mov_b64 s[0:1], -1
                                        ; implicit-def: $vgpr12
	s_branch .LBB46_2424
.LBB46_2420:
	s_mov_b64 s[0:1], -1
                                        ; implicit-def: $vgpr12
.LBB46_2421:
	s_andn2_b64 vcc, exec, s[0:1]
	s_cbranch_vccnz .LBB46_2423
; %bb.2422:
	global_load_dword v12, v[0:1], off
	s_movk_i32 s0, 0x7fff
	v_mov_b32_e32 v14, 0x7fc0
	s_waitcnt vmcnt(0)
	v_bfe_u32 v15, v12, 16, 1
	v_add3_u32 v15, v12, v15, s0
	v_lshrrev_b32_e32 v15, 16, v15
	v_cmp_o_f32_e32 vcc, v12, v12
	v_cndmask_b32_e32 v12, v14, v15, vcc
.LBB46_2423:
	s_mov_b64 s[0:1], 0
.LBB46_2424:
	s_andn2_b64 vcc, exec, s[0:1]
	s_cbranch_vccnz .LBB46_2426
; %bb.2425:
	global_load_ushort v12, v[0:1], off
	s_movk_i32 s0, 0x7fff
	v_mov_b32_e32 v15, 0x7fc0
	s_waitcnt vmcnt(0)
	v_cvt_f32_f16_e32 v14, v12
	v_cmp_o_f16_e32 vcc, v12, v12
	v_bfe_u32 v16, v14, 16, 1
	v_add3_u32 v14, v14, v16, s0
	v_lshrrev_b32_e32 v14, 16, v14
	v_cndmask_b32_e32 v12, v15, v14, vcc
.LBB46_2426:
	s_mov_b64 s[0:1], 0
.LBB46_2427:
	s_andn2_b64 vcc, exec, s[0:1]
	s_cbranch_vccnz .LBB46_2447
; %bb.2428:
	v_mov_b32_e32 v12, 2
	v_cmp_lt_i16_sdwa s[0:1], v5, v12 src0_sel:BYTE_0 src1_sel:DWORD
	s_and_b64 vcc, exec, s[0:1]
	s_cbranch_vccnz .LBB46_2432
; %bb.2429:
	v_mov_b32_e32 v12, 3
	v_cmp_lt_i16_sdwa s[0:1], v5, v12 src0_sel:BYTE_0 src1_sel:DWORD
	s_and_b64 vcc, exec, s[0:1]
	s_cbranch_vccnz .LBB46_2433
; %bb.2430:
	v_cmp_gt_i16_sdwa s[0:1], v5, v12 src0_sel:BYTE_0 src1_sel:DWORD
	s_and_b64 vcc, exec, s[0:1]
	s_cbranch_vccz .LBB46_2434
; %bb.2431:
	global_load_dwordx2 v[14:15], v[0:1], off
	s_movk_i32 s0, 0x7fff
	s_waitcnt vmcnt(0)
	v_xor_b32_e32 v16, v14, v15
	v_ffbh_i32_e32 v12, v15
	v_ashrrev_i32_e32 v16, 31, v16
	v_add_u32_e32 v12, -1, v12
	v_add_u32_e32 v16, 32, v16
	v_min_u32_e32 v12, v12, v16
	v_lshlrev_b64 v[14:15], v12, v[14:15]
	v_min_u32_e32 v14, 1, v14
	v_or_b32_e32 v14, v15, v14
	v_cvt_f32_i32_e32 v14, v14
	v_sub_u32_e32 v12, 32, v12
	v_ldexp_f32 v12, v14, v12
	v_bfe_u32 v14, v12, 16, 1
	v_add3_u32 v12, v12, v14, s0
	v_lshrrev_b32_e32 v12, 16, v12
	s_mov_b64 s[0:1], 0
	s_branch .LBB46_2435
.LBB46_2432:
	s_mov_b64 s[0:1], -1
                                        ; implicit-def: $vgpr12
	s_branch .LBB46_2441
.LBB46_2433:
	s_mov_b64 s[0:1], -1
                                        ; implicit-def: $vgpr12
	s_branch .LBB46_2438
.LBB46_2434:
	s_mov_b64 s[0:1], -1
                                        ; implicit-def: $vgpr12
.LBB46_2435:
	s_andn2_b64 vcc, exec, s[0:1]
	s_cbranch_vccnz .LBB46_2437
; %bb.2436:
	global_load_dword v12, v[0:1], off
	s_movk_i32 s0, 0x7fff
	s_waitcnt vmcnt(0)
	v_cvt_f32_i32_e32 v12, v12
	v_bfe_u32 v14, v12, 16, 1
	v_add3_u32 v12, v12, v14, s0
	v_lshrrev_b32_e32 v12, 16, v12
.LBB46_2437:
	s_mov_b64 s[0:1], 0
.LBB46_2438:
	s_andn2_b64 vcc, exec, s[0:1]
	s_cbranch_vccnz .LBB46_2440
; %bb.2439:
	global_load_sshort v12, v[0:1], off
	s_movk_i32 s0, 0x7fff
	s_waitcnt vmcnt(0)
	v_cvt_f32_i32_e32 v12, v12
	v_bfe_u32 v14, v12, 16, 1
	v_add3_u32 v12, v12, v14, s0
	v_lshrrev_b32_e32 v12, 16, v12
.LBB46_2440:
	s_mov_b64 s[0:1], 0
.LBB46_2441:
	s_andn2_b64 vcc, exec, s[0:1]
	s_cbranch_vccnz .LBB46_2447
; %bb.2442:
	v_mov_b32_e32 v12, 0
	v_cmp_gt_i16_sdwa s[0:1], v5, v12 src0_sel:BYTE_0 src1_sel:DWORD
	s_and_b64 vcc, exec, s[0:1]
	s_cbranch_vccz .LBB46_2444
; %bb.2443:
	global_load_sbyte v5, v[0:1], off
	s_movk_i32 s0, 0x7fff
	s_waitcnt vmcnt(0)
	v_cvt_f32_i32_e32 v5, v5
	v_bfe_u32 v12, v5, 16, 1
	v_add3_u32 v5, v5, v12, s0
	v_lshrrev_b32_e32 v12, 16, v5
	s_mov_b64 s[0:1], 0
	s_branch .LBB46_2445
.LBB46_2444:
	s_mov_b64 s[0:1], -1
                                        ; implicit-def: $vgpr12
.LBB46_2445:
	s_andn2_b64 vcc, exec, s[0:1]
	s_cbranch_vccnz .LBB46_2447
; %bb.2446:
	global_load_ubyte v0, v[0:1], off
	s_movk_i32 s0, 0x7fff
	s_waitcnt vmcnt(0)
	v_cvt_f32_ubyte0_e32 v0, v0
	v_bfe_u32 v1, v0, 16, 1
	v_add3_u32 v0, v0, v1, s0
	v_lshrrev_b32_e32 v12, 16, v0
.LBB46_2447:
	s_mov_b64 s[14:15], -1
.LBB46_2448:
	s_andn2_b64 vcc, exec, s[14:15]
	s_cbranch_vccnz .LBB46_3032
; %bb.2449:
	v_add_u32_e32 v0, s24, v13
	v_ashrrev_i32_e32 v1, 31, v0
	v_mov_b32_e32 v5, s3
	v_add_co_u32_e32 v0, vcc, s2, v0
	v_addc_co_u32_e32 v1, vcc, v5, v1, vcc
	v_mov_b32_e32 v5, 11
	v_cmp_lt_i16_sdwa s[0:1], v4, v5 src0_sel:BYTE_0 src1_sel:DWORD
	s_and_b64 vcc, exec, s[0:1]
	s_cbranch_vccnz .LBB46_2456
; %bb.2450:
	v_mov_b32_e32 v5, 25
	v_cmp_gt_i16_sdwa s[0:1], v4, v5 src0_sel:BYTE_0 src1_sel:DWORD
	s_mov_b64 s[2:3], 0
	s_and_b64 vcc, exec, s[0:1]
	s_cbranch_vccz .LBB46_2457
; %bb.2451:
	v_mov_b32_e32 v5, 28
	v_cmp_gt_i16_sdwa s[0:1], v4, v5 src0_sel:BYTE_0 src1_sel:DWORD
	s_and_b64 vcc, exec, s[0:1]
	s_cbranch_vccz .LBB46_2458
; %bb.2452:
	v_mov_b32_e32 v5, 43
	v_cmp_gt_i16_sdwa s[0:1], v4, v5 src0_sel:BYTE_0 src1_sel:DWORD
	;; [unrolled: 5-line block ×3, first 2 shown]
	s_and_b64 vcc, exec, s[0:1]
	s_cbranch_vccz .LBB46_2461
; %bb.2454:
	v_mov_b32_e32 v5, 46
	v_cmp_eq_u16_sdwa s[0:1], v4, v5 src0_sel:BYTE_0 src1_sel:DWORD
	s_mov_b64 s[14:15], 0
	s_and_b64 vcc, exec, s[0:1]
	s_cbranch_vccz .LBB46_2462
; %bb.2455:
	global_load_dword v5, v[0:1], off
	s_mov_b64 s[0:1], 0
	s_mov_b64 s[10:11], -1
	s_branch .LBB46_2463
.LBB46_2456:
	s_mov_b64 s[0:1], -1
	s_mov_b64 s[10:11], 0
                                        ; implicit-def: $vgpr5
	s_branch .LBB46_2529
.LBB46_2457:
	s_mov_b64 s[14:15], -1
	s_mov_b64 s[10:11], 0
	s_mov_b64 s[0:1], 0
                                        ; implicit-def: $vgpr5
	s_branch .LBB46_2492
.LBB46_2458:
	s_mov_b64 s[14:15], -1
	s_mov_b64 s[10:11], 0
	s_mov_b64 s[0:1], 0
                                        ; implicit-def: $vgpr5
	s_branch .LBB46_2473
.LBB46_2459:
	s_mov_b64 s[14:15], -1
	s_mov_b64 s[10:11], 0
	s_mov_b64 s[0:1], 0
                                        ; implicit-def: $vgpr5
	s_branch .LBB46_2468
.LBB46_2460:
	s_trap 2
	s_or_b64 s[18:19], s[18:19], exec
                                        ; implicit-def: $vgpr12
	s_cbranch_execz .LBB46_2397
	s_branch .LBB46_2398
.LBB46_2461:
	s_mov_b64 s[14:15], -1
	s_mov_b64 s[10:11], 0
	s_mov_b64 s[0:1], 0
                                        ; implicit-def: $vgpr5
	s_branch .LBB46_2463
.LBB46_2462:
	s_mov_b64 s[0:1], -1
                                        ; implicit-def: $vgpr5
	s_mov_b64 s[10:11], 0
.LBB46_2463:
	s_and_b64 vcc, exec, s[14:15]
	s_cbranch_vccz .LBB46_2467
; %bb.2464:
	s_waitcnt vmcnt(0)
	v_mov_b32_e32 v5, 44
	v_cmp_eq_u16_sdwa s[0:1], v4, v5 src0_sel:BYTE_0 src1_sel:DWORD
	s_and_b64 vcc, exec, s[0:1]
	s_cbranch_vccz .LBB46_2466
; %bb.2465:
	global_load_ubyte v5, v[0:1], off
	s_movk_i32 s10, 0xff
	v_mov_b32_e32 v13, 0x7f800001
	v_mov_b32_e32 v14, 0x400000
	;; [unrolled: 1-line block ×3, first 2 shown]
	s_mov_b64 s[0:1], 0
	s_waitcnt vmcnt(0)
	v_lshlrev_b32_e32 v16, 23, v5
	v_cmp_ne_u32_e32 vcc, s10, v5
	v_cndmask_b32_e32 v13, v13, v16, vcc
	v_cmp_ne_u32_e32 vcc, 0, v5
	v_cndmask_b32_e32 v5, v14, v13, vcc
	v_add_u32_e32 v13, 0x7fff, v5
	v_lshrrev_b32_e32 v13, 16, v13
	v_cmp_o_f32_e32 vcc, v5, v5
	v_cndmask_b32_e32 v5, v15, v13, vcc
	s_mov_b64 s[10:11], -1
	s_branch .LBB46_2467
.LBB46_2466:
	s_mov_b64 s[0:1], -1
                                        ; implicit-def: $vgpr5
.LBB46_2467:
	s_mov_b64 s[14:15], 0
.LBB46_2468:
	s_and_b64 vcc, exec, s[14:15]
	s_cbranch_vccz .LBB46_2472
; %bb.2469:
	s_waitcnt vmcnt(0)
	v_mov_b32_e32 v5, 29
	v_cmp_eq_u16_sdwa s[0:1], v4, v5 src0_sel:BYTE_0 src1_sel:DWORD
	s_and_b64 vcc, exec, s[0:1]
	s_cbranch_vccz .LBB46_2471
; %bb.2470:
	global_load_dwordx2 v[14:15], v[0:1], off
	s_movk_i32 s10, 0x7fff
	s_mov_b64 s[0:1], 0
	s_mov_b64 s[14:15], 0
	s_waitcnt vmcnt(0)
	v_ffbh_u32_e32 v5, v15
	v_min_u32_e32 v5, 32, v5
	v_lshlrev_b64 v[14:15], v5, v[14:15]
	v_min_u32_e32 v13, 1, v14
	v_or_b32_e32 v13, v15, v13
	v_cvt_f32_u32_e32 v13, v13
	v_sub_u32_e32 v5, 32, v5
	v_ldexp_f32 v5, v13, v5
	v_bfe_u32 v13, v5, 16, 1
	v_add3_u32 v5, v5, v13, s10
	v_lshrrev_b32_e32 v5, 16, v5
	s_mov_b64 s[10:11], -1
	s_branch .LBB46_2473
.LBB46_2471:
	s_mov_b64 s[0:1], -1
                                        ; implicit-def: $vgpr5
.LBB46_2472:
	s_mov_b64 s[14:15], 0
.LBB46_2473:
	s_and_b64 vcc, exec, s[14:15]
	s_cbranch_vccz .LBB46_2491
; %bb.2474:
	s_waitcnt vmcnt(0)
	v_mov_b32_e32 v5, 27
	v_cmp_lt_i16_sdwa s[10:11], v4, v5 src0_sel:BYTE_0 src1_sel:DWORD
	s_and_b64 vcc, exec, s[10:11]
	s_cbranch_vccnz .LBB46_2477
; %bb.2475:
	v_cmp_gt_i16_sdwa s[10:11], v4, v5 src0_sel:BYTE_0 src1_sel:DWORD
	s_and_b64 vcc, exec, s[10:11]
	s_cbranch_vccz .LBB46_2478
; %bb.2476:
	global_load_dword v5, v[0:1], off
	s_movk_i32 s10, 0x7fff
	s_waitcnt vmcnt(0)
	v_cvt_f32_u32_e32 v5, v5
	v_bfe_u32 v13, v5, 16, 1
	v_add3_u32 v5, v5, v13, s10
	v_lshrrev_b32_e32 v5, 16, v5
	s_mov_b64 s[10:11], 0
	s_branch .LBB46_2479
.LBB46_2477:
	s_mov_b64 s[10:11], -1
                                        ; implicit-def: $vgpr5
	s_branch .LBB46_2482
.LBB46_2478:
	s_mov_b64 s[10:11], -1
                                        ; implicit-def: $vgpr5
.LBB46_2479:
	s_andn2_b64 vcc, exec, s[10:11]
	s_cbranch_vccnz .LBB46_2481
; %bb.2480:
	global_load_ushort v5, v[0:1], off
	s_movk_i32 s10, 0x7fff
	s_waitcnt vmcnt(0)
	v_cvt_f32_u32_e32 v5, v5
	v_bfe_u32 v13, v5, 16, 1
	v_add3_u32 v5, v5, v13, s10
	v_lshrrev_b32_e32 v5, 16, v5
.LBB46_2481:
	s_mov_b64 s[10:11], 0
.LBB46_2482:
	s_andn2_b64 vcc, exec, s[10:11]
	s_cbranch_vccnz .LBB46_2490
; %bb.2483:
	global_load_ubyte v5, v[0:1], off
	s_movk_i32 s10, 0x7f
                                        ; implicit-def: $sgpr13
	s_waitcnt vmcnt(0)
	v_cmp_lt_i16_e32 vcc, s10, v5
	s_mov_b64 s[10:11], 0
	s_and_saveexec_b64 s[14:15], vcc
	s_xor_b64 s[14:15], exec, s[14:15]
	s_cbranch_execz .LBB46_2504
; %bb.2484:
	s_movk_i32 s10, 0x80
	v_cmp_eq_u16_e32 vcc, s10, v5
	s_mov_b64 s[10:11], -1
                                        ; implicit-def: $sgpr13
	s_and_saveexec_b64 s[16:17], vcc
; %bb.2485:
	s_mov_b32 s13, 0x7f800001
	s_xor_b64 s[10:11], exec, -1
; %bb.2486:
	s_or_b64 exec, exec, s[16:17]
	s_and_b64 s[10:11], s[10:11], exec
	s_or_saveexec_b64 s[14:15], s[14:15]
	v_mov_b32_e32 v13, s13
	s_xor_b64 exec, exec, s[14:15]
	s_cbranch_execnz .LBB46_2505
.LBB46_2487:
	s_or_b64 exec, exec, s[14:15]
	s_and_saveexec_b64 s[14:15], s[10:11]
	s_cbranch_execz .LBB46_2489
.LBB46_2488:
	v_lshlrev_b32_e32 v13, 24, v5
	v_and_b32_e32 v5, 0xffff, v5
	v_and_b32_e32 v14, 7, v5
	v_ffbh_u32_e32 v16, v14
	v_min_u32_e32 v16, 32, v16
	v_subrev_u32_e32 v17, 28, v16
	v_bfe_u32 v15, v5, 3, 4
	v_lshlrev_b32_e32 v5, v17, v5
	v_sub_u32_e32 v16, 29, v16
	v_and_b32_e32 v5, 7, v5
	v_cmp_eq_u32_e32 vcc, 0, v15
	v_cndmask_b32_e32 v15, v15, v16, vcc
	v_cndmask_b32_e32 v5, v14, v5, vcc
	v_mov_b32_e32 v14, 0x3b800000
	v_lshlrev_b32_e32 v5, 20, v5
	v_and_b32_e32 v13, 0x80000000, v13
	v_lshl_add_u32 v14, v15, 23, v14
	v_or3_b32 v13, v13, v14, v5
.LBB46_2489:
	s_or_b64 exec, exec, s[14:15]
	v_bfe_u32 v5, v13, 16, 1
	s_movk_i32 s10, 0x7fff
	v_add3_u32 v5, v13, v5, s10
	v_lshrrev_b32_e32 v5, 16, v5
	v_mov_b32_e32 v14, 0x7fc0
	v_cmp_o_f32_e32 vcc, v13, v13
	v_cndmask_b32_e32 v5, v14, v5, vcc
.LBB46_2490:
	s_mov_b64 s[10:11], -1
.LBB46_2491:
	s_mov_b64 s[14:15], 0
.LBB46_2492:
	s_and_b64 vcc, exec, s[14:15]
	s_cbranch_vccz .LBB46_2525
; %bb.2493:
	s_waitcnt vmcnt(0)
	v_mov_b32_e32 v5, 22
	v_cmp_gt_i16_sdwa s[2:3], v4, v5 src0_sel:BYTE_0 src1_sel:DWORD
	s_and_b64 vcc, exec, s[2:3]
	s_cbranch_vccz .LBB46_2503
; %bb.2494:
	v_mov_b32_e32 v5, 24
	v_cmp_lt_i16_sdwa s[2:3], v4, v5 src0_sel:BYTE_0 src1_sel:DWORD
	s_and_b64 vcc, exec, s[2:3]
	s_cbranch_vccnz .LBB46_2506
; %bb.2495:
	v_cmp_gt_i16_sdwa s[2:3], v4, v5 src0_sel:BYTE_0 src1_sel:DWORD
	s_and_b64 vcc, exec, s[2:3]
	s_cbranch_vccz .LBB46_2507
; %bb.2496:
	global_load_ubyte v5, v[0:1], off
	s_movk_i32 s2, 0x7f
                                        ; implicit-def: $sgpr13
	s_waitcnt vmcnt(0)
	v_cmp_lt_i16_e32 vcc, s2, v5
	s_mov_b64 s[2:3], 0
	s_and_saveexec_b64 s[10:11], vcc
	s_xor_b64 s[10:11], exec, s[10:11]
	s_cbranch_execz .LBB46_2519
; %bb.2497:
	s_movk_i32 s2, 0x80
	v_cmp_eq_u16_e32 vcc, s2, v5
	s_mov_b64 s[2:3], -1
                                        ; implicit-def: $sgpr13
	s_and_saveexec_b64 s[14:15], vcc
; %bb.2498:
	s_mov_b32 s13, 0x7f800001
	s_xor_b64 s[2:3], exec, -1
; %bb.2499:
	s_or_b64 exec, exec, s[14:15]
	s_and_b64 s[2:3], s[2:3], exec
	s_or_saveexec_b64 s[10:11], s[10:11]
	v_mov_b32_e32 v13, s13
	s_xor_b64 exec, exec, s[10:11]
	s_cbranch_execnz .LBB46_2520
.LBB46_2500:
	s_or_b64 exec, exec, s[10:11]
	s_and_saveexec_b64 s[10:11], s[2:3]
	s_cbranch_execz .LBB46_2502
.LBB46_2501:
	v_lshlrev_b32_e32 v13, 24, v5
	v_and_b32_e32 v5, 0xffff, v5
	v_and_b32_e32 v14, 3, v5
	v_ffbh_u32_e32 v16, v14
	v_min_u32_e32 v16, 32, v16
	v_subrev_u32_e32 v17, 29, v16
	v_bfe_u32 v15, v5, 2, 5
	v_lshlrev_b32_e32 v5, v17, v5
	v_sub_u32_e32 v16, 30, v16
	v_and_b32_e32 v5, 3, v5
	v_cmp_eq_u32_e32 vcc, 0, v15
	v_cndmask_b32_e32 v15, v15, v16, vcc
	v_cndmask_b32_e32 v5, v14, v5, vcc
	v_mov_b32_e32 v14, 0x37800000
	v_lshlrev_b32_e32 v5, 21, v5
	v_and_b32_e32 v13, 0x80000000, v13
	v_lshl_add_u32 v14, v15, 23, v14
	v_or3_b32 v13, v13, v14, v5
.LBB46_2502:
	s_or_b64 exec, exec, s[10:11]
	v_bfe_u32 v5, v13, 16, 1
	s_movk_i32 s2, 0x7fff
	v_add3_u32 v5, v13, v5, s2
	v_lshrrev_b32_e32 v5, 16, v5
	v_mov_b32_e32 v14, 0x7fc0
	v_cmp_o_f32_e32 vcc, v13, v13
	v_cndmask_b32_e32 v5, v14, v5, vcc
	s_mov_b64 s[2:3], 0
	s_branch .LBB46_2508
.LBB46_2503:
	s_mov_b64 s[2:3], -1
                                        ; implicit-def: $vgpr5
	s_branch .LBB46_2514
.LBB46_2504:
	s_or_saveexec_b64 s[14:15], s[14:15]
	v_mov_b32_e32 v13, s13
	s_xor_b64 exec, exec, s[14:15]
	s_cbranch_execz .LBB46_2487
.LBB46_2505:
	v_cmp_ne_u16_e32 vcc, 0, v5
	s_andn2_b64 s[10:11], s[10:11], exec
	s_and_b64 s[16:17], vcc, exec
	v_mov_b32_e32 v13, 0
	s_or_b64 s[10:11], s[10:11], s[16:17]
	s_or_b64 exec, exec, s[14:15]
	s_and_saveexec_b64 s[14:15], s[10:11]
	s_cbranch_execnz .LBB46_2488
	s_branch .LBB46_2489
.LBB46_2506:
	s_mov_b64 s[2:3], -1
                                        ; implicit-def: $vgpr5
	s_branch .LBB46_2511
.LBB46_2507:
	s_mov_b64 s[2:3], -1
                                        ; implicit-def: $vgpr5
.LBB46_2508:
	s_and_b64 vcc, exec, s[2:3]
	s_cbranch_vccz .LBB46_2510
; %bb.2509:
	global_load_ubyte v5, v[0:1], off
	s_mov_b32 s2, 0x7f800000
	s_brev_b32 s3, 1
	s_movk_i32 s10, 0x7fff
	v_mov_b32_e32 v13, 0x7fc0
	s_waitcnt vmcnt(0)
	v_lshlrev_b32_e32 v5, 24, v5
	v_and_b32_e32 v14, 0x7f000000, v5
	v_ffbh_u32_e32 v15, v14
	v_min_u32_e32 v15, 32, v15
	v_sub_u32_e64 v15, v15, 4 clamp
	v_lshlrev_b32_e32 v17, v15, v14
	v_lshlrev_b32_e32 v15, 23, v15
	v_lshrrev_b32_e32 v17, 4, v17
	v_add_u32_e32 v16, 0x1000000, v14
	v_sub_u32_e32 v15, v17, v15
	v_ashrrev_i32_e32 v16, 8, v16
	v_add_u32_e32 v15, 0x3c000000, v15
	v_and_or_b32 v15, v16, s2, v15
	v_cmp_ne_u32_e32 vcc, 0, v14
	v_cndmask_b32_e32 v14, 0, v15, vcc
	v_and_or_b32 v5, v5, s3, v14
	v_bfe_u32 v14, v14, 16, 1
	v_add3_u32 v14, v5, v14, s10
	v_lshrrev_b32_e32 v14, 16, v14
	v_cmp_o_f32_e32 vcc, v5, v5
	v_cndmask_b32_e32 v5, v13, v14, vcc
.LBB46_2510:
	s_mov_b64 s[2:3], 0
.LBB46_2511:
	s_andn2_b64 vcc, exec, s[2:3]
	s_cbranch_vccnz .LBB46_2513
; %bb.2512:
	global_load_ubyte v5, v[0:1], off
	s_movk_i32 s2, 0x7f00
	s_brev_b32 s3, 16
	s_brev_b32 s10, 1
	s_movk_i32 s11, 0x7fff
	v_mov_b32_e32 v13, 0x7fc0
	s_waitcnt vmcnt(0)
	v_lshlrev_b16_e32 v14, 8, v5
	v_lshlrev_b32_e32 v5, 25, v5
	v_lshrrev_b32_e32 v15, 4, v5
	v_and_or_b32 v16, v14, s2, 0.5
	v_or_b32_e32 v15, 0x70000000, v15
	v_add_f32_e32 v16, -0.5, v16
	v_mul_f32_e32 v15, 0x7800000, v15
	v_cmp_gt_u32_e32 vcc, s3, v5
	v_bfe_i32 v14, v14, 0, 16
	v_cndmask_b32_e32 v5, v15, v16, vcc
	v_and_or_b32 v14, v14, s10, v5
	v_bfe_u32 v5, v5, 16, 1
	v_add3_u32 v5, v14, v5, s11
	v_lshrrev_b32_e32 v5, 16, v5
	v_cmp_o_f32_e32 vcc, v14, v14
	v_cndmask_b32_e32 v5, v13, v5, vcc
.LBB46_2513:
	s_mov_b64 s[2:3], 0
	s_mov_b64 s[10:11], -1
.LBB46_2514:
	s_andn2_b64 vcc, exec, s[2:3]
	s_mov_b64 s[2:3], 0
	s_cbranch_vccnz .LBB46_2525
; %bb.2515:
	v_mov_b32_e32 v5, 14
	v_cmp_gt_i16_sdwa s[2:3], v4, v5 src0_sel:BYTE_0 src1_sel:DWORD
	s_and_b64 vcc, exec, s[2:3]
	s_cbranch_vccz .LBB46_2518
; %bb.2516:
	v_mov_b32_e32 v5, 15
	v_cmp_eq_u16_sdwa s[0:1], v4, v5 src0_sel:BYTE_0 src1_sel:DWORD
	s_and_b64 vcc, exec, s[0:1]
	s_cbranch_vccz .LBB46_2521
; %bb.2517:
	global_load_ushort v5, v[0:1], off
	s_mov_b64 s[0:1], 0
	s_mov_b64 s[10:11], -1
	s_branch .LBB46_2522
.LBB46_2518:
	s_mov_b64 s[14:15], -1
                                        ; implicit-def: $vgpr5
	s_branch .LBB46_2523
.LBB46_2519:
	s_or_saveexec_b64 s[10:11], s[10:11]
	v_mov_b32_e32 v13, s13
	s_xor_b64 exec, exec, s[10:11]
	s_cbranch_execz .LBB46_2500
.LBB46_2520:
	v_cmp_ne_u16_e32 vcc, 0, v5
	s_andn2_b64 s[2:3], s[2:3], exec
	s_and_b64 s[14:15], vcc, exec
	v_mov_b32_e32 v13, 0
	s_or_b64 s[2:3], s[2:3], s[14:15]
	s_or_b64 exec, exec, s[10:11]
	s_and_saveexec_b64 s[10:11], s[2:3]
	s_cbranch_execnz .LBB46_2501
	s_branch .LBB46_2502
.LBB46_2521:
	s_mov_b64 s[0:1], -1
                                        ; implicit-def: $vgpr5
.LBB46_2522:
	s_mov_b64 s[14:15], 0
.LBB46_2523:
	s_mov_b64 s[2:3], 0
	s_and_b64 vcc, exec, s[14:15]
	s_cbranch_vccz .LBB46_2525
; %bb.2524:
	s_waitcnt vmcnt(0)
	v_mov_b32_e32 v5, 11
	v_cmp_ne_u16_sdwa s[0:1], v4, v5 src0_sel:BYTE_0 src1_sel:DWORD
	s_mov_b64 s[2:3], -1
                                        ; implicit-def: $vgpr5
.LBB46_2525:
	s_and_b64 vcc, exec, s[0:1]
	s_cbranch_vccnz .LBB46_2589
; %bb.2526:
	s_andn2_b64 vcc, exec, s[2:3]
	s_cbranch_vccnz .LBB46_2528
.LBB46_2527:
	global_load_ubyte v5, v[0:1], off
	s_mov_b64 s[10:11], -1
	s_waitcnt vmcnt(0)
	v_cmp_ne_u16_e32 vcc, 0, v5
	v_cndmask_b32_e64 v5, 0, 1.0, vcc
	v_lshrrev_b32_e32 v5, 16, v5
.LBB46_2528:
	s_mov_b64 s[0:1], 0
.LBB46_2529:
	s_and_b64 vcc, exec, s[0:1]
	s_cbranch_vccz .LBB46_2578
; %bb.2530:
	s_waitcnt vmcnt(0)
	v_mov_b32_e32 v5, 5
	v_cmp_lt_i16_sdwa s[0:1], v4, v5 src0_sel:BYTE_0 src1_sel:DWORD
	s_and_b64 vcc, exec, s[0:1]
	s_cbranch_vccnz .LBB46_2535
; %bb.2531:
	v_mov_b32_e32 v5, 8
	v_cmp_lt_i16_sdwa s[0:1], v4, v5 src0_sel:BYTE_0 src1_sel:DWORD
	s_and_b64 vcc, exec, s[0:1]
	s_cbranch_vccnz .LBB46_2536
; %bb.2532:
	;; [unrolled: 5-line block ×3, first 2 shown]
	v_cmp_gt_i16_sdwa s[0:1], v4, v5 src0_sel:BYTE_0 src1_sel:DWORD
	s_and_b64 vcc, exec, s[0:1]
	s_cbranch_vccz .LBB46_2538
; %bb.2534:
	global_load_dwordx2 v[14:15], v[0:1], off
	s_movk_i32 s0, 0x7fff
	v_mov_b32_e32 v5, 0x7fc0
	s_waitcnt vmcnt(0)
	v_cvt_f32_f64_e32 v13, v[14:15]
	v_bfe_u32 v14, v13, 16, 1
	v_add3_u32 v14, v13, v14, s0
	v_lshrrev_b32_e32 v14, 16, v14
	v_cmp_o_f32_e32 vcc, v13, v13
	v_cndmask_b32_e32 v5, v5, v14, vcc
	s_mov_b64 s[0:1], 0
	s_branch .LBB46_2539
.LBB46_2535:
	s_mov_b64 s[0:1], -1
                                        ; implicit-def: $vgpr5
	s_branch .LBB46_2557
.LBB46_2536:
	s_mov_b64 s[0:1], -1
                                        ; implicit-def: $vgpr5
	s_branch .LBB46_2545
.LBB46_2537:
	s_mov_b64 s[0:1], -1
                                        ; implicit-def: $vgpr5
	s_branch .LBB46_2542
.LBB46_2538:
	s_mov_b64 s[0:1], -1
                                        ; implicit-def: $vgpr5
.LBB46_2539:
	s_andn2_b64 vcc, exec, s[0:1]
	s_cbranch_vccnz .LBB46_2541
; %bb.2540:
	global_load_dword v5, v[0:1], off
	s_movk_i32 s0, 0x7fff
	v_mov_b32_e32 v13, 0x7fc0
	s_waitcnt vmcnt(0)
	v_bfe_u32 v14, v5, 16, 1
	v_add3_u32 v14, v5, v14, s0
	v_lshrrev_b32_e32 v14, 16, v14
	v_cmp_o_f32_e32 vcc, v5, v5
	v_cndmask_b32_e32 v5, v13, v14, vcc
.LBB46_2541:
	s_mov_b64 s[0:1], 0
.LBB46_2542:
	s_andn2_b64 vcc, exec, s[0:1]
	s_cbranch_vccnz .LBB46_2544
; %bb.2543:
	global_load_dword v5, v[0:1], off
	s_movk_i32 s0, 0x7fff
	v_mov_b32_e32 v14, 0x7fc0
	s_waitcnt vmcnt(0)
	v_cvt_f32_f16_e32 v13, v5
	v_cmp_o_f16_e32 vcc, v5, v5
	v_bfe_u32 v15, v13, 16, 1
	v_add3_u32 v13, v13, v15, s0
	v_lshrrev_b32_e32 v13, 16, v13
	v_cndmask_b32_e32 v5, v14, v13, vcc
.LBB46_2544:
	s_mov_b64 s[0:1], 0
.LBB46_2545:
	s_andn2_b64 vcc, exec, s[0:1]
	s_cbranch_vccnz .LBB46_2556
; %bb.2546:
	v_mov_b32_e32 v5, 6
	v_cmp_lt_i16_sdwa s[0:1], v4, v5 src0_sel:BYTE_0 src1_sel:DWORD
	s_and_b64 vcc, exec, s[0:1]
	s_cbranch_vccnz .LBB46_2549
; %bb.2547:
	v_cmp_gt_i16_sdwa s[0:1], v4, v5 src0_sel:BYTE_0 src1_sel:DWORD
	s_and_b64 vcc, exec, s[0:1]
	s_cbranch_vccz .LBB46_2550
; %bb.2548:
	global_load_dwordx2 v[14:15], v[0:1], off
	s_movk_i32 s0, 0x7fff
	v_mov_b32_e32 v5, 0x7fc0
	s_waitcnt vmcnt(0)
	v_cvt_f32_f64_e32 v13, v[14:15]
	v_bfe_u32 v14, v13, 16, 1
	v_add3_u32 v14, v13, v14, s0
	v_lshrrev_b32_e32 v14, 16, v14
	v_cmp_o_f32_e32 vcc, v13, v13
	v_cndmask_b32_e32 v5, v5, v14, vcc
	s_mov_b64 s[0:1], 0
	s_branch .LBB46_2551
.LBB46_2549:
	s_mov_b64 s[0:1], -1
                                        ; implicit-def: $vgpr5
	s_branch .LBB46_2554
.LBB46_2550:
	s_mov_b64 s[0:1], -1
                                        ; implicit-def: $vgpr5
.LBB46_2551:
	s_andn2_b64 vcc, exec, s[0:1]
	s_cbranch_vccnz .LBB46_2553
; %bb.2552:
	global_load_dword v5, v[0:1], off
	s_movk_i32 s0, 0x7fff
	v_mov_b32_e32 v13, 0x7fc0
	s_waitcnt vmcnt(0)
	v_bfe_u32 v14, v5, 16, 1
	v_add3_u32 v14, v5, v14, s0
	v_lshrrev_b32_e32 v14, 16, v14
	v_cmp_o_f32_e32 vcc, v5, v5
	v_cndmask_b32_e32 v5, v13, v14, vcc
.LBB46_2553:
	s_mov_b64 s[0:1], 0
.LBB46_2554:
	s_andn2_b64 vcc, exec, s[0:1]
	s_cbranch_vccnz .LBB46_2556
; %bb.2555:
	global_load_ushort v5, v[0:1], off
	s_movk_i32 s0, 0x7fff
	v_mov_b32_e32 v14, 0x7fc0
	s_waitcnt vmcnt(0)
	v_cvt_f32_f16_e32 v13, v5
	v_cmp_o_f16_e32 vcc, v5, v5
	v_bfe_u32 v15, v13, 16, 1
	v_add3_u32 v13, v13, v15, s0
	v_lshrrev_b32_e32 v13, 16, v13
	v_cndmask_b32_e32 v5, v14, v13, vcc
.LBB46_2556:
	s_mov_b64 s[0:1], 0
.LBB46_2557:
	s_andn2_b64 vcc, exec, s[0:1]
	s_cbranch_vccnz .LBB46_2577
; %bb.2558:
	v_mov_b32_e32 v5, 2
	v_cmp_lt_i16_sdwa s[0:1], v4, v5 src0_sel:BYTE_0 src1_sel:DWORD
	s_and_b64 vcc, exec, s[0:1]
	s_cbranch_vccnz .LBB46_2562
; %bb.2559:
	v_mov_b32_e32 v5, 3
	v_cmp_lt_i16_sdwa s[0:1], v4, v5 src0_sel:BYTE_0 src1_sel:DWORD
	s_and_b64 vcc, exec, s[0:1]
	s_cbranch_vccnz .LBB46_2563
; %bb.2560:
	v_cmp_gt_i16_sdwa s[0:1], v4, v5 src0_sel:BYTE_0 src1_sel:DWORD
	s_and_b64 vcc, exec, s[0:1]
	s_cbranch_vccz .LBB46_2564
; %bb.2561:
	global_load_dwordx2 v[14:15], v[0:1], off
	s_movk_i32 s0, 0x7fff
	s_waitcnt vmcnt(0)
	v_xor_b32_e32 v13, v14, v15
	v_ffbh_i32_e32 v5, v15
	v_ashrrev_i32_e32 v13, 31, v13
	v_add_u32_e32 v5, -1, v5
	v_add_u32_e32 v13, 32, v13
	v_min_u32_e32 v5, v5, v13
	v_lshlrev_b64 v[14:15], v5, v[14:15]
	v_min_u32_e32 v13, 1, v14
	v_or_b32_e32 v13, v15, v13
	v_cvt_f32_i32_e32 v13, v13
	v_sub_u32_e32 v5, 32, v5
	v_ldexp_f32 v5, v13, v5
	v_bfe_u32 v13, v5, 16, 1
	v_add3_u32 v5, v5, v13, s0
	v_lshrrev_b32_e32 v5, 16, v5
	s_mov_b64 s[0:1], 0
	s_branch .LBB46_2565
.LBB46_2562:
	s_mov_b64 s[0:1], -1
                                        ; implicit-def: $vgpr5
	s_branch .LBB46_2571
.LBB46_2563:
	s_mov_b64 s[0:1], -1
                                        ; implicit-def: $vgpr5
	s_branch .LBB46_2568
.LBB46_2564:
	s_mov_b64 s[0:1], -1
                                        ; implicit-def: $vgpr5
.LBB46_2565:
	s_andn2_b64 vcc, exec, s[0:1]
	s_cbranch_vccnz .LBB46_2567
; %bb.2566:
	global_load_dword v5, v[0:1], off
	s_movk_i32 s0, 0x7fff
	s_waitcnt vmcnt(0)
	v_cvt_f32_i32_e32 v5, v5
	v_bfe_u32 v13, v5, 16, 1
	v_add3_u32 v5, v5, v13, s0
	v_lshrrev_b32_e32 v5, 16, v5
.LBB46_2567:
	s_mov_b64 s[0:1], 0
.LBB46_2568:
	s_andn2_b64 vcc, exec, s[0:1]
	s_cbranch_vccnz .LBB46_2570
; %bb.2569:
	global_load_sshort v5, v[0:1], off
	s_movk_i32 s0, 0x7fff
	s_waitcnt vmcnt(0)
	v_cvt_f32_i32_e32 v5, v5
	v_bfe_u32 v13, v5, 16, 1
	v_add3_u32 v5, v5, v13, s0
	v_lshrrev_b32_e32 v5, 16, v5
.LBB46_2570:
	s_mov_b64 s[0:1], 0
.LBB46_2571:
	s_andn2_b64 vcc, exec, s[0:1]
	s_cbranch_vccnz .LBB46_2577
; %bb.2572:
	v_mov_b32_e32 v5, 0
	v_cmp_gt_i16_sdwa s[0:1], v4, v5 src0_sel:BYTE_0 src1_sel:DWORD
	s_and_b64 vcc, exec, s[0:1]
	s_cbranch_vccz .LBB46_2574
; %bb.2573:
	global_load_sbyte v4, v[0:1], off
	s_movk_i32 s0, 0x7fff
	s_waitcnt vmcnt(0)
	v_cvt_f32_i32_e32 v4, v4
	v_bfe_u32 v5, v4, 16, 1
	v_add3_u32 v4, v4, v5, s0
	v_lshrrev_b32_e32 v5, 16, v4
	s_mov_b64 s[0:1], 0
	s_branch .LBB46_2575
.LBB46_2574:
	s_mov_b64 s[0:1], -1
                                        ; implicit-def: $vgpr5
.LBB46_2575:
	s_andn2_b64 vcc, exec, s[0:1]
	s_cbranch_vccnz .LBB46_2577
; %bb.2576:
	global_load_ubyte v0, v[0:1], off
	s_movk_i32 s0, 0x7fff
	s_waitcnt vmcnt(0)
	v_cvt_f32_ubyte0_e32 v0, v0
	v_bfe_u32 v1, v0, 16, 1
	v_add3_u32 v0, v0, v1, s0
	v_lshrrev_b32_e32 v5, 16, v0
.LBB46_2577:
	s_mov_b64 s[10:11], -1
.LBB46_2578:
	s_andn2_b64 vcc, exec, s[10:11]
	s_cbranch_vccnz .LBB46_3032
; %bb.2579:
	s_waitcnt vmcnt(0)
	v_and_b32_e32 v6, 0x7fff, v6
	v_and_b32_e32 v0, 0xffff8000, v7
	v_mul_lo_u32 v3, s12, v3
	v_or_b32_e32 v4, v0, v6
	v_ashrrev_i32_e32 v1, 31, v3
	v_mov_b32_e32 v7, s9
	v_add_co_u32_e32 v0, vcc, s8, v3
	v_addc_co_u32_e32 v1, vcc, v7, v1, vcc
	v_mov_b32_e32 v7, 11
	v_cmp_lt_i16_sdwa s[0:1], v2, v7 src0_sel:BYTE_0 src1_sel:DWORD
	s_and_b64 vcc, exec, s[0:1]
	s_cbranch_vccnz .LBB46_2586
; %bb.2580:
	v_mov_b32_e32 v7, 25
	v_cmp_gt_i16_sdwa s[0:1], v2, v7 src0_sel:BYTE_0 src1_sel:DWORD
	s_mov_b64 s[14:15], -1
	s_mov_b64 s[2:3], 0
	s_and_b64 vcc, exec, s[0:1]
	s_mov_b64 s[10:11], 0
	s_mov_b64 s[0:1], 0
	s_cbranch_vccz .LBB46_2618
; %bb.2581:
	v_mov_b32_e32 v7, 28
	v_cmp_gt_i16_sdwa s[0:1], v2, v7 src0_sel:BYTE_0 src1_sel:DWORD
	s_and_b64 vcc, exec, s[0:1]
	s_cbranch_vccz .LBB46_2587
; %bb.2582:
	v_mov_b32_e32 v7, 43
	v_cmp_gt_i16_sdwa s[0:1], v2, v7 src0_sel:BYTE_0 src1_sel:DWORD
	s_and_b64 vcc, exec, s[0:1]
	;; [unrolled: 5-line block ×3, first 2 shown]
	s_cbranch_vccz .LBB46_2590
; %bb.2584:
	v_mov_b32_e32 v7, 46
	v_cmp_eq_u16_sdwa s[10:11], v2, v7 src0_sel:BYTE_0 src1_sel:DWORD
	s_mov_b64 s[0:1], -1
	s_mov_b64 s[14:15], 0
	s_and_b64 vcc, exec, s[10:11]
	s_mov_b64 s[10:11], 0
	s_cbranch_vccz .LBB46_2591
; %bb.2585:
	v_and_b32_e32 v7, 0xffff, v4
	global_store_dword v[0:1], v7, off
	s_mov_b64 s[0:1], 0
	s_mov_b64 s[10:11], -1
	s_branch .LBB46_2591
.LBB46_2586:
	s_mov_b64 s[0:1], -1
	s_mov_b64 s[10:11], 0
	s_branch .LBB46_2662
.LBB46_2587:
	s_mov_b64 s[0:1], 0
	s_branch .LBB46_2601
.LBB46_2588:
	s_mov_b64 s[0:1], 0
	s_branch .LBB46_2597
.LBB46_2589:
	s_trap 2
	s_or_b64 s[18:19], s[18:19], exec
                                        ; implicit-def: $vgpr5
	s_cbranch_execz .LBB46_2527
	s_branch .LBB46_2528
.LBB46_2590:
	s_mov_b64 s[0:1], 0
.LBB46_2591:
	s_and_b64 vcc, exec, s[14:15]
	s_cbranch_vccz .LBB46_2596
; %bb.2592:
	v_mov_b32_e32 v7, 44
	v_cmp_eq_u16_sdwa s[14:15], v2, v7 src0_sel:BYTE_0 src1_sel:DWORD
	s_mov_b64 s[0:1], -1
	s_and_b64 vcc, exec, s[14:15]
	s_cbranch_vccz .LBB46_2596
; %bb.2593:
	v_and_b32_e32 v13, 0xffff, v4
	v_bfe_u32 v7, v13, 7, 8
	s_movk_i32 s0, 0xff
	v_cmp_ne_u32_e32 vcc, s0, v7
	v_mov_b32_e32 v14, 0xff
	s_and_saveexec_b64 s[10:11], vcc
; %bb.2594:
	v_lshlrev_b32_e32 v15, 16, v13
	s_mov_b32 s0, 0x3f0000
	v_lshrrev_b32_e32 v14, 7, v13
	v_and_b32_e32 v13, 64, v13
	v_and_or_b32 v7, v15, s0, v7
	v_cmp_ne_u32_e32 vcc, 0, v13
	v_cmp_ne_u32_e64 s[0:1], 0, v7
	s_and_b64 s[0:1], vcc, s[0:1]
	v_cndmask_b32_e64 v7, 0, 1, s[0:1]
	v_add_u32_e32 v14, v14, v7
; %bb.2595:
	s_or_b64 exec, exec, s[10:11]
	s_mov_b64 s[0:1], 0
	s_mov_b64 s[10:11], -1
	global_store_byte v[0:1], v14, off
.LBB46_2596:
	s_mov_b64 s[14:15], 0
.LBB46_2597:
	s_and_b64 vcc, exec, s[14:15]
	s_cbranch_vccz .LBB46_2600
; %bb.2598:
	v_mov_b32_e32 v7, 29
	v_cmp_eq_u16_sdwa s[14:15], v2, v7 src0_sel:BYTE_0 src1_sel:DWORD
	s_mov_b64 s[0:1], -1
	s_and_b64 vcc, exec, s[14:15]
	s_cbranch_vccz .LBB46_2600
; %bb.2599:
	v_lshlrev_b32_e32 v7, 16, v4
	v_trunc_f32_e32 v7, v7
	v_mul_f32_e32 v13, 0x2f800000, v7
	v_floor_f32_e32 v13, v13
	v_fmac_f32_e32 v7, 0xcf800000, v13
	v_cvt_u32_f32_e32 v15, v13
	v_cvt_u32_f32_e32 v14, v7
	s_mov_b64 s[0:1], 0
	s_mov_b64 s[10:11], -1
	s_mov_b64 s[14:15], 0
	global_store_dwordx2 v[0:1], v[14:15], off
	s_branch .LBB46_2601
.LBB46_2600:
	s_mov_b64 s[14:15], 0
.LBB46_2601:
	s_and_b64 vcc, exec, s[14:15]
	s_cbranch_vccz .LBB46_2617
; %bb.2602:
	v_mov_b32_e32 v7, 27
	v_cmp_lt_i16_sdwa s[14:15], v2, v7 src0_sel:BYTE_0 src1_sel:DWORD
	s_mov_b64 s[10:11], -1
	s_and_b64 vcc, exec, s[14:15]
	s_cbranch_vccnz .LBB46_2608
; %bb.2603:
	v_cmp_gt_i16_sdwa s[14:15], v2, v7 src0_sel:BYTE_0 src1_sel:DWORD
	s_and_b64 vcc, exec, s[14:15]
	s_cbranch_vccz .LBB46_2605
; %bb.2604:
	v_lshlrev_b32_e32 v7, 16, v4
	v_cvt_u32_f32_e32 v7, v7
	s_mov_b64 s[10:11], 0
	global_store_dword v[0:1], v7, off
.LBB46_2605:
	s_andn2_b64 vcc, exec, s[10:11]
	s_cbranch_vccnz .LBB46_2607
; %bb.2606:
	v_lshlrev_b32_e32 v7, 16, v4
	v_cvt_u32_f32_e32 v7, v7
	global_store_short v[0:1], v7, off
.LBB46_2607:
	s_mov_b64 s[10:11], 0
.LBB46_2608:
	s_andn2_b64 vcc, exec, s[10:11]
	s_cbranch_vccnz .LBB46_2616
; %bb.2609:
	v_lshlrev_b32_e32 v14, 16, v4
	v_and_b32_e32 v13, 0x7fffffff, v14
	s_mov_b32 s10, 0x43800000
	v_cmp_gt_u32_e32 vcc, s10, v13
	v_mov_b32_e32 v15, 0x80
	s_and_saveexec_b64 s[10:11], vcc
	s_cbranch_execz .LBB46_2615
; %bb.2610:
	s_mov_b32 s13, 0x3bffffff
	v_and_b32_e32 v7, 0xffff, v4
	v_cmp_lt_u32_e32 vcc, s13, v13
	s_mov_b64 s[14:15], 0
                                        ; implicit-def: $vgpr13
	s_and_saveexec_b64 s[16:17], vcc
	s_xor_b64 s[16:17], exec, s[16:17]
	s_cbranch_execz .LBB46_2711
; %bb.2611:
	v_bfe_u32 v13, v7, 4, 1
	s_mov_b32 s13, 0x487ffff
	v_add3_u32 v13, v14, v13, s13
	s_mov_b64 s[14:15], exec
	v_lshrrev_b32_e32 v13, 20, v13
                                        ; implicit-def: $vgpr14
	s_or_saveexec_b64 s[16:17], s[16:17]
                                        ; implicit-def: $sgpr13
	s_xor_b64 exec, exec, s[16:17]
	s_cbranch_execnz .LBB46_2712
.LBB46_2612:
	s_or_b64 exec, exec, s[16:17]
	v_mov_b32_e32 v15, s13
	s_and_saveexec_b64 s[16:17], s[14:15]
.LBB46_2613:
	v_lshrrev_b32_e32 v7, 8, v7
	s_movk_i32 s13, 0x80
	v_and_or_b32 v15, v7, s13, v13
.LBB46_2614:
	s_or_b64 exec, exec, s[16:17]
.LBB46_2615:
	s_or_b64 exec, exec, s[10:11]
	global_store_byte v[0:1], v15, off
.LBB46_2616:
	s_mov_b64 s[10:11], -1
.LBB46_2617:
	s_mov_b64 s[14:15], 0
.LBB46_2618:
	s_and_b64 vcc, exec, s[14:15]
	s_cbranch_vccz .LBB46_2658
; %bb.2619:
	v_mov_b32_e32 v7, 22
	v_cmp_gt_i16_sdwa s[14:15], v2, v7 src0_sel:BYTE_0 src1_sel:DWORD
	s_mov_b64 s[2:3], -1
	s_and_b64 vcc, exec, s[14:15]
	s_cbranch_vccz .LBB46_2651
; %bb.2620:
	v_mov_b32_e32 v7, 24
	v_cmp_lt_i16_sdwa s[10:11], v2, v7 src0_sel:BYTE_0 src1_sel:DWORD
	s_and_b64 vcc, exec, s[10:11]
	s_cbranch_vccnz .LBB46_2640
; %bb.2621:
	v_cmp_gt_i16_sdwa s[10:11], v2, v7 src0_sel:BYTE_0 src1_sel:DWORD
	s_and_b64 vcc, exec, s[10:11]
	s_cbranch_vccz .LBB46_2629
; %bb.2622:
	v_lshlrev_b32_e32 v14, 16, v4
	v_and_b32_e32 v13, 0x7fffffff, v14
	s_mov_b32 s2, 0x47800000
	v_cmp_gt_u32_e32 vcc, s2, v13
	v_mov_b32_e32 v15, 0x80
	s_and_saveexec_b64 s[2:3], vcc
	s_cbranch_execz .LBB46_2628
; %bb.2623:
	s_mov_b32 s10, 0x37ffffff
	v_and_b32_e32 v7, 0xffff, v4
	v_cmp_lt_u32_e32 vcc, s10, v13
	s_mov_b64 s[10:11], 0
                                        ; implicit-def: $vgpr13
	s_and_saveexec_b64 s[14:15], vcc
	s_xor_b64 s[14:15], exec, s[14:15]
	s_cbranch_execz .LBB46_2715
; %bb.2624:
	v_bfe_u32 v13, v7, 5, 1
	s_mov_b32 s13, 0x88fffff
	v_add3_u32 v13, v14, v13, s13
	s_mov_b64 s[10:11], exec
	v_lshrrev_b32_e32 v13, 21, v13
                                        ; implicit-def: $vgpr14
	s_or_saveexec_b64 s[14:15], s[14:15]
                                        ; implicit-def: $sgpr13
	s_xor_b64 exec, exec, s[14:15]
	s_cbranch_execnz .LBB46_2716
.LBB46_2625:
	s_or_b64 exec, exec, s[14:15]
	v_mov_b32_e32 v15, s13
	s_and_saveexec_b64 s[14:15], s[10:11]
.LBB46_2626:
	v_lshrrev_b32_e32 v7, 8, v7
	s_movk_i32 s10, 0x80
	v_and_or_b32 v15, v7, s10, v13
.LBB46_2627:
	s_or_b64 exec, exec, s[14:15]
.LBB46_2628:
	s_or_b64 exec, exec, s[2:3]
	s_mov_b64 s[2:3], 0
	global_store_byte v[0:1], v15, off
.LBB46_2629:
	s_and_b64 vcc, exec, s[2:3]
	s_cbranch_vccz .LBB46_2639
; %bb.2630:
	v_lshlrev_b32_e32 v14, 16, v4
	v_and_b32_e32 v15, 0x7fffffff, v14
	s_mov_b32 s2, 0x43f00000
	v_and_b32_e32 v7, 0xffff, v4
	v_cmp_gt_u32_e32 vcc, s2, v15
                                        ; implicit-def: $vgpr13
	s_and_saveexec_b64 s[2:3], vcc
	s_xor_b64 s[2:3], exec, s[2:3]
	s_cbranch_execz .LBB46_2636
; %bb.2631:
	s_mov_b32 s10, 0x3c7fffff
	v_cmp_lt_u32_e32 vcc, s10, v15
                                        ; implicit-def: $vgpr13
	s_and_saveexec_b64 s[10:11], vcc
	s_xor_b64 s[10:11], exec, s[10:11]
; %bb.2632:
	v_bfe_u32 v13, v7, 4, 1
	s_mov_b32 s13, 0x407ffff
	v_add3_u32 v13, v14, v13, s13
	v_lshrrev_b32_e32 v14, 20, v13
	v_and_b32_e32 v13, 0xff00000, v13
	s_mov_b32 s13, 0x7f00000
	v_mov_b32_e32 v15, 0x7e
	v_cmp_ne_u32_e32 vcc, s13, v13
	v_cndmask_b32_e32 v13, v15, v14, vcc
                                        ; implicit-def: $vgpr14
; %bb.2633:
	s_andn2_saveexec_b64 s[10:11], s[10:11]
; %bb.2634:
	s_mov_b32 s13, 0x46800000
	v_add_f32_e64 v13, |v14|, s13
; %bb.2635:
	s_or_b64 exec, exec, s[10:11]
                                        ; implicit-def: $vgpr15
.LBB46_2636:
	s_andn2_saveexec_b64 s[2:3], s[2:3]
; %bb.2637:
	s_mov_b32 s10, 0x7f800000
	v_mov_b32_e32 v13, 0x7e
	v_mov_b32_e32 v14, 0x7f
	v_cmp_lt_u32_e32 vcc, s10, v15
	v_cndmask_b32_e32 v13, v13, v14, vcc
; %bb.2638:
	s_or_b64 exec, exec, s[2:3]
	v_lshrrev_b32_e32 v7, 8, v7
	s_movk_i32 s2, 0x80
	v_and_or_b32 v7, v7, s2, v13
	global_store_byte v[0:1], v7, off
.LBB46_2639:
	s_mov_b64 s[2:3], 0
.LBB46_2640:
	s_andn2_b64 vcc, exec, s[2:3]
	s_cbranch_vccnz .LBB46_2650
; %bb.2641:
	v_lshlrev_b32_e32 v14, 16, v4
	v_and_b32_e32 v15, 0x7fffffff, v14
	s_mov_b32 s2, 0x47800000
	v_and_b32_e32 v7, 0xffff, v4
	v_cmp_gt_u32_e32 vcc, s2, v15
                                        ; implicit-def: $vgpr13
	s_and_saveexec_b64 s[2:3], vcc
	s_xor_b64 s[2:3], exec, s[2:3]
	s_cbranch_execz .LBB46_2647
; %bb.2642:
	s_mov_b32 s10, 0x387fffff
	v_cmp_lt_u32_e32 vcc, s10, v15
                                        ; implicit-def: $vgpr13
	s_and_saveexec_b64 s[10:11], vcc
	s_xor_b64 s[10:11], exec, s[10:11]
; %bb.2643:
	v_bfe_u32 v13, v7, 5, 1
	s_mov_b32 s13, 0x80fffff
	v_add3_u32 v13, v14, v13, s13
	v_lshrrev_b32_e32 v13, 21, v13
                                        ; implicit-def: $vgpr14
; %bb.2644:
	s_andn2_saveexec_b64 s[10:11], s[10:11]
; %bb.2645:
	s_mov_b32 s13, 0x43000000
	v_add_f32_e64 v13, |v14|, s13
; %bb.2646:
	s_or_b64 exec, exec, s[10:11]
                                        ; implicit-def: $vgpr15
.LBB46_2647:
	s_andn2_saveexec_b64 s[2:3], s[2:3]
; %bb.2648:
	s_mov_b32 s10, 0x7f800000
	v_mov_b32_e32 v13, 0x7c
	v_mov_b32_e32 v14, 0x7f
	v_cmp_lt_u32_e32 vcc, s10, v15
	v_cndmask_b32_e32 v13, v13, v14, vcc
; %bb.2649:
	s_or_b64 exec, exec, s[2:3]
	v_lshrrev_b32_e32 v7, 8, v7
	s_movk_i32 s2, 0x80
	v_and_or_b32 v7, v7, s2, v13
	global_store_byte v[0:1], v7, off
.LBB46_2650:
	s_mov_b64 s[2:3], 0
	s_mov_b64 s[10:11], -1
.LBB46_2651:
	s_andn2_b64 vcc, exec, s[2:3]
	s_mov_b64 s[2:3], 0
	s_cbranch_vccnz .LBB46_2658
; %bb.2652:
	v_mov_b32_e32 v7, 14
	v_cmp_gt_i16_sdwa s[2:3], v2, v7 src0_sel:BYTE_0 src1_sel:DWORD
	s_mov_b64 s[14:15], -1
	s_and_b64 vcc, exec, s[2:3]
	s_cbranch_vccz .LBB46_2656
; %bb.2653:
	v_mov_b32_e32 v7, 15
	v_cmp_eq_u16_sdwa s[2:3], v2, v7 src0_sel:BYTE_0 src1_sel:DWORD
	s_mov_b64 s[0:1], -1
	s_and_b64 vcc, exec, s[2:3]
	s_cbranch_vccz .LBB46_2655
; %bb.2654:
	global_store_short v[0:1], v4, off
	s_mov_b64 s[0:1], 0
	s_mov_b64 s[10:11], -1
.LBB46_2655:
	s_mov_b64 s[14:15], 0
.LBB46_2656:
	s_mov_b64 s[2:3], 0
	s_and_b64 vcc, exec, s[14:15]
	s_cbranch_vccz .LBB46_2658
; %bb.2657:
	v_mov_b32_e32 v7, 11
	v_cmp_ne_u16_sdwa s[0:1], v2, v7 src0_sel:BYTE_0 src1_sel:DWORD
	s_mov_b64 s[2:3], -1
.LBB46_2658:
	s_and_b64 vcc, exec, s[0:1]
	s_cbranch_vccnz .LBB46_2714
; %bb.2659:
	s_andn2_b64 vcc, exec, s[2:3]
	s_cbranch_vccnz .LBB46_2661
.LBB46_2660:
	v_cmp_ne_u16_e32 vcc, 0, v6
	v_cndmask_b32_e64 v6, 0, 1, vcc
	s_mov_b64 s[10:11], -1
	global_store_byte v[0:1], v6, off
.LBB46_2661:
	s_mov_b64 s[0:1], 0
.LBB46_2662:
	s_and_b64 vcc, exec, s[0:1]
	s_cbranch_vccz .LBB46_2701
; %bb.2663:
	v_mov_b32_e32 v6, 5
	v_cmp_lt_i16_sdwa s[2:3], v2, v6 src0_sel:BYTE_0 src1_sel:DWORD
	s_mov_b64 s[0:1], -1
	s_and_b64 vcc, exec, s[2:3]
	s_cbranch_vccnz .LBB46_2684
; %bb.2664:
	v_mov_b32_e32 v6, 8
	v_cmp_lt_i16_sdwa s[2:3], v2, v6 src0_sel:BYTE_0 src1_sel:DWORD
	s_and_b64 vcc, exec, s[2:3]
	s_cbranch_vccnz .LBB46_2674
; %bb.2665:
	v_mov_b32_e32 v6, 9
	v_cmp_lt_i16_sdwa s[2:3], v2, v6 src0_sel:BYTE_0 src1_sel:DWORD
	s_and_b64 vcc, exec, s[2:3]
	s_cbranch_vccnz .LBB46_2671
; %bb.2666:
	v_cmp_gt_i16_sdwa s[2:3], v2, v6 src0_sel:BYTE_0 src1_sel:DWORD
	s_and_b64 vcc, exec, s[2:3]
	s_cbranch_vccz .LBB46_2668
; %bb.2667:
	v_lshlrev_b32_e32 v6, 16, v4
	v_mov_b32_e32 v16, 0
	v_cvt_f64_f32_e32 v[14:15], v6
	v_mov_b32_e32 v17, v16
	global_store_dwordx4 v[0:1], v[14:17], off
	s_mov_b64 s[0:1], 0
.LBB46_2668:
	s_andn2_b64 vcc, exec, s[0:1]
	s_cbranch_vccnz .LBB46_2670
; %bb.2669:
	v_lshlrev_b32_e32 v6, 16, v4
	v_mov_b32_e32 v7, 0
	global_store_dwordx2 v[0:1], v[6:7], off
.LBB46_2670:
	s_mov_b64 s[0:1], 0
.LBB46_2671:
	s_andn2_b64 vcc, exec, s[0:1]
	s_cbranch_vccnz .LBB46_2673
; %bb.2672:
	v_lshlrev_b32_e32 v6, 16, v4
	v_cvt_f16_f32_e32 v6, v6
	global_store_dword v[0:1], v6, off
.LBB46_2673:
	s_mov_b64 s[0:1], 0
.LBB46_2674:
	s_andn2_b64 vcc, exec, s[0:1]
	s_cbranch_vccnz .LBB46_2683
; %bb.2675:
	v_mov_b32_e32 v6, 6
	v_cmp_lt_i16_sdwa s[2:3], v2, v6 src0_sel:BYTE_0 src1_sel:DWORD
	s_mov_b64 s[0:1], -1
	s_and_b64 vcc, exec, s[2:3]
	s_cbranch_vccnz .LBB46_2681
; %bb.2676:
	v_cmp_gt_i16_sdwa s[2:3], v2, v6 src0_sel:BYTE_0 src1_sel:DWORD
	s_and_b64 vcc, exec, s[2:3]
	s_cbranch_vccz .LBB46_2678
; %bb.2677:
	v_lshlrev_b32_e32 v6, 16, v4
	v_cvt_f64_f32_e32 v[6:7], v6
	global_store_dwordx2 v[0:1], v[6:7], off
	s_mov_b64 s[0:1], 0
.LBB46_2678:
	s_andn2_b64 vcc, exec, s[0:1]
	s_cbranch_vccnz .LBB46_2680
; %bb.2679:
	v_lshlrev_b32_e32 v6, 16, v4
	global_store_dword v[0:1], v6, off
.LBB46_2680:
	s_mov_b64 s[0:1], 0
.LBB46_2681:
	s_andn2_b64 vcc, exec, s[0:1]
	s_cbranch_vccnz .LBB46_2683
; %bb.2682:
	v_lshlrev_b32_e32 v6, 16, v4
	v_cvt_f16_f32_e32 v6, v6
	global_store_short v[0:1], v6, off
.LBB46_2683:
	s_mov_b64 s[0:1], 0
.LBB46_2684:
	s_andn2_b64 vcc, exec, s[0:1]
	s_cbranch_vccnz .LBB46_2700
; %bb.2685:
	v_mov_b32_e32 v6, 2
	v_cmp_lt_i16_sdwa s[2:3], v2, v6 src0_sel:BYTE_0 src1_sel:DWORD
	s_mov_b64 s[0:1], -1
	s_and_b64 vcc, exec, s[2:3]
	s_cbranch_vccnz .LBB46_2695
; %bb.2686:
	v_mov_b32_e32 v6, 3
	v_cmp_lt_i16_sdwa s[2:3], v2, v6 src0_sel:BYTE_0 src1_sel:DWORD
	s_and_b64 vcc, exec, s[2:3]
	s_cbranch_vccnz .LBB46_2692
; %bb.2687:
	v_cmp_gt_i16_sdwa s[2:3], v2, v6 src0_sel:BYTE_0 src1_sel:DWORD
	s_and_b64 vcc, exec, s[2:3]
	s_cbranch_vccz .LBB46_2689
; %bb.2688:
	v_lshlrev_b32_e32 v6, 16, v4
	v_trunc_f32_e32 v6, v6
	s_mov_b32 s0, 0x2f800000
	v_mul_f32_e64 v7, |v6|, s0
	v_floor_f32_e32 v7, v7
	s_mov_b32 s0, 0xcf800000
	v_cvt_u32_f32_e32 v13, v7
	v_fma_f32 v7, v7, s0, |v6|
	v_cvt_u32_f32_e32 v7, v7
	v_ashrrev_i32_e32 v14, 31, v6
	v_xor_b32_e32 v13, v13, v14
	s_mov_b64 s[0:1], 0
	v_xor_b32_e32 v6, v7, v14
	v_sub_co_u32_e32 v6, vcc, v6, v14
	v_subb_co_u32_e32 v7, vcc, v13, v14, vcc
	global_store_dwordx2 v[0:1], v[6:7], off
.LBB46_2689:
	s_andn2_b64 vcc, exec, s[0:1]
	s_cbranch_vccnz .LBB46_2691
; %bb.2690:
	v_lshlrev_b32_e32 v6, 16, v4
	v_cvt_i32_f32_e32 v6, v6
	global_store_dword v[0:1], v6, off
.LBB46_2691:
	s_mov_b64 s[0:1], 0
.LBB46_2692:
	s_andn2_b64 vcc, exec, s[0:1]
	s_cbranch_vccnz .LBB46_2694
; %bb.2693:
	v_lshlrev_b32_e32 v6, 16, v4
	v_cvt_i32_f32_e32 v6, v6
	global_store_short v[0:1], v6, off
.LBB46_2694:
	s_mov_b64 s[0:1], 0
.LBB46_2695:
	s_andn2_b64 vcc, exec, s[0:1]
	s_cbranch_vccnz .LBB46_2700
; %bb.2696:
	v_mov_b32_e32 v6, 0
	v_cmp_gt_i16_sdwa s[2:3], v2, v6 src0_sel:BYTE_0 src1_sel:DWORD
	s_mov_b64 s[0:1], -1
	s_and_b64 vcc, exec, s[2:3]
	v_lshlrev_b32_e32 v4, 16, v4
	s_cbranch_vccz .LBB46_2698
; %bb.2697:
	v_cvt_i32_f32_e32 v6, v4
	s_mov_b64 s[0:1], 0
	global_store_byte v[0:1], v6, off
.LBB46_2698:
	s_andn2_b64 vcc, exec, s[0:1]
	s_cbranch_vccnz .LBB46_2700
; %bb.2699:
	v_trunc_f32_e32 v4, v4
	s_mov_b32 s0, 0x2f800000
	v_mul_f32_e64 v6, |v4|, s0
	v_floor_f32_e32 v6, v6
	s_mov_b32 s0, 0xcf800000
	v_fma_f32 v6, v6, s0, |v4|
	v_cvt_u32_f32_e32 v6, v6
	v_ashrrev_i32_e32 v4, 31, v4
	v_xor_b32_e32 v6, v6, v4
	v_sub_u32_e32 v4, v6, v4
	global_store_byte v[0:1], v4, off
.LBB46_2700:
	s_mov_b64 s[10:11], -1
.LBB46_2701:
	s_andn2_b64 vcc, exec, s[10:11]
	s_cbranch_vccnz .LBB46_3032
; %bb.2702:
	s_lshl_b32 s16, s12, 7
	v_and_b32_e32 v6, 0x7fff, v8
	v_and_b32_e32 v0, 0xffff8000, v9
	v_add_u32_e32 v3, s16, v3
	v_or_b32_e32 v4, v0, v6
	v_ashrrev_i32_e32 v1, 31, v3
	v_mov_b32_e32 v7, s9
	v_add_co_u32_e32 v0, vcc, s8, v3
	v_addc_co_u32_e32 v1, vcc, v7, v1, vcc
	v_mov_b32_e32 v7, 11
	v_cmp_lt_i16_sdwa s[0:1], v2, v7 src0_sel:BYTE_0 src1_sel:DWORD
	s_and_b64 vcc, exec, s[0:1]
	s_cbranch_vccnz .LBB46_2709
; %bb.2703:
	v_mov_b32_e32 v7, 25
	v_cmp_gt_i16_sdwa s[0:1], v2, v7 src0_sel:BYTE_0 src1_sel:DWORD
	s_mov_b64 s[12:13], -1
	s_mov_b64 s[2:3], 0
	s_and_b64 vcc, exec, s[0:1]
	s_mov_b64 s[10:11], 0
	s_mov_b64 s[0:1], 0
	s_cbranch_vccz .LBB46_2745
; %bb.2704:
	v_mov_b32_e32 v7, 28
	v_cmp_gt_i16_sdwa s[0:1], v2, v7 src0_sel:BYTE_0 src1_sel:DWORD
	s_and_b64 vcc, exec, s[0:1]
	s_cbranch_vccz .LBB46_2710
; %bb.2705:
	v_mov_b32_e32 v7, 43
	v_cmp_gt_i16_sdwa s[0:1], v2, v7 src0_sel:BYTE_0 src1_sel:DWORD
	s_and_b64 vcc, exec, s[0:1]
	;; [unrolled: 5-line block ×3, first 2 shown]
	s_cbranch_vccz .LBB46_2717
; %bb.2707:
	v_mov_b32_e32 v7, 46
	v_cmp_eq_u16_sdwa s[10:11], v2, v7 src0_sel:BYTE_0 src1_sel:DWORD
	s_mov_b64 s[0:1], -1
	s_mov_b64 s[12:13], 0
	s_and_b64 vcc, exec, s[10:11]
	s_mov_b64 s[10:11], 0
	s_cbranch_vccz .LBB46_2718
; %bb.2708:
	v_and_b32_e32 v7, 0xffff, v4
	global_store_dword v[0:1], v7, off
	s_mov_b64 s[0:1], 0
	s_mov_b64 s[10:11], -1
	s_branch .LBB46_2718
.LBB46_2709:
	s_mov_b64 s[0:1], -1
	s_mov_b64 s[10:11], 0
	s_branch .LBB46_2789
.LBB46_2710:
	s_mov_b64 s[0:1], 0
	s_branch .LBB46_2728
.LBB46_2711:
	s_or_saveexec_b64 s[16:17], s[16:17]
                                        ; implicit-def: $sgpr13
	s_xor_b64 exec, exec, s[16:17]
	s_cbranch_execz .LBB46_2612
.LBB46_2712:
	s_mov_b32 s13, 0x46000000
	v_add_f32_e64 v13, |v14|, s13
	v_and_b32_e32 v13, 0xff, v13
	v_cmp_ne_u32_e32 vcc, 0, v13
	s_andn2_b64 s[14:15], s[14:15], exec
	s_and_b64 s[20:21], vcc, exec
	s_mov_b32 s13, 0
	s_or_b64 s[14:15], s[14:15], s[20:21]
	s_or_b64 exec, exec, s[16:17]
	v_mov_b32_e32 v15, s13
	s_and_saveexec_b64 s[16:17], s[14:15]
	s_cbranch_execnz .LBB46_2613
	s_branch .LBB46_2614
.LBB46_2713:
	s_mov_b64 s[0:1], 0
	s_branch .LBB46_2724
.LBB46_2714:
	s_trap 2
	s_or_b64 s[18:19], s[18:19], exec
	s_cbranch_execz .LBB46_2660
	s_branch .LBB46_2661
.LBB46_2715:
	s_or_saveexec_b64 s[14:15], s[14:15]
                                        ; implicit-def: $sgpr13
	s_xor_b64 exec, exec, s[14:15]
	s_cbranch_execz .LBB46_2625
.LBB46_2716:
	s_mov_b32 s13, 0x42800000
	v_add_f32_e64 v13, |v14|, s13
	v_and_b32_e32 v13, 0xff, v13
	v_cmp_ne_u32_e32 vcc, 0, v13
	s_andn2_b64 s[10:11], s[10:11], exec
	s_and_b64 s[16:17], vcc, exec
	s_mov_b32 s13, 0
	s_or_b64 s[10:11], s[10:11], s[16:17]
	s_or_b64 exec, exec, s[14:15]
	v_mov_b32_e32 v15, s13
	s_and_saveexec_b64 s[14:15], s[10:11]
	s_cbranch_execnz .LBB46_2626
	s_branch .LBB46_2627
.LBB46_2717:
	s_mov_b64 s[0:1], 0
.LBB46_2718:
	s_and_b64 vcc, exec, s[12:13]
	s_cbranch_vccz .LBB46_2723
; %bb.2719:
	v_mov_b32_e32 v7, 44
	v_cmp_eq_u16_sdwa s[12:13], v2, v7 src0_sel:BYTE_0 src1_sel:DWORD
	s_mov_b64 s[0:1], -1
	s_and_b64 vcc, exec, s[12:13]
	s_cbranch_vccz .LBB46_2723
; %bb.2720:
	v_and_b32_e32 v8, 0xffff, v4
	v_bfe_u32 v7, v8, 7, 8
	s_movk_i32 s0, 0xff
	v_cmp_ne_u32_e32 vcc, s0, v7
	v_mov_b32_e32 v9, 0xff
	s_and_saveexec_b64 s[10:11], vcc
; %bb.2721:
	v_lshlrev_b32_e32 v13, 16, v8
	s_mov_b32 s0, 0x3f0000
	v_lshrrev_b32_e32 v9, 7, v8
	v_and_b32_e32 v8, 64, v8
	v_and_or_b32 v7, v13, s0, v7
	v_cmp_ne_u32_e32 vcc, 0, v8
	v_cmp_ne_u32_e64 s[0:1], 0, v7
	s_and_b64 s[0:1], vcc, s[0:1]
	v_cndmask_b32_e64 v7, 0, 1, s[0:1]
	v_add_u32_e32 v9, v9, v7
; %bb.2722:
	s_or_b64 exec, exec, s[10:11]
	s_mov_b64 s[0:1], 0
	s_mov_b64 s[10:11], -1
	global_store_byte v[0:1], v9, off
.LBB46_2723:
	s_mov_b64 s[12:13], 0
.LBB46_2724:
	s_and_b64 vcc, exec, s[12:13]
	s_cbranch_vccz .LBB46_2727
; %bb.2725:
	v_mov_b32_e32 v7, 29
	v_cmp_eq_u16_sdwa s[12:13], v2, v7 src0_sel:BYTE_0 src1_sel:DWORD
	s_mov_b64 s[0:1], -1
	s_and_b64 vcc, exec, s[12:13]
	s_cbranch_vccz .LBB46_2727
; %bb.2726:
	v_lshlrev_b32_e32 v7, 16, v4
	v_trunc_f32_e32 v7, v7
	v_mul_f32_e32 v8, 0x2f800000, v7
	v_floor_f32_e32 v8, v8
	v_fmac_f32_e32 v7, 0xcf800000, v8
	v_cvt_u32_f32_e32 v9, v8
	v_cvt_u32_f32_e32 v8, v7
	s_mov_b64 s[0:1], 0
	s_mov_b64 s[10:11], -1
	s_mov_b64 s[12:13], 0
	global_store_dwordx2 v[0:1], v[8:9], off
	s_branch .LBB46_2728
.LBB46_2727:
	s_mov_b64 s[12:13], 0
.LBB46_2728:
	s_and_b64 vcc, exec, s[12:13]
	s_cbranch_vccz .LBB46_2744
; %bb.2729:
	v_mov_b32_e32 v7, 27
	v_cmp_lt_i16_sdwa s[12:13], v2, v7 src0_sel:BYTE_0 src1_sel:DWORD
	s_mov_b64 s[10:11], -1
	s_and_b64 vcc, exec, s[12:13]
	s_cbranch_vccnz .LBB46_2735
; %bb.2730:
	v_cmp_gt_i16_sdwa s[12:13], v2, v7 src0_sel:BYTE_0 src1_sel:DWORD
	s_and_b64 vcc, exec, s[12:13]
	s_cbranch_vccz .LBB46_2732
; %bb.2731:
	v_lshlrev_b32_e32 v7, 16, v4
	v_cvt_u32_f32_e32 v7, v7
	s_mov_b64 s[10:11], 0
	global_store_dword v[0:1], v7, off
.LBB46_2732:
	s_andn2_b64 vcc, exec, s[10:11]
	s_cbranch_vccnz .LBB46_2734
; %bb.2733:
	v_lshlrev_b32_e32 v7, 16, v4
	v_cvt_u32_f32_e32 v7, v7
	global_store_short v[0:1], v7, off
.LBB46_2734:
	s_mov_b64 s[10:11], 0
.LBB46_2735:
	s_andn2_b64 vcc, exec, s[10:11]
	s_cbranch_vccnz .LBB46_2743
; %bb.2736:
	v_lshlrev_b32_e32 v9, 16, v4
	v_and_b32_e32 v8, 0x7fffffff, v9
	s_mov_b32 s10, 0x43800000
	v_cmp_gt_u32_e32 vcc, s10, v8
	v_mov_b32_e32 v13, 0x80
	s_and_saveexec_b64 s[10:11], vcc
	s_cbranch_execz .LBB46_2742
; %bb.2737:
	s_mov_b32 s12, 0x3bffffff
	v_and_b32_e32 v7, 0xffff, v4
	v_cmp_lt_u32_e32 vcc, s12, v8
	s_mov_b64 s[12:13], 0
                                        ; implicit-def: $vgpr8
	s_and_saveexec_b64 s[14:15], vcc
	s_xor_b64 s[14:15], exec, s[14:15]
	s_cbranch_execz .LBB46_2838
; %bb.2738:
	v_bfe_u32 v8, v7, 4, 1
	s_mov_b32 s17, 0x487ffff
	v_add3_u32 v8, v9, v8, s17
	s_mov_b64 s[12:13], exec
	v_lshrrev_b32_e32 v8, 20, v8
                                        ; implicit-def: $vgpr9
	s_or_saveexec_b64 s[14:15], s[14:15]
                                        ; implicit-def: $sgpr17
	s_xor_b64 exec, exec, s[14:15]
	s_cbranch_execnz .LBB46_2839
.LBB46_2739:
	s_or_b64 exec, exec, s[14:15]
	v_mov_b32_e32 v13, s17
	s_and_saveexec_b64 s[14:15], s[12:13]
.LBB46_2740:
	v_lshrrev_b32_e32 v7, 8, v7
	s_movk_i32 s12, 0x80
	v_and_or_b32 v13, v7, s12, v8
.LBB46_2741:
	s_or_b64 exec, exec, s[14:15]
.LBB46_2742:
	s_or_b64 exec, exec, s[10:11]
	global_store_byte v[0:1], v13, off
.LBB46_2743:
	s_mov_b64 s[10:11], -1
.LBB46_2744:
	s_mov_b64 s[12:13], 0
.LBB46_2745:
	s_and_b64 vcc, exec, s[12:13]
	s_cbranch_vccz .LBB46_2785
; %bb.2746:
	v_mov_b32_e32 v7, 22
	v_cmp_gt_i16_sdwa s[12:13], v2, v7 src0_sel:BYTE_0 src1_sel:DWORD
	s_mov_b64 s[2:3], -1
	s_and_b64 vcc, exec, s[12:13]
	s_cbranch_vccz .LBB46_2778
; %bb.2747:
	v_mov_b32_e32 v7, 24
	v_cmp_lt_i16_sdwa s[10:11], v2, v7 src0_sel:BYTE_0 src1_sel:DWORD
	s_and_b64 vcc, exec, s[10:11]
	s_cbranch_vccnz .LBB46_2767
; %bb.2748:
	v_cmp_gt_i16_sdwa s[10:11], v2, v7 src0_sel:BYTE_0 src1_sel:DWORD
	s_and_b64 vcc, exec, s[10:11]
	s_cbranch_vccz .LBB46_2756
; %bb.2749:
	v_lshlrev_b32_e32 v9, 16, v4
	v_and_b32_e32 v8, 0x7fffffff, v9
	s_mov_b32 s2, 0x47800000
	v_cmp_gt_u32_e32 vcc, s2, v8
	v_mov_b32_e32 v13, 0x80
	s_and_saveexec_b64 s[2:3], vcc
	s_cbranch_execz .LBB46_2755
; %bb.2750:
	s_mov_b32 s10, 0x37ffffff
	v_and_b32_e32 v7, 0xffff, v4
	v_cmp_lt_u32_e32 vcc, s10, v8
	s_mov_b64 s[10:11], 0
                                        ; implicit-def: $vgpr8
	s_and_saveexec_b64 s[12:13], vcc
	s_xor_b64 s[12:13], exec, s[12:13]
	s_cbranch_execz .LBB46_2842
; %bb.2751:
	v_bfe_u32 v8, v7, 5, 1
	s_mov_b32 s14, 0x88fffff
	v_add3_u32 v8, v9, v8, s14
	s_mov_b64 s[10:11], exec
	v_lshrrev_b32_e32 v8, 21, v8
                                        ; implicit-def: $vgpr9
	s_or_saveexec_b64 s[12:13], s[12:13]
                                        ; implicit-def: $sgpr14
	s_xor_b64 exec, exec, s[12:13]
	s_cbranch_execnz .LBB46_2843
.LBB46_2752:
	s_or_b64 exec, exec, s[12:13]
	v_mov_b32_e32 v13, s14
	s_and_saveexec_b64 s[12:13], s[10:11]
.LBB46_2753:
	v_lshrrev_b32_e32 v7, 8, v7
	s_movk_i32 s10, 0x80
	v_and_or_b32 v13, v7, s10, v8
.LBB46_2754:
	s_or_b64 exec, exec, s[12:13]
.LBB46_2755:
	s_or_b64 exec, exec, s[2:3]
	s_mov_b64 s[2:3], 0
	global_store_byte v[0:1], v13, off
.LBB46_2756:
	s_and_b64 vcc, exec, s[2:3]
	s_cbranch_vccz .LBB46_2766
; %bb.2757:
	v_lshlrev_b32_e32 v9, 16, v4
	v_and_b32_e32 v13, 0x7fffffff, v9
	s_mov_b32 s2, 0x43f00000
	v_and_b32_e32 v7, 0xffff, v4
	v_cmp_gt_u32_e32 vcc, s2, v13
                                        ; implicit-def: $vgpr8
	s_and_saveexec_b64 s[2:3], vcc
	s_xor_b64 s[2:3], exec, s[2:3]
	s_cbranch_execz .LBB46_2763
; %bb.2758:
	s_mov_b32 s10, 0x3c7fffff
	v_cmp_lt_u32_e32 vcc, s10, v13
                                        ; implicit-def: $vgpr8
	s_and_saveexec_b64 s[10:11], vcc
	s_xor_b64 s[10:11], exec, s[10:11]
; %bb.2759:
	v_bfe_u32 v8, v7, 4, 1
	s_mov_b32 s12, 0x407ffff
	v_add3_u32 v8, v9, v8, s12
	v_lshrrev_b32_e32 v9, 20, v8
	v_and_b32_e32 v8, 0xff00000, v8
	s_mov_b32 s12, 0x7f00000
	v_mov_b32_e32 v13, 0x7e
	v_cmp_ne_u32_e32 vcc, s12, v8
	v_cndmask_b32_e32 v8, v13, v9, vcc
                                        ; implicit-def: $vgpr9
; %bb.2760:
	s_andn2_saveexec_b64 s[10:11], s[10:11]
; %bb.2761:
	s_mov_b32 s12, 0x46800000
	v_add_f32_e64 v8, |v9|, s12
; %bb.2762:
	s_or_b64 exec, exec, s[10:11]
                                        ; implicit-def: $vgpr13
.LBB46_2763:
	s_andn2_saveexec_b64 s[2:3], s[2:3]
; %bb.2764:
	s_mov_b32 s10, 0x7f800000
	v_mov_b32_e32 v8, 0x7e
	v_mov_b32_e32 v9, 0x7f
	v_cmp_lt_u32_e32 vcc, s10, v13
	v_cndmask_b32_e32 v8, v8, v9, vcc
; %bb.2765:
	s_or_b64 exec, exec, s[2:3]
	v_lshrrev_b32_e32 v7, 8, v7
	s_movk_i32 s2, 0x80
	v_and_or_b32 v7, v7, s2, v8
	global_store_byte v[0:1], v7, off
.LBB46_2766:
	s_mov_b64 s[2:3], 0
.LBB46_2767:
	s_andn2_b64 vcc, exec, s[2:3]
	s_cbranch_vccnz .LBB46_2777
; %bb.2768:
	v_lshlrev_b32_e32 v9, 16, v4
	v_and_b32_e32 v13, 0x7fffffff, v9
	s_mov_b32 s2, 0x47800000
	v_and_b32_e32 v7, 0xffff, v4
	v_cmp_gt_u32_e32 vcc, s2, v13
                                        ; implicit-def: $vgpr8
	s_and_saveexec_b64 s[2:3], vcc
	s_xor_b64 s[2:3], exec, s[2:3]
	s_cbranch_execz .LBB46_2774
; %bb.2769:
	s_mov_b32 s10, 0x387fffff
	v_cmp_lt_u32_e32 vcc, s10, v13
                                        ; implicit-def: $vgpr8
	s_and_saveexec_b64 s[10:11], vcc
	s_xor_b64 s[10:11], exec, s[10:11]
; %bb.2770:
	v_bfe_u32 v8, v7, 5, 1
	s_mov_b32 s12, 0x80fffff
	v_add3_u32 v8, v9, v8, s12
	v_lshrrev_b32_e32 v8, 21, v8
                                        ; implicit-def: $vgpr9
; %bb.2771:
	s_andn2_saveexec_b64 s[10:11], s[10:11]
; %bb.2772:
	s_mov_b32 s12, 0x43000000
	v_add_f32_e64 v8, |v9|, s12
; %bb.2773:
	s_or_b64 exec, exec, s[10:11]
                                        ; implicit-def: $vgpr13
.LBB46_2774:
	s_andn2_saveexec_b64 s[2:3], s[2:3]
; %bb.2775:
	s_mov_b32 s10, 0x7f800000
	v_mov_b32_e32 v8, 0x7c
	v_mov_b32_e32 v9, 0x7f
	v_cmp_lt_u32_e32 vcc, s10, v13
	v_cndmask_b32_e32 v8, v8, v9, vcc
; %bb.2776:
	s_or_b64 exec, exec, s[2:3]
	v_lshrrev_b32_e32 v7, 8, v7
	s_movk_i32 s2, 0x80
	v_and_or_b32 v7, v7, s2, v8
	global_store_byte v[0:1], v7, off
.LBB46_2777:
	s_mov_b64 s[2:3], 0
	s_mov_b64 s[10:11], -1
.LBB46_2778:
	s_andn2_b64 vcc, exec, s[2:3]
	s_mov_b64 s[2:3], 0
	s_cbranch_vccnz .LBB46_2785
; %bb.2779:
	v_mov_b32_e32 v7, 14
	v_cmp_gt_i16_sdwa s[2:3], v2, v7 src0_sel:BYTE_0 src1_sel:DWORD
	s_mov_b64 s[12:13], -1
	s_and_b64 vcc, exec, s[2:3]
	s_cbranch_vccz .LBB46_2783
; %bb.2780:
	v_mov_b32_e32 v7, 15
	v_cmp_eq_u16_sdwa s[2:3], v2, v7 src0_sel:BYTE_0 src1_sel:DWORD
	s_mov_b64 s[0:1], -1
	s_and_b64 vcc, exec, s[2:3]
	s_cbranch_vccz .LBB46_2782
; %bb.2781:
	global_store_short v[0:1], v4, off
	s_mov_b64 s[0:1], 0
	s_mov_b64 s[10:11], -1
.LBB46_2782:
	s_mov_b64 s[12:13], 0
.LBB46_2783:
	s_mov_b64 s[2:3], 0
	s_and_b64 vcc, exec, s[12:13]
	s_cbranch_vccz .LBB46_2785
; %bb.2784:
	v_mov_b32_e32 v7, 11
	v_cmp_ne_u16_sdwa s[0:1], v2, v7 src0_sel:BYTE_0 src1_sel:DWORD
	s_mov_b64 s[2:3], -1
.LBB46_2785:
	s_and_b64 vcc, exec, s[0:1]
	s_cbranch_vccnz .LBB46_2841
; %bb.2786:
	s_andn2_b64 vcc, exec, s[2:3]
	s_cbranch_vccnz .LBB46_2788
.LBB46_2787:
	v_cmp_ne_u16_e32 vcc, 0, v6
	v_cndmask_b32_e64 v6, 0, 1, vcc
	s_mov_b64 s[10:11], -1
	global_store_byte v[0:1], v6, off
.LBB46_2788:
	s_mov_b64 s[0:1], 0
.LBB46_2789:
	s_and_b64 vcc, exec, s[0:1]
	s_cbranch_vccz .LBB46_2828
; %bb.2790:
	v_mov_b32_e32 v6, 5
	v_cmp_lt_i16_sdwa s[2:3], v2, v6 src0_sel:BYTE_0 src1_sel:DWORD
	s_mov_b64 s[0:1], -1
	s_and_b64 vcc, exec, s[2:3]
	s_cbranch_vccnz .LBB46_2811
; %bb.2791:
	v_mov_b32_e32 v6, 8
	v_cmp_lt_i16_sdwa s[2:3], v2, v6 src0_sel:BYTE_0 src1_sel:DWORD
	s_and_b64 vcc, exec, s[2:3]
	s_cbranch_vccnz .LBB46_2801
; %bb.2792:
	v_mov_b32_e32 v6, 9
	v_cmp_lt_i16_sdwa s[2:3], v2, v6 src0_sel:BYTE_0 src1_sel:DWORD
	s_and_b64 vcc, exec, s[2:3]
	s_cbranch_vccnz .LBB46_2798
; %bb.2793:
	v_cmp_gt_i16_sdwa s[2:3], v2, v6 src0_sel:BYTE_0 src1_sel:DWORD
	s_and_b64 vcc, exec, s[2:3]
	s_cbranch_vccz .LBB46_2795
; %bb.2794:
	v_lshlrev_b32_e32 v6, 16, v4
	v_mov_b32_e32 v8, 0
	v_cvt_f64_f32_e32 v[6:7], v6
	v_mov_b32_e32 v9, v8
	global_store_dwordx4 v[0:1], v[6:9], off
	s_mov_b64 s[0:1], 0
.LBB46_2795:
	s_andn2_b64 vcc, exec, s[0:1]
	s_cbranch_vccnz .LBB46_2797
; %bb.2796:
	v_lshlrev_b32_e32 v6, 16, v4
	v_mov_b32_e32 v7, 0
	global_store_dwordx2 v[0:1], v[6:7], off
.LBB46_2797:
	s_mov_b64 s[0:1], 0
.LBB46_2798:
	s_andn2_b64 vcc, exec, s[0:1]
	s_cbranch_vccnz .LBB46_2800
; %bb.2799:
	v_lshlrev_b32_e32 v6, 16, v4
	v_cvt_f16_f32_e32 v6, v6
	global_store_dword v[0:1], v6, off
.LBB46_2800:
	s_mov_b64 s[0:1], 0
.LBB46_2801:
	s_andn2_b64 vcc, exec, s[0:1]
	s_cbranch_vccnz .LBB46_2810
; %bb.2802:
	v_mov_b32_e32 v6, 6
	v_cmp_lt_i16_sdwa s[2:3], v2, v6 src0_sel:BYTE_0 src1_sel:DWORD
	s_mov_b64 s[0:1], -1
	s_and_b64 vcc, exec, s[2:3]
	s_cbranch_vccnz .LBB46_2808
; %bb.2803:
	v_cmp_gt_i16_sdwa s[2:3], v2, v6 src0_sel:BYTE_0 src1_sel:DWORD
	s_and_b64 vcc, exec, s[2:3]
	s_cbranch_vccz .LBB46_2805
; %bb.2804:
	v_lshlrev_b32_e32 v6, 16, v4
	v_cvt_f64_f32_e32 v[6:7], v6
	global_store_dwordx2 v[0:1], v[6:7], off
	s_mov_b64 s[0:1], 0
.LBB46_2805:
	s_andn2_b64 vcc, exec, s[0:1]
	s_cbranch_vccnz .LBB46_2807
; %bb.2806:
	v_lshlrev_b32_e32 v6, 16, v4
	global_store_dword v[0:1], v6, off
.LBB46_2807:
	s_mov_b64 s[0:1], 0
.LBB46_2808:
	s_andn2_b64 vcc, exec, s[0:1]
	s_cbranch_vccnz .LBB46_2810
; %bb.2809:
	v_lshlrev_b32_e32 v6, 16, v4
	v_cvt_f16_f32_e32 v6, v6
	global_store_short v[0:1], v6, off
.LBB46_2810:
	s_mov_b64 s[0:1], 0
.LBB46_2811:
	s_andn2_b64 vcc, exec, s[0:1]
	s_cbranch_vccnz .LBB46_2827
; %bb.2812:
	v_mov_b32_e32 v6, 2
	v_cmp_lt_i16_sdwa s[2:3], v2, v6 src0_sel:BYTE_0 src1_sel:DWORD
	s_mov_b64 s[0:1], -1
	s_and_b64 vcc, exec, s[2:3]
	s_cbranch_vccnz .LBB46_2822
; %bb.2813:
	v_mov_b32_e32 v6, 3
	v_cmp_lt_i16_sdwa s[2:3], v2, v6 src0_sel:BYTE_0 src1_sel:DWORD
	s_and_b64 vcc, exec, s[2:3]
	s_cbranch_vccnz .LBB46_2819
; %bb.2814:
	v_cmp_gt_i16_sdwa s[2:3], v2, v6 src0_sel:BYTE_0 src1_sel:DWORD
	s_and_b64 vcc, exec, s[2:3]
	s_cbranch_vccz .LBB46_2816
; %bb.2815:
	v_lshlrev_b32_e32 v6, 16, v4
	v_trunc_f32_e32 v6, v6
	s_mov_b32 s0, 0x2f800000
	v_mul_f32_e64 v7, |v6|, s0
	v_floor_f32_e32 v7, v7
	s_mov_b32 s0, 0xcf800000
	v_cvt_u32_f32_e32 v8, v7
	v_fma_f32 v7, v7, s0, |v6|
	v_cvt_u32_f32_e32 v7, v7
	v_ashrrev_i32_e32 v9, 31, v6
	v_xor_b32_e32 v8, v8, v9
	s_mov_b64 s[0:1], 0
	v_xor_b32_e32 v6, v7, v9
	v_sub_co_u32_e32 v6, vcc, v6, v9
	v_subb_co_u32_e32 v7, vcc, v8, v9, vcc
	global_store_dwordx2 v[0:1], v[6:7], off
.LBB46_2816:
	s_andn2_b64 vcc, exec, s[0:1]
	s_cbranch_vccnz .LBB46_2818
; %bb.2817:
	v_lshlrev_b32_e32 v6, 16, v4
	v_cvt_i32_f32_e32 v6, v6
	global_store_dword v[0:1], v6, off
.LBB46_2818:
	s_mov_b64 s[0:1], 0
.LBB46_2819:
	s_andn2_b64 vcc, exec, s[0:1]
	s_cbranch_vccnz .LBB46_2821
; %bb.2820:
	v_lshlrev_b32_e32 v6, 16, v4
	v_cvt_i32_f32_e32 v6, v6
	global_store_short v[0:1], v6, off
.LBB46_2821:
	s_mov_b64 s[0:1], 0
.LBB46_2822:
	s_andn2_b64 vcc, exec, s[0:1]
	s_cbranch_vccnz .LBB46_2827
; %bb.2823:
	v_mov_b32_e32 v6, 0
	v_cmp_gt_i16_sdwa s[2:3], v2, v6 src0_sel:BYTE_0 src1_sel:DWORD
	s_mov_b64 s[0:1], -1
	s_and_b64 vcc, exec, s[2:3]
	v_lshlrev_b32_e32 v4, 16, v4
	s_cbranch_vccz .LBB46_2825
; %bb.2824:
	v_cvt_i32_f32_e32 v6, v4
	s_mov_b64 s[0:1], 0
	global_store_byte v[0:1], v6, off
.LBB46_2825:
	s_andn2_b64 vcc, exec, s[0:1]
	s_cbranch_vccnz .LBB46_2827
; %bb.2826:
	v_trunc_f32_e32 v4, v4
	s_mov_b32 s0, 0x2f800000
	v_mul_f32_e64 v6, |v4|, s0
	v_floor_f32_e32 v6, v6
	s_mov_b32 s0, 0xcf800000
	v_fma_f32 v6, v6, s0, |v4|
	v_cvt_u32_f32_e32 v6, v6
	v_ashrrev_i32_e32 v4, 31, v4
	v_xor_b32_e32 v6, v6, v4
	v_sub_u32_e32 v4, v6, v4
	global_store_byte v[0:1], v4, off
.LBB46_2827:
	s_mov_b64 s[10:11], -1
.LBB46_2828:
	s_andn2_b64 vcc, exec, s[10:11]
	s_cbranch_vccnz .LBB46_3032
; %bb.2829:
	v_and_b32_e32 v6, 0x7fff, v10
	v_and_b32_e32 v0, 0xffff8000, v11
	v_add_u32_e32 v3, s16, v3
	v_or_b32_e32 v4, v0, v6
	v_ashrrev_i32_e32 v1, 31, v3
	v_mov_b32_e32 v7, s9
	v_add_co_u32_e32 v0, vcc, s8, v3
	v_addc_co_u32_e32 v1, vcc, v7, v1, vcc
	v_mov_b32_e32 v7, 11
	v_cmp_lt_i16_sdwa s[0:1], v2, v7 src0_sel:BYTE_0 src1_sel:DWORD
	s_and_b64 vcc, exec, s[0:1]
	s_cbranch_vccnz .LBB46_2836
; %bb.2830:
	v_mov_b32_e32 v7, 25
	v_cmp_gt_i16_sdwa s[0:1], v2, v7 src0_sel:BYTE_0 src1_sel:DWORD
	s_mov_b64 s[12:13], -1
	s_mov_b64 s[2:3], 0
	s_and_b64 vcc, exec, s[0:1]
	s_mov_b64 s[10:11], 0
	s_mov_b64 s[0:1], 0
	s_cbranch_vccz .LBB46_2872
; %bb.2831:
	v_mov_b32_e32 v7, 28
	v_cmp_gt_i16_sdwa s[0:1], v2, v7 src0_sel:BYTE_0 src1_sel:DWORD
	s_and_b64 vcc, exec, s[0:1]
	s_cbranch_vccz .LBB46_2837
; %bb.2832:
	v_mov_b32_e32 v7, 43
	v_cmp_gt_i16_sdwa s[0:1], v2, v7 src0_sel:BYTE_0 src1_sel:DWORD
	s_and_b64 vcc, exec, s[0:1]
	;; [unrolled: 5-line block ×3, first 2 shown]
	s_cbranch_vccz .LBB46_2844
; %bb.2834:
	v_mov_b32_e32 v7, 46
	v_cmp_eq_u16_sdwa s[10:11], v2, v7 src0_sel:BYTE_0 src1_sel:DWORD
	s_mov_b64 s[0:1], -1
	s_mov_b64 s[12:13], 0
	s_and_b64 vcc, exec, s[10:11]
	s_mov_b64 s[10:11], 0
	s_cbranch_vccz .LBB46_2845
; %bb.2835:
	v_and_b32_e32 v7, 0xffff, v4
	global_store_dword v[0:1], v7, off
	s_mov_b64 s[0:1], 0
	s_mov_b64 s[10:11], -1
	s_branch .LBB46_2845
.LBB46_2836:
	s_mov_b64 s[0:1], -1
	s_mov_b64 s[10:11], 0
	s_branch .LBB46_2916
.LBB46_2837:
	s_mov_b64 s[0:1], 0
	s_branch .LBB46_2855
.LBB46_2838:
	s_or_saveexec_b64 s[14:15], s[14:15]
                                        ; implicit-def: $sgpr17
	s_xor_b64 exec, exec, s[14:15]
	s_cbranch_execz .LBB46_2739
.LBB46_2839:
	s_mov_b32 s17, 0x46000000
	v_add_f32_e64 v8, |v9|, s17
	v_and_b32_e32 v8, 0xff, v8
	v_cmp_ne_u32_e32 vcc, 0, v8
	s_andn2_b64 s[12:13], s[12:13], exec
	s_and_b64 s[20:21], vcc, exec
	s_mov_b32 s17, 0
	s_or_b64 s[12:13], s[12:13], s[20:21]
	s_or_b64 exec, exec, s[14:15]
	v_mov_b32_e32 v13, s17
	s_and_saveexec_b64 s[14:15], s[12:13]
	s_cbranch_execnz .LBB46_2740
	s_branch .LBB46_2741
.LBB46_2840:
	s_mov_b64 s[0:1], 0
	s_branch .LBB46_2851
.LBB46_2841:
	s_trap 2
	s_or_b64 s[18:19], s[18:19], exec
	s_cbranch_execz .LBB46_2787
	s_branch .LBB46_2788
.LBB46_2842:
	s_or_saveexec_b64 s[12:13], s[12:13]
                                        ; implicit-def: $sgpr14
	s_xor_b64 exec, exec, s[12:13]
	s_cbranch_execz .LBB46_2752
.LBB46_2843:
	s_mov_b32 s14, 0x42800000
	v_add_f32_e64 v8, |v9|, s14
	v_and_b32_e32 v8, 0xff, v8
	v_cmp_ne_u32_e32 vcc, 0, v8
	s_andn2_b64 s[10:11], s[10:11], exec
	s_and_b64 s[20:21], vcc, exec
	s_mov_b32 s14, 0
	s_or_b64 s[10:11], s[10:11], s[20:21]
	s_or_b64 exec, exec, s[12:13]
	v_mov_b32_e32 v13, s14
	s_and_saveexec_b64 s[12:13], s[10:11]
	s_cbranch_execnz .LBB46_2753
	s_branch .LBB46_2754
.LBB46_2844:
	s_mov_b64 s[0:1], 0
.LBB46_2845:
	s_and_b64 vcc, exec, s[12:13]
	s_cbranch_vccz .LBB46_2850
; %bb.2846:
	v_mov_b32_e32 v7, 44
	v_cmp_eq_u16_sdwa s[12:13], v2, v7 src0_sel:BYTE_0 src1_sel:DWORD
	s_mov_b64 s[0:1], -1
	s_and_b64 vcc, exec, s[12:13]
	s_cbranch_vccz .LBB46_2850
; %bb.2847:
	v_and_b32_e32 v8, 0xffff, v4
	v_bfe_u32 v7, v8, 7, 8
	s_movk_i32 s0, 0xff
	v_cmp_ne_u32_e32 vcc, s0, v7
	v_mov_b32_e32 v9, 0xff
	s_and_saveexec_b64 s[10:11], vcc
; %bb.2848:
	v_lshlrev_b32_e32 v10, 16, v8
	s_mov_b32 s0, 0x3f0000
	v_lshrrev_b32_e32 v9, 7, v8
	v_and_b32_e32 v8, 64, v8
	v_and_or_b32 v7, v10, s0, v7
	v_cmp_ne_u32_e32 vcc, 0, v8
	v_cmp_ne_u32_e64 s[0:1], 0, v7
	s_and_b64 s[0:1], vcc, s[0:1]
	v_cndmask_b32_e64 v7, 0, 1, s[0:1]
	v_add_u32_e32 v9, v9, v7
; %bb.2849:
	s_or_b64 exec, exec, s[10:11]
	s_mov_b64 s[0:1], 0
	s_mov_b64 s[10:11], -1
	global_store_byte v[0:1], v9, off
.LBB46_2850:
	s_mov_b64 s[12:13], 0
.LBB46_2851:
	s_and_b64 vcc, exec, s[12:13]
	s_cbranch_vccz .LBB46_2854
; %bb.2852:
	v_mov_b32_e32 v7, 29
	v_cmp_eq_u16_sdwa s[12:13], v2, v7 src0_sel:BYTE_0 src1_sel:DWORD
	s_mov_b64 s[0:1], -1
	s_and_b64 vcc, exec, s[12:13]
	s_cbranch_vccz .LBB46_2854
; %bb.2853:
	v_lshlrev_b32_e32 v7, 16, v4
	v_trunc_f32_e32 v7, v7
	v_mul_f32_e32 v8, 0x2f800000, v7
	v_floor_f32_e32 v8, v8
	v_fmac_f32_e32 v7, 0xcf800000, v8
	v_cvt_u32_f32_e32 v9, v8
	v_cvt_u32_f32_e32 v8, v7
	s_mov_b64 s[0:1], 0
	s_mov_b64 s[10:11], -1
	s_mov_b64 s[12:13], 0
	global_store_dwordx2 v[0:1], v[8:9], off
	s_branch .LBB46_2855
.LBB46_2854:
	s_mov_b64 s[12:13], 0
.LBB46_2855:
	s_and_b64 vcc, exec, s[12:13]
	s_cbranch_vccz .LBB46_2871
; %bb.2856:
	v_mov_b32_e32 v7, 27
	v_cmp_lt_i16_sdwa s[12:13], v2, v7 src0_sel:BYTE_0 src1_sel:DWORD
	s_mov_b64 s[10:11], -1
	s_and_b64 vcc, exec, s[12:13]
	s_cbranch_vccnz .LBB46_2862
; %bb.2857:
	v_cmp_gt_i16_sdwa s[12:13], v2, v7 src0_sel:BYTE_0 src1_sel:DWORD
	s_and_b64 vcc, exec, s[12:13]
	s_cbranch_vccz .LBB46_2859
; %bb.2858:
	v_lshlrev_b32_e32 v7, 16, v4
	v_cvt_u32_f32_e32 v7, v7
	s_mov_b64 s[10:11], 0
	global_store_dword v[0:1], v7, off
.LBB46_2859:
	s_andn2_b64 vcc, exec, s[10:11]
	s_cbranch_vccnz .LBB46_2861
; %bb.2860:
	v_lshlrev_b32_e32 v7, 16, v4
	v_cvt_u32_f32_e32 v7, v7
	global_store_short v[0:1], v7, off
.LBB46_2861:
	s_mov_b64 s[10:11], 0
.LBB46_2862:
	s_andn2_b64 vcc, exec, s[10:11]
	s_cbranch_vccnz .LBB46_2870
; %bb.2863:
	v_lshlrev_b32_e32 v9, 16, v4
	v_and_b32_e32 v8, 0x7fffffff, v9
	s_mov_b32 s10, 0x43800000
	v_cmp_gt_u32_e32 vcc, s10, v8
	v_mov_b32_e32 v10, 0x80
	s_and_saveexec_b64 s[10:11], vcc
	s_cbranch_execz .LBB46_2869
; %bb.2864:
	s_mov_b32 s12, 0x3bffffff
	v_and_b32_e32 v7, 0xffff, v4
	v_cmp_lt_u32_e32 vcc, s12, v8
	s_mov_b64 s[12:13], 0
                                        ; implicit-def: $vgpr8
	s_and_saveexec_b64 s[14:15], vcc
	s_xor_b64 s[14:15], exec, s[14:15]
	s_cbranch_execz .LBB46_3078
; %bb.2865:
	v_bfe_u32 v8, v7, 4, 1
	s_mov_b32 s17, 0x487ffff
	v_add3_u32 v8, v9, v8, s17
	s_mov_b64 s[12:13], exec
	v_lshrrev_b32_e32 v8, 20, v8
                                        ; implicit-def: $vgpr9
	s_or_saveexec_b64 s[14:15], s[14:15]
                                        ; implicit-def: $sgpr17
	s_xor_b64 exec, exec, s[14:15]
	s_cbranch_execnz .LBB46_3079
.LBB46_2866:
	s_or_b64 exec, exec, s[14:15]
	v_mov_b32_e32 v10, s17
	s_and_saveexec_b64 s[14:15], s[12:13]
.LBB46_2867:
	v_lshrrev_b32_e32 v7, 8, v7
	s_movk_i32 s12, 0x80
	v_and_or_b32 v10, v7, s12, v8
.LBB46_2868:
	s_or_b64 exec, exec, s[14:15]
.LBB46_2869:
	s_or_b64 exec, exec, s[10:11]
	global_store_byte v[0:1], v10, off
.LBB46_2870:
	s_mov_b64 s[10:11], -1
.LBB46_2871:
	s_mov_b64 s[12:13], 0
.LBB46_2872:
	s_and_b64 vcc, exec, s[12:13]
	s_cbranch_vccz .LBB46_2912
; %bb.2873:
	v_mov_b32_e32 v7, 22
	v_cmp_gt_i16_sdwa s[12:13], v2, v7 src0_sel:BYTE_0 src1_sel:DWORD
	s_mov_b64 s[2:3], -1
	s_and_b64 vcc, exec, s[12:13]
	s_cbranch_vccz .LBB46_2905
; %bb.2874:
	v_mov_b32_e32 v7, 24
	v_cmp_lt_i16_sdwa s[10:11], v2, v7 src0_sel:BYTE_0 src1_sel:DWORD
	s_and_b64 vcc, exec, s[10:11]
	s_cbranch_vccnz .LBB46_2894
; %bb.2875:
	v_cmp_gt_i16_sdwa s[10:11], v2, v7 src0_sel:BYTE_0 src1_sel:DWORD
	s_and_b64 vcc, exec, s[10:11]
	s_cbranch_vccz .LBB46_2883
; %bb.2876:
	v_lshlrev_b32_e32 v9, 16, v4
	v_and_b32_e32 v8, 0x7fffffff, v9
	s_mov_b32 s2, 0x47800000
	v_cmp_gt_u32_e32 vcc, s2, v8
	v_mov_b32_e32 v10, 0x80
	s_and_saveexec_b64 s[2:3], vcc
	s_cbranch_execz .LBB46_2882
; %bb.2877:
	s_mov_b32 s10, 0x37ffffff
	v_and_b32_e32 v7, 0xffff, v4
	v_cmp_lt_u32_e32 vcc, s10, v8
	s_mov_b64 s[10:11], 0
                                        ; implicit-def: $vgpr8
	s_and_saveexec_b64 s[12:13], vcc
	s_xor_b64 s[12:13], exec, s[12:13]
	s_cbranch_execz .LBB46_3081
; %bb.2878:
	v_bfe_u32 v8, v7, 5, 1
	s_mov_b32 s14, 0x88fffff
	v_add3_u32 v8, v9, v8, s14
	s_mov_b64 s[10:11], exec
	v_lshrrev_b32_e32 v8, 21, v8
                                        ; implicit-def: $vgpr9
	s_or_saveexec_b64 s[12:13], s[12:13]
                                        ; implicit-def: $sgpr14
	s_xor_b64 exec, exec, s[12:13]
	s_cbranch_execnz .LBB46_3082
.LBB46_2879:
	s_or_b64 exec, exec, s[12:13]
	v_mov_b32_e32 v10, s14
	s_and_saveexec_b64 s[12:13], s[10:11]
.LBB46_2880:
	v_lshrrev_b32_e32 v7, 8, v7
	s_movk_i32 s10, 0x80
	v_and_or_b32 v10, v7, s10, v8
.LBB46_2881:
	s_or_b64 exec, exec, s[12:13]
.LBB46_2882:
	s_or_b64 exec, exec, s[2:3]
	s_mov_b64 s[2:3], 0
	global_store_byte v[0:1], v10, off
.LBB46_2883:
	s_and_b64 vcc, exec, s[2:3]
	s_cbranch_vccz .LBB46_2893
; %bb.2884:
	v_lshlrev_b32_e32 v9, 16, v4
	v_and_b32_e32 v10, 0x7fffffff, v9
	s_mov_b32 s2, 0x43f00000
	v_and_b32_e32 v7, 0xffff, v4
	v_cmp_gt_u32_e32 vcc, s2, v10
                                        ; implicit-def: $vgpr8
	s_and_saveexec_b64 s[2:3], vcc
	s_xor_b64 s[2:3], exec, s[2:3]
	s_cbranch_execz .LBB46_2890
; %bb.2885:
	s_mov_b32 s10, 0x3c7fffff
	v_cmp_lt_u32_e32 vcc, s10, v10
                                        ; implicit-def: $vgpr8
	s_and_saveexec_b64 s[10:11], vcc
	s_xor_b64 s[10:11], exec, s[10:11]
; %bb.2886:
	v_bfe_u32 v8, v7, 4, 1
	s_mov_b32 s12, 0x407ffff
	v_add3_u32 v8, v9, v8, s12
	v_lshrrev_b32_e32 v9, 20, v8
	v_and_b32_e32 v8, 0xff00000, v8
	s_mov_b32 s12, 0x7f00000
	v_mov_b32_e32 v10, 0x7e
	v_cmp_ne_u32_e32 vcc, s12, v8
	v_cndmask_b32_e32 v8, v10, v9, vcc
                                        ; implicit-def: $vgpr9
; %bb.2887:
	s_andn2_saveexec_b64 s[10:11], s[10:11]
; %bb.2888:
	s_mov_b32 s12, 0x46800000
	v_add_f32_e64 v8, |v9|, s12
; %bb.2889:
	s_or_b64 exec, exec, s[10:11]
                                        ; implicit-def: $vgpr10
.LBB46_2890:
	s_andn2_saveexec_b64 s[2:3], s[2:3]
; %bb.2891:
	s_mov_b32 s10, 0x7f800000
	v_mov_b32_e32 v8, 0x7e
	v_mov_b32_e32 v9, 0x7f
	v_cmp_lt_u32_e32 vcc, s10, v10
	v_cndmask_b32_e32 v8, v8, v9, vcc
; %bb.2892:
	s_or_b64 exec, exec, s[2:3]
	v_lshrrev_b32_e32 v7, 8, v7
	s_movk_i32 s2, 0x80
	v_and_or_b32 v7, v7, s2, v8
	global_store_byte v[0:1], v7, off
.LBB46_2893:
	s_mov_b64 s[2:3], 0
.LBB46_2894:
	s_andn2_b64 vcc, exec, s[2:3]
	s_cbranch_vccnz .LBB46_2904
; %bb.2895:
	v_lshlrev_b32_e32 v9, 16, v4
	v_and_b32_e32 v10, 0x7fffffff, v9
	s_mov_b32 s2, 0x47800000
	v_and_b32_e32 v7, 0xffff, v4
	v_cmp_gt_u32_e32 vcc, s2, v10
                                        ; implicit-def: $vgpr8
	s_and_saveexec_b64 s[2:3], vcc
	s_xor_b64 s[2:3], exec, s[2:3]
	s_cbranch_execz .LBB46_2901
; %bb.2896:
	s_mov_b32 s10, 0x387fffff
	v_cmp_lt_u32_e32 vcc, s10, v10
                                        ; implicit-def: $vgpr8
	s_and_saveexec_b64 s[10:11], vcc
	s_xor_b64 s[10:11], exec, s[10:11]
; %bb.2897:
	v_bfe_u32 v8, v7, 5, 1
	s_mov_b32 s12, 0x80fffff
	v_add3_u32 v8, v9, v8, s12
	v_lshrrev_b32_e32 v8, 21, v8
                                        ; implicit-def: $vgpr9
; %bb.2898:
	s_andn2_saveexec_b64 s[10:11], s[10:11]
; %bb.2899:
	s_mov_b32 s12, 0x43000000
	v_add_f32_e64 v8, |v9|, s12
; %bb.2900:
	s_or_b64 exec, exec, s[10:11]
                                        ; implicit-def: $vgpr10
.LBB46_2901:
	s_andn2_saveexec_b64 s[2:3], s[2:3]
; %bb.2902:
	s_mov_b32 s10, 0x7f800000
	v_mov_b32_e32 v8, 0x7c
	v_mov_b32_e32 v9, 0x7f
	v_cmp_lt_u32_e32 vcc, s10, v10
	v_cndmask_b32_e32 v8, v8, v9, vcc
; %bb.2903:
	s_or_b64 exec, exec, s[2:3]
	v_lshrrev_b32_e32 v7, 8, v7
	s_movk_i32 s2, 0x80
	v_and_or_b32 v7, v7, s2, v8
	global_store_byte v[0:1], v7, off
.LBB46_2904:
	s_mov_b64 s[2:3], 0
	s_mov_b64 s[10:11], -1
.LBB46_2905:
	s_andn2_b64 vcc, exec, s[2:3]
	s_mov_b64 s[2:3], 0
	s_cbranch_vccnz .LBB46_2912
; %bb.2906:
	v_mov_b32_e32 v7, 14
	v_cmp_gt_i16_sdwa s[2:3], v2, v7 src0_sel:BYTE_0 src1_sel:DWORD
	s_mov_b64 s[12:13], -1
	s_and_b64 vcc, exec, s[2:3]
	s_cbranch_vccz .LBB46_2910
; %bb.2907:
	v_mov_b32_e32 v7, 15
	v_cmp_eq_u16_sdwa s[2:3], v2, v7 src0_sel:BYTE_0 src1_sel:DWORD
	s_mov_b64 s[0:1], -1
	s_and_b64 vcc, exec, s[2:3]
	s_cbranch_vccz .LBB46_2909
; %bb.2908:
	global_store_short v[0:1], v4, off
	s_mov_b64 s[0:1], 0
	s_mov_b64 s[10:11], -1
.LBB46_2909:
	s_mov_b64 s[12:13], 0
.LBB46_2910:
	s_mov_b64 s[2:3], 0
	s_and_b64 vcc, exec, s[12:13]
	s_cbranch_vccz .LBB46_2912
; %bb.2911:
	v_mov_b32_e32 v7, 11
	v_cmp_ne_u16_sdwa s[0:1], v2, v7 src0_sel:BYTE_0 src1_sel:DWORD
	s_mov_b64 s[2:3], -1
.LBB46_2912:
	s_and_b64 vcc, exec, s[0:1]
	s_cbranch_vccnz .LBB46_3080
; %bb.2913:
	s_andn2_b64 vcc, exec, s[2:3]
	s_cbranch_vccnz .LBB46_2915
.LBB46_2914:
	v_cmp_ne_u16_e32 vcc, 0, v6
	v_cndmask_b32_e64 v6, 0, 1, vcc
	s_mov_b64 s[10:11], -1
	global_store_byte v[0:1], v6, off
.LBB46_2915:
	s_mov_b64 s[0:1], 0
.LBB46_2916:
	s_and_b64 vcc, exec, s[0:1]
	s_cbranch_vccz .LBB46_2955
; %bb.2917:
	v_mov_b32_e32 v6, 5
	v_cmp_lt_i16_sdwa s[2:3], v2, v6 src0_sel:BYTE_0 src1_sel:DWORD
	s_mov_b64 s[0:1], -1
	s_and_b64 vcc, exec, s[2:3]
	s_cbranch_vccnz .LBB46_2938
; %bb.2918:
	v_mov_b32_e32 v6, 8
	v_cmp_lt_i16_sdwa s[2:3], v2, v6 src0_sel:BYTE_0 src1_sel:DWORD
	s_and_b64 vcc, exec, s[2:3]
	s_cbranch_vccnz .LBB46_2928
; %bb.2919:
	v_mov_b32_e32 v6, 9
	v_cmp_lt_i16_sdwa s[2:3], v2, v6 src0_sel:BYTE_0 src1_sel:DWORD
	s_and_b64 vcc, exec, s[2:3]
	s_cbranch_vccnz .LBB46_2925
; %bb.2920:
	v_cmp_gt_i16_sdwa s[2:3], v2, v6 src0_sel:BYTE_0 src1_sel:DWORD
	s_and_b64 vcc, exec, s[2:3]
	s_cbranch_vccz .LBB46_2922
; %bb.2921:
	v_lshlrev_b32_e32 v6, 16, v4
	v_mov_b32_e32 v8, 0
	v_cvt_f64_f32_e32 v[6:7], v6
	v_mov_b32_e32 v9, v8
	global_store_dwordx4 v[0:1], v[6:9], off
	s_mov_b64 s[0:1], 0
.LBB46_2922:
	s_andn2_b64 vcc, exec, s[0:1]
	s_cbranch_vccnz .LBB46_2924
; %bb.2923:
	v_lshlrev_b32_e32 v6, 16, v4
	v_mov_b32_e32 v7, 0
	global_store_dwordx2 v[0:1], v[6:7], off
.LBB46_2924:
	s_mov_b64 s[0:1], 0
.LBB46_2925:
	s_andn2_b64 vcc, exec, s[0:1]
	s_cbranch_vccnz .LBB46_2927
; %bb.2926:
	v_lshlrev_b32_e32 v6, 16, v4
	v_cvt_f16_f32_e32 v6, v6
	global_store_dword v[0:1], v6, off
.LBB46_2927:
	s_mov_b64 s[0:1], 0
.LBB46_2928:
	s_andn2_b64 vcc, exec, s[0:1]
	s_cbranch_vccnz .LBB46_2937
; %bb.2929:
	v_mov_b32_e32 v6, 6
	v_cmp_lt_i16_sdwa s[2:3], v2, v6 src0_sel:BYTE_0 src1_sel:DWORD
	s_mov_b64 s[0:1], -1
	s_and_b64 vcc, exec, s[2:3]
	s_cbranch_vccnz .LBB46_2935
; %bb.2930:
	v_cmp_gt_i16_sdwa s[2:3], v2, v6 src0_sel:BYTE_0 src1_sel:DWORD
	s_and_b64 vcc, exec, s[2:3]
	s_cbranch_vccz .LBB46_2932
; %bb.2931:
	v_lshlrev_b32_e32 v6, 16, v4
	v_cvt_f64_f32_e32 v[6:7], v6
	global_store_dwordx2 v[0:1], v[6:7], off
	s_mov_b64 s[0:1], 0
.LBB46_2932:
	s_andn2_b64 vcc, exec, s[0:1]
	s_cbranch_vccnz .LBB46_2934
; %bb.2933:
	v_lshlrev_b32_e32 v6, 16, v4
	global_store_dword v[0:1], v6, off
.LBB46_2934:
	s_mov_b64 s[0:1], 0
.LBB46_2935:
	s_andn2_b64 vcc, exec, s[0:1]
	s_cbranch_vccnz .LBB46_2937
; %bb.2936:
	v_lshlrev_b32_e32 v6, 16, v4
	v_cvt_f16_f32_e32 v6, v6
	global_store_short v[0:1], v6, off
.LBB46_2937:
	s_mov_b64 s[0:1], 0
.LBB46_2938:
	s_andn2_b64 vcc, exec, s[0:1]
	s_cbranch_vccnz .LBB46_2954
; %bb.2939:
	v_mov_b32_e32 v6, 2
	v_cmp_lt_i16_sdwa s[2:3], v2, v6 src0_sel:BYTE_0 src1_sel:DWORD
	s_mov_b64 s[0:1], -1
	s_and_b64 vcc, exec, s[2:3]
	s_cbranch_vccnz .LBB46_2949
; %bb.2940:
	v_mov_b32_e32 v6, 3
	v_cmp_lt_i16_sdwa s[2:3], v2, v6 src0_sel:BYTE_0 src1_sel:DWORD
	s_and_b64 vcc, exec, s[2:3]
	s_cbranch_vccnz .LBB46_2946
; %bb.2941:
	v_cmp_gt_i16_sdwa s[2:3], v2, v6 src0_sel:BYTE_0 src1_sel:DWORD
	s_and_b64 vcc, exec, s[2:3]
	s_cbranch_vccz .LBB46_2943
; %bb.2942:
	v_lshlrev_b32_e32 v6, 16, v4
	v_trunc_f32_e32 v6, v6
	s_mov_b32 s0, 0x2f800000
	v_mul_f32_e64 v7, |v6|, s0
	v_floor_f32_e32 v7, v7
	s_mov_b32 s0, 0xcf800000
	v_cvt_u32_f32_e32 v8, v7
	v_fma_f32 v7, v7, s0, |v6|
	v_cvt_u32_f32_e32 v7, v7
	v_ashrrev_i32_e32 v9, 31, v6
	v_xor_b32_e32 v8, v8, v9
	s_mov_b64 s[0:1], 0
	v_xor_b32_e32 v6, v7, v9
	v_sub_co_u32_e32 v6, vcc, v6, v9
	v_subb_co_u32_e32 v7, vcc, v8, v9, vcc
	global_store_dwordx2 v[0:1], v[6:7], off
.LBB46_2943:
	s_andn2_b64 vcc, exec, s[0:1]
	s_cbranch_vccnz .LBB46_2945
; %bb.2944:
	v_lshlrev_b32_e32 v6, 16, v4
	v_cvt_i32_f32_e32 v6, v6
	global_store_dword v[0:1], v6, off
.LBB46_2945:
	s_mov_b64 s[0:1], 0
.LBB46_2946:
	s_andn2_b64 vcc, exec, s[0:1]
	s_cbranch_vccnz .LBB46_2948
; %bb.2947:
	v_lshlrev_b32_e32 v6, 16, v4
	v_cvt_i32_f32_e32 v6, v6
	global_store_short v[0:1], v6, off
.LBB46_2948:
	s_mov_b64 s[0:1], 0
.LBB46_2949:
	s_andn2_b64 vcc, exec, s[0:1]
	s_cbranch_vccnz .LBB46_2954
; %bb.2950:
	v_mov_b32_e32 v6, 0
	v_cmp_gt_i16_sdwa s[2:3], v2, v6 src0_sel:BYTE_0 src1_sel:DWORD
	s_mov_b64 s[0:1], -1
	s_and_b64 vcc, exec, s[2:3]
	v_lshlrev_b32_e32 v4, 16, v4
	s_cbranch_vccz .LBB46_2952
; %bb.2951:
	v_cvt_i32_f32_e32 v6, v4
	s_mov_b64 s[0:1], 0
	global_store_byte v[0:1], v6, off
.LBB46_2952:
	s_andn2_b64 vcc, exec, s[0:1]
	s_cbranch_vccnz .LBB46_2954
; %bb.2953:
	v_trunc_f32_e32 v4, v4
	s_mov_b32 s0, 0x2f800000
	v_mul_f32_e64 v6, |v4|, s0
	v_floor_f32_e32 v6, v6
	s_mov_b32 s0, 0xcf800000
	v_fma_f32 v6, v6, s0, |v4|
	v_cvt_u32_f32_e32 v6, v6
	v_ashrrev_i32_e32 v4, 31, v4
	v_xor_b32_e32 v6, v6, v4
	v_sub_u32_e32 v4, v6, v4
	global_store_byte v[0:1], v4, off
.LBB46_2954:
	s_mov_b64 s[10:11], -1
.LBB46_2955:
	s_andn2_b64 vcc, exec, s[10:11]
	s_cbranch_vccnz .LBB46_3032
; %bb.2956:
	v_and_b32_e32 v8, 0x7fff, v12
	v_and_b32_e32 v0, 0xffff8000, v5
	v_or_b32_e32 v7, v0, v8
	v_add_u32_e32 v0, s16, v3
	v_ashrrev_i32_e32 v1, 31, v0
	v_mov_b32_e32 v3, s9
	v_add_co_u32_e32 v0, vcc, s8, v0
	v_addc_co_u32_e32 v1, vcc, v3, v1, vcc
	v_and_b32_e32 v6, 0xff, v2
	v_cmp_gt_i16_e32 vcc, 11, v6
	s_cbranch_vccnz .LBB46_3077
; %bb.2957:
	v_cmp_lt_i16_e32 vcc, 25, v6
	s_mov_b64 s[8:9], -1
	s_mov_b64 s[2:3], 0
	s_mov_b64 s[0:1], 0
	s_cbranch_vccz .LBB46_2990
; %bb.2958:
	v_cmp_lt_i16_e32 vcc, 28, v6
	s_cbranch_vccz .LBB46_2974
; %bb.2959:
	v_cmp_lt_i16_e32 vcc, 43, v6
	;; [unrolled: 3-line block ×3, first 2 shown]
	s_cbranch_vccz .LBB46_2964
; %bb.2961:
	v_cmp_eq_u16_e32 vcc, 46, v6
	s_mov_b64 s[0:1], -1
	s_cbranch_vccz .LBB46_2963
; %bb.2962:
	v_and_b32_e32 v2, 0xffff, v7
	global_store_dword v[0:1], v2, off
	s_mov_b64 s[0:1], 0
.LBB46_2963:
	s_mov_b64 s[8:9], 0
.LBB46_2964:
	s_and_b64 vcc, exec, s[8:9]
	s_cbranch_vccz .LBB46_2969
; %bb.2965:
	v_cmp_eq_u16_e32 vcc, 44, v6
	s_mov_b64 s[0:1], -1
	s_cbranch_vccz .LBB46_2969
; %bb.2966:
	v_and_b32_e32 v3, 0xffff, v7
	v_bfe_u32 v2, v3, 7, 8
	s_movk_i32 s0, 0xff
	v_cmp_ne_u32_e32 vcc, s0, v2
	v_mov_b32_e32 v4, 0xff
	s_and_saveexec_b64 s[8:9], vcc
; %bb.2967:
	v_lshlrev_b32_e32 v5, 16, v3
	s_mov_b32 s0, 0x3f0000
	v_lshrrev_b32_e32 v4, 7, v3
	v_and_b32_e32 v3, 64, v3
	v_and_or_b32 v2, v5, s0, v2
	v_cmp_ne_u32_e32 vcc, 0, v3
	v_cmp_ne_u32_e64 s[0:1], 0, v2
	s_and_b64 s[0:1], vcc, s[0:1]
	v_cndmask_b32_e64 v2, 0, 1, s[0:1]
	v_add_u32_e32 v4, v4, v2
; %bb.2968:
	s_or_b64 exec, exec, s[8:9]
	s_mov_b64 s[0:1], 0
	global_store_byte v[0:1], v4, off
.LBB46_2969:
	s_mov_b64 s[8:9], 0
.LBB46_2970:
	s_and_b64 vcc, exec, s[8:9]
	s_cbranch_vccz .LBB46_2973
; %bb.2971:
	v_cmp_eq_u16_e32 vcc, 29, v6
	s_mov_b64 s[0:1], -1
	s_cbranch_vccz .LBB46_2973
; %bb.2972:
	v_lshlrev_b32_e32 v2, 16, v7
	v_trunc_f32_e32 v2, v2
	v_mul_f32_e32 v3, 0x2f800000, v2
	v_floor_f32_e32 v4, v3
	v_fmac_f32_e32 v2, 0xcf800000, v4
	v_cvt_u32_f32_e32 v3, v4
	v_cvt_u32_f32_e32 v2, v2
	s_mov_b64 s[0:1], 0
	global_store_dwordx2 v[0:1], v[2:3], off
.LBB46_2973:
	s_mov_b64 s[8:9], 0
.LBB46_2974:
	s_and_b64 vcc, exec, s[8:9]
	s_cbranch_vccz .LBB46_2989
; %bb.2975:
	v_cmp_gt_i16_e32 vcc, 27, v6
	s_mov_b64 s[8:9], -1
	s_cbranch_vccnz .LBB46_2981
; %bb.2976:
	v_cmp_lt_i16_e32 vcc, 27, v6
	s_cbranch_vccz .LBB46_2978
; %bb.2977:
	v_lshlrev_b32_e32 v2, 16, v7
	v_cvt_u32_f32_e32 v2, v2
	s_mov_b64 s[8:9], 0
	global_store_dword v[0:1], v2, off
.LBB46_2978:
	s_andn2_b64 vcc, exec, s[8:9]
	s_cbranch_vccnz .LBB46_2980
; %bb.2979:
	v_lshlrev_b32_e32 v2, 16, v7
	v_cvt_u32_f32_e32 v2, v2
	global_store_short v[0:1], v2, off
.LBB46_2980:
	s_mov_b64 s[8:9], 0
.LBB46_2981:
	s_andn2_b64 vcc, exec, s[8:9]
	s_cbranch_vccnz .LBB46_2989
; %bb.2982:
	v_lshlrev_b32_e32 v4, 16, v7
	v_and_b32_e32 v3, 0x7fffffff, v4
	s_mov_b32 s8, 0x43800000
	v_cmp_gt_u32_e32 vcc, s8, v3
	v_mov_b32_e32 v5, 0x80
	s_and_saveexec_b64 s[8:9], vcc
	s_cbranch_execz .LBB46_2988
; %bb.2983:
	s_mov_b32 s10, 0x3bffffff
	v_and_b32_e32 v2, 0xffff, v7
	v_cmp_lt_u32_e32 vcc, s10, v3
	s_mov_b64 s[10:11], 0
                                        ; implicit-def: $vgpr3
	s_and_saveexec_b64 s[12:13], vcc
	s_xor_b64 s[12:13], exec, s[12:13]
	s_cbranch_execz .LBB46_3083
; %bb.2984:
	v_bfe_u32 v3, v2, 4, 1
	s_mov_b32 s14, 0x487ffff
	v_add3_u32 v3, v4, v3, s14
	s_mov_b64 s[10:11], exec
	v_lshrrev_b32_e32 v3, 20, v3
                                        ; implicit-def: $vgpr4
	s_or_saveexec_b64 s[12:13], s[12:13]
                                        ; implicit-def: $sgpr14
	s_xor_b64 exec, exec, s[12:13]
	s_cbranch_execnz .LBB46_3084
.LBB46_2985:
	s_or_b64 exec, exec, s[12:13]
	v_mov_b32_e32 v5, s14
	s_and_saveexec_b64 s[12:13], s[10:11]
.LBB46_2986:
	v_lshrrev_b32_e32 v2, 8, v2
	s_movk_i32 s10, 0x80
	v_and_or_b32 v5, v2, s10, v3
.LBB46_2987:
	s_or_b64 exec, exec, s[12:13]
.LBB46_2988:
	s_or_b64 exec, exec, s[8:9]
	global_store_byte v[0:1], v5, off
.LBB46_2989:
	s_mov_b64 s[8:9], 0
.LBB46_2990:
	s_and_b64 vcc, exec, s[8:9]
	s_cbranch_vccz .LBB46_3030
; %bb.2991:
	v_cmp_lt_i16_e32 vcc, 22, v6
	s_mov_b64 s[2:3], -1
	s_cbranch_vccz .LBB46_3023
; %bb.2992:
	v_cmp_gt_i16_e32 vcc, 24, v6
	s_cbranch_vccnz .LBB46_3012
; %bb.2993:
	v_cmp_lt_i16_e32 vcc, 24, v6
	s_cbranch_vccz .LBB46_3001
; %bb.2994:
	v_lshlrev_b32_e32 v4, 16, v7
	v_and_b32_e32 v3, 0x7fffffff, v4
	s_mov_b32 s2, 0x47800000
	v_cmp_gt_u32_e32 vcc, s2, v3
	v_mov_b32_e32 v5, 0x80
	s_and_saveexec_b64 s[2:3], vcc
	s_cbranch_execz .LBB46_3000
; %bb.2995:
	s_mov_b32 s8, 0x37ffffff
	v_and_b32_e32 v2, 0xffff, v7
	v_cmp_lt_u32_e32 vcc, s8, v3
	s_mov_b64 s[8:9], 0
                                        ; implicit-def: $vgpr3
	s_and_saveexec_b64 s[10:11], vcc
	s_xor_b64 s[10:11], exec, s[10:11]
	s_cbranch_execz .LBB46_3086
; %bb.2996:
	v_bfe_u32 v3, v2, 5, 1
	s_mov_b32 s12, 0x88fffff
	v_add3_u32 v3, v4, v3, s12
	s_mov_b64 s[8:9], exec
	v_lshrrev_b32_e32 v3, 21, v3
                                        ; implicit-def: $vgpr4
	s_or_saveexec_b64 s[10:11], s[10:11]
                                        ; implicit-def: $sgpr12
	s_xor_b64 exec, exec, s[10:11]
	s_cbranch_execnz .LBB46_3087
.LBB46_2997:
	s_or_b64 exec, exec, s[10:11]
	v_mov_b32_e32 v5, s12
	s_and_saveexec_b64 s[10:11], s[8:9]
.LBB46_2998:
	v_lshrrev_b32_e32 v2, 8, v2
	s_movk_i32 s8, 0x80
	v_and_or_b32 v5, v2, s8, v3
.LBB46_2999:
	s_or_b64 exec, exec, s[10:11]
.LBB46_3000:
	s_or_b64 exec, exec, s[2:3]
	s_mov_b64 s[2:3], 0
	global_store_byte v[0:1], v5, off
.LBB46_3001:
	s_and_b64 vcc, exec, s[2:3]
	s_cbranch_vccz .LBB46_3011
; %bb.3002:
	v_lshlrev_b32_e32 v4, 16, v7
	v_and_b32_e32 v5, 0x7fffffff, v4
	s_mov_b32 s2, 0x43f00000
	v_and_b32_e32 v2, 0xffff, v7
	v_cmp_gt_u32_e32 vcc, s2, v5
                                        ; implicit-def: $vgpr3
	s_and_saveexec_b64 s[2:3], vcc
	s_xor_b64 s[2:3], exec, s[2:3]
	s_cbranch_execz .LBB46_3008
; %bb.3003:
	s_mov_b32 s8, 0x3c7fffff
	v_cmp_lt_u32_e32 vcc, s8, v5
                                        ; implicit-def: $vgpr3
	s_and_saveexec_b64 s[8:9], vcc
	s_xor_b64 s[8:9], exec, s[8:9]
; %bb.3004:
	v_bfe_u32 v3, v2, 4, 1
	s_mov_b32 s10, 0x407ffff
	v_add3_u32 v3, v4, v3, s10
	v_lshrrev_b32_e32 v4, 20, v3
	v_and_b32_e32 v3, 0xff00000, v3
	s_mov_b32 s10, 0x7f00000
	v_mov_b32_e32 v5, 0x7e
	v_cmp_ne_u32_e32 vcc, s10, v3
	v_cndmask_b32_e32 v3, v5, v4, vcc
                                        ; implicit-def: $vgpr4
; %bb.3005:
	s_andn2_saveexec_b64 s[8:9], s[8:9]
; %bb.3006:
	s_mov_b32 s10, 0x46800000
	v_add_f32_e64 v3, |v4|, s10
; %bb.3007:
	s_or_b64 exec, exec, s[8:9]
                                        ; implicit-def: $vgpr5
.LBB46_3008:
	s_andn2_saveexec_b64 s[2:3], s[2:3]
; %bb.3009:
	s_mov_b32 s8, 0x7f800000
	v_mov_b32_e32 v3, 0x7e
	v_mov_b32_e32 v4, 0x7f
	v_cmp_lt_u32_e32 vcc, s8, v5
	v_cndmask_b32_e32 v3, v3, v4, vcc
; %bb.3010:
	s_or_b64 exec, exec, s[2:3]
	v_lshrrev_b32_e32 v2, 8, v2
	s_movk_i32 s2, 0x80
	v_and_or_b32 v2, v2, s2, v3
	global_store_byte v[0:1], v2, off
.LBB46_3011:
	s_mov_b64 s[2:3], 0
.LBB46_3012:
	s_andn2_b64 vcc, exec, s[2:3]
	s_cbranch_vccnz .LBB46_3022
; %bb.3013:
	v_lshlrev_b32_e32 v4, 16, v7
	v_and_b32_e32 v5, 0x7fffffff, v4
	s_mov_b32 s2, 0x47800000
	v_and_b32_e32 v2, 0xffff, v7
	v_cmp_gt_u32_e32 vcc, s2, v5
                                        ; implicit-def: $vgpr3
	s_and_saveexec_b64 s[2:3], vcc
	s_xor_b64 s[2:3], exec, s[2:3]
	s_cbranch_execz .LBB46_3019
; %bb.3014:
	s_mov_b32 s8, 0x387fffff
	v_cmp_lt_u32_e32 vcc, s8, v5
                                        ; implicit-def: $vgpr3
	s_and_saveexec_b64 s[8:9], vcc
	s_xor_b64 s[8:9], exec, s[8:9]
; %bb.3015:
	v_bfe_u32 v3, v2, 5, 1
	s_mov_b32 s10, 0x80fffff
	v_add3_u32 v3, v4, v3, s10
	v_lshrrev_b32_e32 v3, 21, v3
                                        ; implicit-def: $vgpr4
; %bb.3016:
	s_andn2_saveexec_b64 s[8:9], s[8:9]
; %bb.3017:
	s_mov_b32 s10, 0x43000000
	v_add_f32_e64 v3, |v4|, s10
; %bb.3018:
	s_or_b64 exec, exec, s[8:9]
                                        ; implicit-def: $vgpr5
.LBB46_3019:
	s_andn2_saveexec_b64 s[2:3], s[2:3]
; %bb.3020:
	s_mov_b32 s8, 0x7f800000
	v_mov_b32_e32 v3, 0x7c
	v_mov_b32_e32 v4, 0x7f
	v_cmp_lt_u32_e32 vcc, s8, v5
	v_cndmask_b32_e32 v3, v3, v4, vcc
; %bb.3021:
	s_or_b64 exec, exec, s[2:3]
	v_lshrrev_b32_e32 v2, 8, v2
	s_movk_i32 s2, 0x80
	v_and_or_b32 v2, v2, s2, v3
	global_store_byte v[0:1], v2, off
.LBB46_3022:
	s_mov_b64 s[2:3], 0
.LBB46_3023:
	s_andn2_b64 vcc, exec, s[2:3]
	s_mov_b64 s[2:3], 0
	s_cbranch_vccnz .LBB46_3030
; %bb.3024:
	v_cmp_lt_i16_e32 vcc, 14, v6
	s_mov_b64 s[8:9], -1
	s_cbranch_vccz .LBB46_3028
; %bb.3025:
	v_cmp_eq_u16_e32 vcc, 15, v6
	s_mov_b64 s[0:1], -1
	s_cbranch_vccz .LBB46_3027
; %bb.3026:
	global_store_short v[0:1], v7, off
	s_mov_b64 s[0:1], 0
.LBB46_3027:
	s_mov_b64 s[8:9], 0
.LBB46_3028:
	s_and_b64 vcc, exec, s[8:9]
	s_cbranch_vccz .LBB46_3030
; %bb.3029:
	v_cmp_ne_u16_e64 s[0:1], 11, v6
	s_mov_b64 s[2:3], -1
.LBB46_3030:
	s_and_b64 vcc, exec, s[0:1]
	s_cbranch_vccnz .LBB46_3085
.LBB46_3031:
	s_mov_b64 s[0:1], 0
	s_branch .LBB46_3033
.LBB46_3032:
	s_mov_b64 s[0:1], 0
	s_mov_b64 s[2:3], 0
                                        ; implicit-def: $vgpr6
                                        ; implicit-def: $vgpr0_vgpr1
                                        ; implicit-def: $vgpr7
                                        ; implicit-def: $vgpr8
.LBB46_3033:
	s_and_b64 s[16:17], s[2:3], exec
	s_andn2_b64 s[2:3], s[6:7], exec
	s_and_b64 s[6:7], s[18:19], exec
	s_and_b64 s[0:1], s[0:1], exec
	s_or_b64 s[6:7], s[2:3], s[6:7]
.LBB46_3034:
	s_or_b64 exec, exec, s[4:5]
	s_and_saveexec_b64 s[2:3], s[6:7]
	s_cbranch_execz .LBB46_3037
; %bb.3035:
	; divergent unreachable
	s_or_b64 exec, exec, s[2:3]
	s_and_saveexec_b64 s[2:3], s[16:17]
	s_xor_b64 s[2:3], exec, s[2:3]
	s_cbranch_execnz .LBB46_3038
.LBB46_3036:
	s_or_b64 exec, exec, s[2:3]
	s_and_saveexec_b64 s[2:3], s[0:1]
	s_cbranch_execnz .LBB46_3039
	s_branch .LBB46_3076
.LBB46_3037:
	s_or_b64 exec, exec, s[2:3]
	s_and_saveexec_b64 s[2:3], s[16:17]
	s_xor_b64 s[2:3], exec, s[2:3]
	s_cbranch_execz .LBB46_3036
.LBB46_3038:
	s_waitcnt vmcnt(0)
	v_cmp_ne_u16_e32 vcc, 0, v8
	v_cndmask_b32_e64 v2, 0, 1, vcc
	global_store_byte v[0:1], v2, off
	s_or_b64 exec, exec, s[2:3]
	s_and_saveexec_b64 s[2:3], s[0:1]
	s_cbranch_execz .LBB46_3076
.LBB46_3039:
	s_waitcnt vmcnt(0)
	v_cmp_gt_i16_e32 vcc, 5, v6
	s_mov_b64 s[0:1], -1
	s_cbranch_vccnz .LBB46_3060
; %bb.3040:
	v_cmp_gt_i16_e32 vcc, 8, v6
	s_cbranch_vccnz .LBB46_3050
; %bb.3041:
	v_cmp_gt_i16_e32 vcc, 9, v6
	s_cbranch_vccnz .LBB46_3047
; %bb.3042:
	v_cmp_lt_i16_e32 vcc, 9, v6
	v_lshlrev_b32_e32 v2, 16, v7
	s_cbranch_vccz .LBB46_3044
; %bb.3043:
	v_mov_b32_e32 v10, 0
	v_cvt_f64_f32_e32 v[8:9], v2
	v_mov_b32_e32 v11, v10
	global_store_dwordx4 v[0:1], v[8:11], off
	s_mov_b64 s[0:1], 0
.LBB46_3044:
	s_andn2_b64 vcc, exec, s[0:1]
	s_cbranch_vccnz .LBB46_3046
; %bb.3045:
	v_mov_b32_e32 v3, 0
	global_store_dwordx2 v[0:1], v[2:3], off
.LBB46_3046:
	s_mov_b64 s[0:1], 0
.LBB46_3047:
	s_andn2_b64 vcc, exec, s[0:1]
	s_cbranch_vccnz .LBB46_3049
; %bb.3048:
	v_lshlrev_b32_e32 v2, 16, v7
	v_cvt_f16_f32_e32 v2, v2
	global_store_dword v[0:1], v2, off
.LBB46_3049:
	s_mov_b64 s[0:1], 0
.LBB46_3050:
	s_andn2_b64 vcc, exec, s[0:1]
	s_cbranch_vccnz .LBB46_3059
; %bb.3051:
	v_cmp_gt_i16_e32 vcc, 6, v6
	s_mov_b64 s[0:1], -1
	s_cbranch_vccnz .LBB46_3057
; %bb.3052:
	v_cmp_lt_i16_e32 vcc, 6, v6
	v_lshlrev_b32_e32 v2, 16, v7
	s_cbranch_vccz .LBB46_3054
; %bb.3053:
	v_cvt_f64_f32_e32 v[4:5], v2
	global_store_dwordx2 v[0:1], v[4:5], off
	s_mov_b64 s[0:1], 0
.LBB46_3054:
	s_andn2_b64 vcc, exec, s[0:1]
	s_cbranch_vccnz .LBB46_3056
; %bb.3055:
	global_store_dword v[0:1], v2, off
.LBB46_3056:
	s_mov_b64 s[0:1], 0
.LBB46_3057:
	s_andn2_b64 vcc, exec, s[0:1]
	s_cbranch_vccnz .LBB46_3059
; %bb.3058:
	v_lshlrev_b32_e32 v2, 16, v7
	v_cvt_f16_f32_e32 v2, v2
	global_store_short v[0:1], v2, off
.LBB46_3059:
	s_mov_b64 s[0:1], 0
.LBB46_3060:
	s_andn2_b64 vcc, exec, s[0:1]
	s_cbranch_vccnz .LBB46_3076
; %bb.3061:
	v_cmp_gt_i16_e32 vcc, 2, v6
	s_mov_b64 s[0:1], -1
	s_cbranch_vccnz .LBB46_3071
; %bb.3062:
	v_cmp_gt_i16_e32 vcc, 3, v6
	s_cbranch_vccnz .LBB46_3068
; %bb.3063:
	v_cmp_lt_i16_e32 vcc, 3, v6
	v_lshlrev_b32_e32 v2, 16, v7
	s_cbranch_vccz .LBB46_3065
; %bb.3064:
	v_trunc_f32_e32 v3, v2
	s_mov_b32 s0, 0x2f800000
	v_mul_f32_e64 v4, |v3|, s0
	v_floor_f32_e32 v4, v4
	s_mov_b32 s0, 0xcf800000
	v_cvt_u32_f32_e32 v5, v4
	v_fma_f32 v4, v4, s0, |v3|
	v_cvt_u32_f32_e32 v4, v4
	v_ashrrev_i32_e32 v3, 31, v3
	v_xor_b32_e32 v5, v5, v3
	s_mov_b64 s[0:1], 0
	v_xor_b32_e32 v4, v4, v3
	v_sub_co_u32_e32 v4, vcc, v4, v3
	v_subb_co_u32_e32 v5, vcc, v5, v3, vcc
	global_store_dwordx2 v[0:1], v[4:5], off
.LBB46_3065:
	s_andn2_b64 vcc, exec, s[0:1]
	s_cbranch_vccnz .LBB46_3067
; %bb.3066:
	v_cvt_i32_f32_e32 v2, v2
	global_store_dword v[0:1], v2, off
.LBB46_3067:
	s_mov_b64 s[0:1], 0
.LBB46_3068:
	s_andn2_b64 vcc, exec, s[0:1]
	s_cbranch_vccnz .LBB46_3070
; %bb.3069:
	v_lshlrev_b32_e32 v2, 16, v7
	v_cvt_i32_f32_e32 v2, v2
	global_store_short v[0:1], v2, off
.LBB46_3070:
	s_mov_b64 s[0:1], 0
.LBB46_3071:
	s_andn2_b64 vcc, exec, s[0:1]
	s_cbranch_vccnz .LBB46_3076
; %bb.3072:
	v_cmp_lt_i16_e32 vcc, 0, v6
	s_mov_b64 s[0:1], -1
	v_lshlrev_b32_e32 v2, 16, v7
	s_cbranch_vccz .LBB46_3074
; %bb.3073:
	v_cvt_i32_f32_e32 v3, v2
	s_mov_b64 s[0:1], 0
	global_store_byte v[0:1], v3, off
.LBB46_3074:
	s_andn2_b64 vcc, exec, s[0:1]
	s_cbranch_vccnz .LBB46_3076
; %bb.3075:
	v_trunc_f32_e32 v2, v2
	s_mov_b32 s0, 0x2f800000
	v_mul_f32_e64 v3, |v2|, s0
	v_floor_f32_e32 v3, v3
	s_mov_b32 s0, 0xcf800000
	v_fma_f32 v3, v3, s0, |v2|
	v_cvt_u32_f32_e32 v3, v3
	v_ashrrev_i32_e32 v2, 31, v2
	v_xor_b32_e32 v3, v3, v2
	v_sub_u32_e32 v2, v3, v2
	global_store_byte v[0:1], v2, off
	s_endpgm
.LBB46_3076:
	s_endpgm
.LBB46_3077:
	s_mov_b64 s[2:3], 0
	s_mov_b64 s[0:1], -1
	s_branch .LBB46_3033
.LBB46_3078:
	s_or_saveexec_b64 s[14:15], s[14:15]
                                        ; implicit-def: $sgpr17
	s_xor_b64 exec, exec, s[14:15]
	s_cbranch_execz .LBB46_2866
.LBB46_3079:
	s_mov_b32 s17, 0x46000000
	v_add_f32_e64 v8, |v9|, s17
	v_and_b32_e32 v8, 0xff, v8
	v_cmp_ne_u32_e32 vcc, 0, v8
	s_andn2_b64 s[12:13], s[12:13], exec
	s_and_b64 s[20:21], vcc, exec
	s_mov_b32 s17, 0
	s_or_b64 s[12:13], s[12:13], s[20:21]
	s_or_b64 exec, exec, s[14:15]
	v_mov_b32_e32 v10, s17
	s_and_saveexec_b64 s[14:15], s[12:13]
	s_cbranch_execnz .LBB46_2867
	s_branch .LBB46_2868
.LBB46_3080:
	s_trap 2
	s_or_b64 s[18:19], s[18:19], exec
	s_cbranch_execz .LBB46_2914
	s_branch .LBB46_2915
.LBB46_3081:
	s_or_saveexec_b64 s[12:13], s[12:13]
                                        ; implicit-def: $sgpr14
	s_xor_b64 exec, exec, s[12:13]
	s_cbranch_execz .LBB46_2879
.LBB46_3082:
	s_mov_b32 s14, 0x42800000
	v_add_f32_e64 v8, |v9|, s14
	v_and_b32_e32 v8, 0xff, v8
	v_cmp_ne_u32_e32 vcc, 0, v8
	s_andn2_b64 s[10:11], s[10:11], exec
	s_and_b64 s[20:21], vcc, exec
	s_mov_b32 s14, 0
	s_or_b64 s[10:11], s[10:11], s[20:21]
	s_or_b64 exec, exec, s[12:13]
	v_mov_b32_e32 v10, s14
	s_and_saveexec_b64 s[12:13], s[10:11]
	s_cbranch_execnz .LBB46_2880
	s_branch .LBB46_2881
.LBB46_3083:
	s_or_saveexec_b64 s[12:13], s[12:13]
                                        ; implicit-def: $sgpr14
	s_xor_b64 exec, exec, s[12:13]
	s_cbranch_execz .LBB46_2985
.LBB46_3084:
	s_mov_b32 s14, 0x46000000
	v_add_f32_e64 v3, |v4|, s14
	v_and_b32_e32 v3, 0xff, v3
	v_cmp_ne_u32_e32 vcc, 0, v3
	s_andn2_b64 s[10:11], s[10:11], exec
	s_and_b64 s[16:17], vcc, exec
	s_mov_b32 s14, 0
	s_or_b64 s[10:11], s[10:11], s[16:17]
	s_or_b64 exec, exec, s[12:13]
	v_mov_b32_e32 v5, s14
	s_and_saveexec_b64 s[12:13], s[10:11]
	s_cbranch_execnz .LBB46_2986
	s_branch .LBB46_2987
.LBB46_3085:
	s_mov_b64 s[2:3], 0
	s_or_b64 s[18:19], s[18:19], exec
	s_trap 2
	s_branch .LBB46_3031
.LBB46_3086:
	s_or_saveexec_b64 s[10:11], s[10:11]
                                        ; implicit-def: $sgpr12
	s_xor_b64 exec, exec, s[10:11]
	s_cbranch_execz .LBB46_2997
.LBB46_3087:
	s_mov_b32 s12, 0x42800000
	v_add_f32_e64 v3, |v4|, s12
	v_and_b32_e32 v3, 0xff, v3
	v_cmp_ne_u32_e32 vcc, 0, v3
	s_andn2_b64 s[8:9], s[8:9], exec
	s_and_b64 s[14:15], vcc, exec
	s_mov_b32 s12, 0
	s_or_b64 s[8:9], s[8:9], s[14:15]
	s_or_b64 exec, exec, s[10:11]
	v_mov_b32_e32 v5, s12
	s_and_saveexec_b64 s[10:11], s[8:9]
	s_cbranch_execnz .LBB46_2998
	s_branch .LBB46_2999
	.section	.rodata,"a",@progbits
	.p2align	6, 0x0
	.amdhsa_kernel _ZN2at6native32elementwise_kernel_manual_unrollILi128ELi4EZNS0_15gpu_kernel_implINS0_13BinaryFunctorIN3c108BFloat16ES5_S5_ZNS0_20copysign_kernel_cudaERNS_18TensorIteratorBaseEEUlS5_S5_E_EEEEvS7_RKT_EUlibE_EEviT1_
		.amdhsa_group_segment_fixed_size 0
		.amdhsa_private_segment_fixed_size 0
		.amdhsa_kernarg_size 48
		.amdhsa_user_sgpr_count 6
		.amdhsa_user_sgpr_private_segment_buffer 1
		.amdhsa_user_sgpr_dispatch_ptr 0
		.amdhsa_user_sgpr_queue_ptr 0
		.amdhsa_user_sgpr_kernarg_segment_ptr 1
		.amdhsa_user_sgpr_dispatch_id 0
		.amdhsa_user_sgpr_flat_scratch_init 0
		.amdhsa_user_sgpr_kernarg_preload_length 0
		.amdhsa_user_sgpr_kernarg_preload_offset 0
		.amdhsa_user_sgpr_private_segment_size 0
		.amdhsa_uses_dynamic_stack 0
		.amdhsa_system_sgpr_private_segment_wavefront_offset 0
		.amdhsa_system_sgpr_workgroup_id_x 1
		.amdhsa_system_sgpr_workgroup_id_y 0
		.amdhsa_system_sgpr_workgroup_id_z 0
		.amdhsa_system_sgpr_workgroup_info 0
		.amdhsa_system_vgpr_workitem_id 0
		.amdhsa_next_free_vgpr 19
		.amdhsa_next_free_sgpr 54
		.amdhsa_accum_offset 20
		.amdhsa_reserve_vcc 1
		.amdhsa_reserve_flat_scratch 0
		.amdhsa_float_round_mode_32 0
		.amdhsa_float_round_mode_16_64 0
		.amdhsa_float_denorm_mode_32 3
		.amdhsa_float_denorm_mode_16_64 3
		.amdhsa_dx10_clamp 1
		.amdhsa_ieee_mode 1
		.amdhsa_fp16_overflow 0
		.amdhsa_tg_split 0
		.amdhsa_exception_fp_ieee_invalid_op 0
		.amdhsa_exception_fp_denorm_src 0
		.amdhsa_exception_fp_ieee_div_zero 0
		.amdhsa_exception_fp_ieee_overflow 0
		.amdhsa_exception_fp_ieee_underflow 0
		.amdhsa_exception_fp_ieee_inexact 0
		.amdhsa_exception_int_div_zero 0
	.end_amdhsa_kernel
	.section	.text._ZN2at6native32elementwise_kernel_manual_unrollILi128ELi4EZNS0_15gpu_kernel_implINS0_13BinaryFunctorIN3c108BFloat16ES5_S5_ZNS0_20copysign_kernel_cudaERNS_18TensorIteratorBaseEEUlS5_S5_E_EEEEvS7_RKT_EUlibE_EEviT1_,"axG",@progbits,_ZN2at6native32elementwise_kernel_manual_unrollILi128ELi4EZNS0_15gpu_kernel_implINS0_13BinaryFunctorIN3c108BFloat16ES5_S5_ZNS0_20copysign_kernel_cudaERNS_18TensorIteratorBaseEEUlS5_S5_E_EEEEvS7_RKT_EUlibE_EEviT1_,comdat
.Lfunc_end46:
	.size	_ZN2at6native32elementwise_kernel_manual_unrollILi128ELi4EZNS0_15gpu_kernel_implINS0_13BinaryFunctorIN3c108BFloat16ES5_S5_ZNS0_20copysign_kernel_cudaERNS_18TensorIteratorBaseEEUlS5_S5_E_EEEEvS7_RKT_EUlibE_EEviT1_, .Lfunc_end46-_ZN2at6native32elementwise_kernel_manual_unrollILi128ELi4EZNS0_15gpu_kernel_implINS0_13BinaryFunctorIN3c108BFloat16ES5_S5_ZNS0_20copysign_kernel_cudaERNS_18TensorIteratorBaseEEUlS5_S5_E_EEEEvS7_RKT_EUlibE_EEviT1_
                                        ; -- End function
	.section	.AMDGPU.csdata,"",@progbits
; Kernel info:
; codeLenInByte = 64284
; NumSgprs: 58
; NumVgprs: 19
; NumAgprs: 0
; TotalNumVgprs: 19
; ScratchSize: 0
; MemoryBound: 0
; FloatMode: 240
; IeeeMode: 1
; LDSByteSize: 0 bytes/workgroup (compile time only)
; SGPRBlocks: 7
; VGPRBlocks: 2
; NumSGPRsForWavesPerEU: 58
; NumVGPRsForWavesPerEU: 19
; AccumOffset: 20
; Occupancy: 8
; WaveLimiterHint : 0
; COMPUTE_PGM_RSRC2:SCRATCH_EN: 0
; COMPUTE_PGM_RSRC2:USER_SGPR: 6
; COMPUTE_PGM_RSRC2:TRAP_HANDLER: 0
; COMPUTE_PGM_RSRC2:TGID_X_EN: 1
; COMPUTE_PGM_RSRC2:TGID_Y_EN: 0
; COMPUTE_PGM_RSRC2:TGID_Z_EN: 0
; COMPUTE_PGM_RSRC2:TIDIG_COMP_CNT: 0
; COMPUTE_PGM_RSRC3_GFX90A:ACCUM_OFFSET: 4
; COMPUTE_PGM_RSRC3_GFX90A:TG_SPLIT: 0
	.section	.text._ZN2at6native32elementwise_kernel_manual_unrollILi128ELi4EZNS0_15gpu_kernel_implINS0_13BinaryFunctorIN3c108BFloat16ES5_S5_ZNS0_20copysign_kernel_cudaERNS_18TensorIteratorBaseEEUlS5_S5_E_EEEEvS7_RKT_EUlibE0_EEviT1_,"axG",@progbits,_ZN2at6native32elementwise_kernel_manual_unrollILi128ELi4EZNS0_15gpu_kernel_implINS0_13BinaryFunctorIN3c108BFloat16ES5_S5_ZNS0_20copysign_kernel_cudaERNS_18TensorIteratorBaseEEUlS5_S5_E_EEEEvS7_RKT_EUlibE0_EEviT1_,comdat
	.globl	_ZN2at6native32elementwise_kernel_manual_unrollILi128ELi4EZNS0_15gpu_kernel_implINS0_13BinaryFunctorIN3c108BFloat16ES5_S5_ZNS0_20copysign_kernel_cudaERNS_18TensorIteratorBaseEEUlS5_S5_E_EEEEvS7_RKT_EUlibE0_EEviT1_ ; -- Begin function _ZN2at6native32elementwise_kernel_manual_unrollILi128ELi4EZNS0_15gpu_kernel_implINS0_13BinaryFunctorIN3c108BFloat16ES5_S5_ZNS0_20copysign_kernel_cudaERNS_18TensorIteratorBaseEEUlS5_S5_E_EEEEvS7_RKT_EUlibE0_EEviT1_
	.p2align	8
	.type	_ZN2at6native32elementwise_kernel_manual_unrollILi128ELi4EZNS0_15gpu_kernel_implINS0_13BinaryFunctorIN3c108BFloat16ES5_S5_ZNS0_20copysign_kernel_cudaERNS_18TensorIteratorBaseEEUlS5_S5_E_EEEEvS7_RKT_EUlibE0_EEviT1_,@function
_ZN2at6native32elementwise_kernel_manual_unrollILi128ELi4EZNS0_15gpu_kernel_implINS0_13BinaryFunctorIN3c108BFloat16ES5_S5_ZNS0_20copysign_kernel_cudaERNS_18TensorIteratorBaseEEUlS5_S5_E_EEEEvS7_RKT_EUlibE0_EEviT1_: ; @_ZN2at6native32elementwise_kernel_manual_unrollILi128ELi4EZNS0_15gpu_kernel_implINS0_13BinaryFunctorIN3c108BFloat16ES5_S5_ZNS0_20copysign_kernel_cudaERNS_18TensorIteratorBaseEEUlS5_S5_E_EEEEvS7_RKT_EUlibE0_EEviT1_
; %bb.0:
	s_load_dword s66, s[4:5], 0x0
	s_load_dword s33, s[4:5], 0x8
	s_or_b32 s2, s4, 8
	v_lshl_or_b32 v8, s6, 9, v0
	v_or_b32_e32 v24, 0x180, v8
	s_mov_b32 s3, s5
	s_waitcnt lgkmcnt(0)
	s_add_i32 s68, s33, -1
	s_cmp_gt_u32 s68, 1
	v_cmp_le_i32_e32 vcc, s66, v24
	s_cselect_b64 s[20:21], -1, 0
	s_mov_b64 s[6:7], 0
	s_mov_b64 s[12:13], 0
	s_and_saveexec_b64 s[0:1], vcc
	s_xor_b64 s[22:23], exec, s[0:1]
	s_cbranch_execz .LBB47_1585
; %bb.1:
	v_mov_b32_e32 v0, 0
	global_load_ushort v6, v0, s[2:3] offset:417
	global_load_sbyte v7, v0, s[2:3] offset:419
	s_load_dwordx4 s[16:19], s[2:3], 0x4
	s_load_dwordx2 s[28:29], s[2:3], 0x14
	s_load_dwordx4 s[12:15], s[2:3], 0xc4
	s_load_dwordx2 s[26:27], s[2:3], 0xd4
	s_load_dwordx2 s[24:25], s[2:3], 0x198
	s_load_dwordx4 s[8:11], s[2:3], 0x188
	s_cmp_lg_u32 s33, 0
	s_cselect_b64 s[34:35], -1, 0
	s_min_u32 s69, s68, 15
	s_cmp_gt_u32 s33, 1
	v_cmp_gt_i32_e32 vcc, s66, v8
	s_mov_b64 s[0:1], -1
	s_mov_b64 s[46:47], 0
	s_mov_b64 s[40:41], 0
	;; [unrolled: 1-line block ×3, first 2 shown]
	s_cselect_b64 s[30:31], -1, 0
	s_mov_b64 s[36:37], 0
	s_waitcnt vmcnt(1)
	v_lshrrev_b32_e32 v9, 8, v6
	s_and_saveexec_b64 s[42:43], vcc
	s_cbranch_execz .LBB47_393
; %bb.2:
	s_andn2_b64 vcc, exec, s[20:21]
	s_cbranch_vccnz .LBB47_9
; %bb.3:
	s_andn2_b64 vcc, exec, s[34:35]
	v_mov_b32_e32 v2, 0
	v_mov_b32_e32 v4, 0
	;; [unrolled: 1-line block ×3, first 2 shown]
	s_cbranch_vccnz .LBB47_8
; %bb.4:
	s_add_i32 s0, s69, 1
	s_and_b32 s36, s0, 30
	s_add_u32 s0, s2, 0xffffffec
	s_addc_u32 s1, s3, -1
	v_mov_b32_e32 v0, 0
	v_mov_b32_e32 v1, v8
	;; [unrolled: 1-line block ×4, first 2 shown]
.LBB47_5:                               ; =>This Inner Loop Header: Depth=1
	s_mov_b64 s[38:39], s[0:1]
	s_load_dwordx4 s[48:51], s[38:39], 0x18
	s_load_dwordx2 s[40:41], s[38:39], 0x28
	s_load_dwordx2 s[44:45], s[38:39], 0xe8
	s_load_dwordx4 s[52:55], s[38:39], 0xd8
	s_add_u32 s0, s38, 24
	s_waitcnt lgkmcnt(0)
	v_mul_hi_u32 v3, s49, v1
	v_add_u32_e32 v3, v1, v3
	v_lshrrev_b32_e32 v3, s50, v3
	v_mul_lo_u32 v5, v3, s48
	v_mul_hi_u32 v10, s40, v3
	v_sub_u32_e32 v1, v1, v5
	v_add_u32_e32 v5, v3, v10
	v_mul_lo_u32 v10, v1, s52
	v_mul_lo_u32 v11, v1, s53
	;; [unrolled: 1-line block ×3, first 2 shown]
	v_lshrrev_b32_e32 v1, s41, v5
	v_mul_lo_u32 v5, v1, s51
	v_sub_u32_e32 v3, v3, v5
	s_addc_u32 s1, s39, 0
	s_add_i32 s36, s36, -2
	v_mul_lo_u32 v5, v3, s55
	v_mul_lo_u32 v13, v3, s44
	;; [unrolled: 1-line block ×3, first 2 shown]
	s_cmp_lg_u32 s36, 0
	v_add3_u32 v0, v10, v0, v5
	v_add3_u32 v2, v12, v2, v3
	;; [unrolled: 1-line block ×3, first 2 shown]
	s_cbranch_scc1 .LBB47_5
; %bb.6:
	s_bitcmp1_b32 s69, 0
	s_cselect_b64 s[36:37], -1, 0
	s_and_b64 vcc, exec, s[36:37]
	s_cbranch_vccnz .LBB47_8
; %bb.7:
	s_load_dwordx2 s[36:37], s[0:1], 0x18
	s_load_dword s38, s[0:1], 0x20
	s_load_dword s39, s[0:1], 0xe0
	s_nop 0
	s_load_dwordx2 s[0:1], s[0:1], 0xd8
	s_waitcnt lgkmcnt(0)
	v_mul_hi_u32 v3, s37, v1
	v_add_u32_e32 v3, v1, v3
	v_lshrrev_b32_e32 v3, s38, v3
	v_mul_lo_u32 v3, v3, s36
	v_sub_u32_e32 v3, v1, v3
	v_mad_u64_u32 v[0:1], s[36:37], v3, s0, v[0:1]
	v_mad_u64_u32 v[4:5], s[0:1], v3, s1, v[4:5]
	;; [unrolled: 1-line block ×3, first 2 shown]
.LBB47_8:
	s_cbranch_execz .LBB47_10
	s_branch .LBB47_12
.LBB47_9:
                                        ; implicit-def: $vgpr2
                                        ; implicit-def: $vgpr4
                                        ; implicit-def: $vgpr0
	s_andn2_b64 vcc, exec, s[0:1]
	s_cbranch_vccnz .LBB47_12
.LBB47_10:
	s_waitcnt lgkmcnt(0)
	v_mul_hi_u32 v0, s17, v8
	v_add_u32_e32 v0, v8, v0
	v_lshrrev_b32_e32 v1, s18, v0
	v_mul_lo_u32 v0, v1, s16
	v_sub_u32_e32 v3, v8, v0
	v_mul_lo_u32 v0, v3, s12
	v_mul_lo_u32 v2, v3, s14
	s_andn2_b64 vcc, exec, s[30:31]
	v_mul_lo_u32 v4, v3, s13
	s_cbranch_vccnz .LBB47_12
; %bb.11:
	v_mul_hi_u32 v3, s28, v1
	v_add_u32_e32 v3, v1, v3
	v_lshrrev_b32_e32 v3, s29, v3
	v_mul_lo_u32 v3, v3, s19
	v_sub_u32_e32 v3, v1, v3
	v_mad_u64_u32 v[0:1], s[0:1], v3, s15, v[0:1]
	v_mad_u64_u32 v[4:5], s[0:1], v3, s26, v[4:5]
	;; [unrolled: 1-line block ×3, first 2 shown]
.LBB47_12:
	s_waitcnt lgkmcnt(0)
	v_mov_b32_e32 v1, s11
	v_add_co_u32_e32 v4, vcc, s10, v4
	v_addc_co_u32_e32 v5, vcc, 0, v1, vcc
	v_mov_b32_e32 v1, 11
	v_cmp_lt_i16_sdwa s[0:1], v9, v1 src0_sel:BYTE_0 src1_sel:DWORD
	s_and_b64 vcc, exec, s[0:1]
	s_cbranch_vccnz .LBB47_19
; %bb.13:
	v_mov_b32_e32 v1, 25
	v_cmp_gt_i16_sdwa s[0:1], v9, v1 src0_sel:BYTE_0 src1_sel:DWORD
	s_and_b64 vcc, exec, s[0:1]
	s_cbranch_vccz .LBB47_28
; %bb.14:
	v_mov_b32_e32 v1, 28
	v_cmp_gt_i16_sdwa s[0:1], v9, v1 src0_sel:BYTE_0 src1_sel:DWORD
	s_and_b64 vcc, exec, s[0:1]
	s_cbranch_vccz .LBB47_38
	;; [unrolled: 5-line block ×4, first 2 shown]
; %bb.17:
	v_mov_b32_e32 v1, 46
	v_cmp_eq_u16_sdwa s[0:1], v9, v1 src0_sel:BYTE_0 src1_sel:DWORD
	s_mov_b64 s[36:37], 0
	s_and_b64 vcc, exec, s[0:1]
	s_cbranch_vccz .LBB47_47
; %bb.18:
	global_load_dword v1, v[4:5], off
	s_mov_b64 s[0:1], -1
	s_mov_b64 s[40:41], 0
	s_branch .LBB47_49
.LBB47_19:
	s_mov_b64 s[40:41], 0
                                        ; implicit-def: $vgpr1
	s_mov_b64 s[0:1], 0
	s_cbranch_execnz .LBB47_115
.LBB47_20:
	s_andn2_b64 vcc, exec, s[0:1]
	s_cbranch_vccnz .LBB47_162
.LBB47_21:
	v_mov_b32_e32 v3, s25
	v_add_co_u32_e32 v2, vcc, s24, v2
	v_mov_b32_e32 v4, 11
	v_addc_co_u32_e32 v3, vcc, 0, v3, vcc
	s_waitcnt vmcnt(0)
	v_cmp_lt_i16_sdwa s[0:1], v7, v4 src0_sel:BYTE_0 src1_sel:DWORD
	s_and_b64 vcc, exec, s[0:1]
	s_cbranch_vccnz .LBB47_29
; %bb.22:
	v_mov_b32_e32 v4, 25
	v_cmp_gt_i16_sdwa s[0:1], v7, v4 src0_sel:BYTE_0 src1_sel:DWORD
	s_and_b64 vcc, exec, s[0:1]
	s_cbranch_vccz .LBB47_39
; %bb.23:
	v_mov_b32_e32 v4, 28
	v_cmp_gt_i16_sdwa s[0:1], v7, v4 src0_sel:BYTE_0 src1_sel:DWORD
	s_and_b64 vcc, exec, s[0:1]
	s_cbranch_vccz .LBB47_42
	;; [unrolled: 5-line block ×4, first 2 shown]
; %bb.26:
	v_mov_b32_e32 v4, 46
	v_cmp_eq_u16_sdwa s[0:1], v7, v4 src0_sel:BYTE_0 src1_sel:DWORD
	s_mov_b64 s[36:37], 0
	s_and_b64 vcc, exec, s[0:1]
	s_cbranch_vccz .LBB47_163
; %bb.27:
	global_load_dword v4, v[2:3], off
	s_mov_b64 s[0:1], -1
	s_mov_b64 s[38:39], 0
	s_branch .LBB47_165
.LBB47_28:
	s_mov_b64 s[40:41], 0
	s_mov_b64 s[0:1], 0
                                        ; implicit-def: $vgpr1
	s_cbranch_execnz .LBB47_80
	s_branch .LBB47_114
.LBB47_29:
	s_mov_b64 s[38:39], 0
                                        ; implicit-def: $vgpr4
	s_mov_b64 s[0:1], 0
	s_cbranch_execnz .LBB47_342
.LBB47_30:
	s_andn2_b64 vcc, exec, s[0:1]
	s_cbranch_vccnz .LBB47_390
.LBB47_31:
	v_and_b32_e32 v3, 0x7fff, v1
	s_waitcnt vmcnt(0)
	v_and_b32_e32 v1, 0xffff8000, v4
	v_or_b32_e32 v2, v1, v3
	v_mov_b32_e32 v1, s9
	v_add_co_u32_e32 v0, vcc, s8, v0
	v_mov_b32_e32 v4, 11
	v_addc_co_u32_e32 v1, vcc, 0, v1, vcc
	v_cmp_lt_i16_sdwa s[0:1], v6, v4 src0_sel:BYTE_0 src1_sel:DWORD
	s_and_b64 vcc, exec, s[0:1]
	s_cbranch_vccnz .LBB47_40
; %bb.32:
	v_mov_b32_e32 v4, 25
	v_cmp_gt_i16_sdwa s[0:1], v6, v4 src0_sel:BYTE_0 src1_sel:DWORD
	s_and_b64 vcc, exec, s[0:1]
	s_cbranch_vccz .LBB47_43
; %bb.33:
	v_mov_b32_e32 v4, 28
	v_cmp_gt_i16_sdwa s[0:1], v6, v4 src0_sel:BYTE_0 src1_sel:DWORD
	s_and_b64 vcc, exec, s[0:1]
	s_cbranch_vccz .LBB47_46
	;; [unrolled: 5-line block ×4, first 2 shown]
; %bb.36:
	v_mov_b32_e32 v4, 46
	v_cmp_eq_u16_sdwa s[36:37], v6, v4 src0_sel:BYTE_0 src1_sel:DWORD
	s_mov_b64 s[44:45], 0
	s_mov_b64 s[0:1], -1
	s_and_b64 vcc, exec, s[36:37]
	s_mov_b64 s[36:37], 0
	s_cbranch_vccz .LBB47_169
; %bb.37:
	v_and_b32_e32 v4, 0xffff, v2
	global_store_dword v[0:1], v4, off
	s_mov_b64 s[36:37], -1
	s_mov_b64 s[0:1], 0
	s_branch .LBB47_169
.LBB47_38:
	s_mov_b64 s[36:37], -1
	s_mov_b64 s[40:41], 0
	s_mov_b64 s[0:1], 0
                                        ; implicit-def: $vgpr1
	s_branch .LBB47_61
.LBB47_39:
	s_mov_b64 s[36:37], -1
	s_mov_b64 s[38:39], 0
	s_mov_b64 s[0:1], 0
                                        ; implicit-def: $vgpr4
	s_branch .LBB47_306
.LBB47_40:
	s_mov_b64 s[44:45], -1
	s_mov_b64 s[0:1], 0
	s_mov_b64 s[36:37], 0
	s_branch .LBB47_238
.LBB47_41:
	s_mov_b64 s[36:37], -1
	s_mov_b64 s[40:41], 0
	s_mov_b64 s[0:1], 0
                                        ; implicit-def: $vgpr1
	s_branch .LBB47_56
.LBB47_42:
	s_mov_b64 s[36:37], -1
	s_mov_b64 s[38:39], 0
	s_mov_b64 s[0:1], 0
                                        ; implicit-def: $vgpr4
	s_branch .LBB47_287
.LBB47_43:
	s_mov_b64 s[44:45], -1
	s_mov_b64 s[0:1], 0
	s_mov_b64 s[36:37], 0
	s_branch .LBB47_196
.LBB47_44:
	s_mov_b64 s[36:37], -1
	s_mov_b64 s[40:41], 0
	s_branch .LBB47_48
.LBB47_45:
	s_mov_b64 s[36:37], -1
	s_mov_b64 s[38:39], 0
	s_mov_b64 s[0:1], 0
                                        ; implicit-def: $vgpr4
	s_branch .LBB47_282
.LBB47_46:
	s_mov_b64 s[44:45], -1
	s_mov_b64 s[0:1], 0
	s_mov_b64 s[36:37], 0
	s_branch .LBB47_179
.LBB47_47:
	s_mov_b64 s[40:41], -1
.LBB47_48:
	s_mov_b64 s[0:1], 0
                                        ; implicit-def: $vgpr1
.LBB47_49:
	s_and_b64 vcc, exec, s[36:37]
	s_cbranch_vccz .LBB47_55
; %bb.50:
	s_waitcnt vmcnt(0)
	v_mov_b32_e32 v1, 44
	v_cmp_eq_u16_sdwa s[36:37], v9, v1 src0_sel:BYTE_0 src1_sel:DWORD
	s_and_b64 vcc, exec, s[36:37]
	s_cbranch_vccz .LBB47_54
; %bb.51:
	global_load_ubyte v1, v[4:5], off
	s_movk_i32 s36, 0xff
	v_mov_b32_e32 v3, 0x7f800001
	v_mov_b32_e32 v10, 0x400000
	;; [unrolled: 1-line block ×3, first 2 shown]
	s_mov_b64 s[0:1], -1
	s_mov_b64 s[40:41], 0
	s_waitcnt vmcnt(0)
	v_lshlrev_b32_e32 v12, 23, v1
	v_cmp_ne_u32_e32 vcc, s36, v1
	v_cndmask_b32_e32 v3, v3, v12, vcc
	v_cmp_ne_u32_e32 vcc, 0, v1
	v_cndmask_b32_e32 v1, v10, v3, vcc
	v_add_u32_e32 v3, 0x7fff, v1
	v_lshrrev_b32_e32 v3, 16, v3
	v_cmp_o_f32_e32 vcc, v1, v1
	v_cndmask_b32_e32 v1, v11, v3, vcc
	s_branch .LBB47_55
.LBB47_52:
	s_mov_b64 s[36:37], -1
	s_mov_b64 s[38:39], 0
	s_branch .LBB47_164
.LBB47_53:
	s_mov_b64 s[44:45], -1
	s_mov_b64 s[0:1], 0
	s_mov_b64 s[36:37], 0
	s_branch .LBB47_175
.LBB47_54:
	s_mov_b64 s[40:41], -1
                                        ; implicit-def: $vgpr1
.LBB47_55:
	s_mov_b64 s[36:37], 0
.LBB47_56:
	s_and_b64 vcc, exec, s[36:37]
	s_cbranch_vccz .LBB47_60
; %bb.57:
	s_waitcnt vmcnt(0)
	v_mov_b32_e32 v1, 29
	v_cmp_eq_u16_sdwa s[36:37], v9, v1 src0_sel:BYTE_0 src1_sel:DWORD
	s_and_b64 vcc, exec, s[36:37]
	s_cbranch_vccz .LBB47_59
; %bb.58:
	global_load_dwordx2 v[10:11], v[4:5], off
	s_movk_i32 s36, 0x7fff
	s_mov_b64 s[0:1], -1
	s_mov_b64 s[40:41], 0
	s_waitcnt vmcnt(0)
	v_ffbh_u32_e32 v1, v11
	v_min_u32_e32 v1, 32, v1
	v_lshlrev_b64 v[10:11], v1, v[10:11]
	v_min_u32_e32 v3, 1, v10
	v_or_b32_e32 v3, v11, v3
	v_cvt_f32_u32_e32 v3, v3
	v_sub_u32_e32 v1, 32, v1
	v_ldexp_f32 v1, v3, v1
	v_bfe_u32 v3, v1, 16, 1
	v_add3_u32 v1, v1, v3, s36
	v_lshrrev_b32_e32 v1, 16, v1
	s_branch .LBB47_60
.LBB47_59:
	s_mov_b64 s[40:41], -1
                                        ; implicit-def: $vgpr1
.LBB47_60:
	s_mov_b64 s[36:37], 0
.LBB47_61:
	s_and_b64 vcc, exec, s[36:37]
	s_cbranch_vccz .LBB47_79
; %bb.62:
	s_waitcnt vmcnt(0)
	v_mov_b32_e32 v1, 27
	v_cmp_lt_i16_sdwa s[0:1], v9, v1 src0_sel:BYTE_0 src1_sel:DWORD
	s_and_b64 vcc, exec, s[0:1]
	s_cbranch_vccnz .LBB47_65
; %bb.63:
	v_cmp_gt_i16_sdwa s[0:1], v9, v1 src0_sel:BYTE_0 src1_sel:DWORD
	s_and_b64 vcc, exec, s[0:1]
	s_cbranch_vccz .LBB47_66
; %bb.64:
	global_load_dword v1, v[4:5], off
	s_movk_i32 s0, 0x7fff
	s_waitcnt vmcnt(0)
	v_cvt_f32_u32_e32 v1, v1
	v_bfe_u32 v3, v1, 16, 1
	v_add3_u32 v1, v1, v3, s0
	v_lshrrev_b32_e32 v1, 16, v1
	s_mov_b64 s[0:1], 0
	s_branch .LBB47_67
.LBB47_65:
	s_mov_b64 s[0:1], -1
                                        ; implicit-def: $vgpr1
	s_branch .LBB47_70
.LBB47_66:
	s_mov_b64 s[0:1], -1
                                        ; implicit-def: $vgpr1
.LBB47_67:
	s_andn2_b64 vcc, exec, s[0:1]
	s_cbranch_vccnz .LBB47_69
; %bb.68:
	global_load_ushort v1, v[4:5], off
	s_movk_i32 s0, 0x7fff
	s_waitcnt vmcnt(0)
	v_cvt_f32_u32_e32 v1, v1
	v_bfe_u32 v3, v1, 16, 1
	v_add3_u32 v1, v1, v3, s0
	v_lshrrev_b32_e32 v1, 16, v1
.LBB47_69:
	s_mov_b64 s[0:1], 0
.LBB47_70:
	s_andn2_b64 vcc, exec, s[0:1]
	s_cbranch_vccnz .LBB47_78
; %bb.71:
	global_load_ubyte v1, v[4:5], off
	s_movk_i32 s0, 0x7f
                                        ; implicit-def: $sgpr44
	s_waitcnt vmcnt(0)
	v_cmp_lt_i16_e32 vcc, s0, v1
	s_mov_b64 s[0:1], 0
	s_and_saveexec_b64 s[36:37], vcc
	s_xor_b64 s[36:37], exec, s[36:37]
	s_cbranch_execz .LBB47_91
; %bb.72:
	s_movk_i32 s0, 0x80
	v_cmp_eq_u16_e32 vcc, s0, v1
	s_mov_b64 s[0:1], -1
                                        ; implicit-def: $sgpr44
	s_and_saveexec_b64 s[38:39], vcc
; %bb.73:
	s_mov_b32 s44, 0x7f800001
	s_xor_b64 s[0:1], exec, -1
; %bb.74:
	s_or_b64 exec, exec, s[38:39]
	s_and_b64 s[0:1], s[0:1], exec
	s_or_saveexec_b64 s[36:37], s[36:37]
	v_mov_b32_e32 v3, s44
	s_xor_b64 exec, exec, s[36:37]
	s_cbranch_execnz .LBB47_92
.LBB47_75:
	s_or_b64 exec, exec, s[36:37]
	s_and_saveexec_b64 s[36:37], s[0:1]
	s_cbranch_execz .LBB47_77
.LBB47_76:
	v_lshlrev_b32_e32 v3, 24, v1
	v_and_b32_e32 v1, 0xffff, v1
	v_and_b32_e32 v10, 7, v1
	v_ffbh_u32_e32 v12, v10
	v_min_u32_e32 v12, 32, v12
	v_subrev_u32_e32 v13, 28, v12
	v_bfe_u32 v11, v1, 3, 4
	v_lshlrev_b32_e32 v1, v13, v1
	v_sub_u32_e32 v12, 29, v12
	v_and_b32_e32 v1, 7, v1
	v_cmp_eq_u32_e32 vcc, 0, v11
	v_cndmask_b32_e32 v11, v11, v12, vcc
	v_cndmask_b32_e32 v1, v10, v1, vcc
	v_mov_b32_e32 v10, 0x3b800000
	v_lshlrev_b32_e32 v1, 20, v1
	v_and_b32_e32 v3, 0x80000000, v3
	v_lshl_add_u32 v10, v11, 23, v10
	v_or3_b32 v3, v3, v10, v1
.LBB47_77:
	s_or_b64 exec, exec, s[36:37]
	v_bfe_u32 v1, v3, 16, 1
	s_movk_i32 s0, 0x7fff
	v_add3_u32 v1, v3, v1, s0
	v_lshrrev_b32_e32 v1, 16, v1
	v_mov_b32_e32 v10, 0x7fc0
	v_cmp_o_f32_e32 vcc, v3, v3
	v_cndmask_b32_e32 v1, v10, v1, vcc
.LBB47_78:
	s_mov_b64 s[0:1], -1
.LBB47_79:
	s_branch .LBB47_114
.LBB47_80:
	s_waitcnt vmcnt(0)
	v_mov_b32_e32 v1, 22
	v_cmp_gt_i16_sdwa s[36:37], v9, v1 src0_sel:BYTE_0 src1_sel:DWORD
	s_and_b64 vcc, exec, s[36:37]
	s_cbranch_vccz .LBB47_90
; %bb.81:
	v_mov_b32_e32 v1, 24
	v_cmp_lt_i16_sdwa s[0:1], v9, v1 src0_sel:BYTE_0 src1_sel:DWORD
	s_and_b64 vcc, exec, s[0:1]
	s_cbranch_vccnz .LBB47_93
; %bb.82:
	v_cmp_gt_i16_sdwa s[0:1], v9, v1 src0_sel:BYTE_0 src1_sel:DWORD
	s_and_b64 vcc, exec, s[0:1]
	s_cbranch_vccz .LBB47_94
; %bb.83:
	global_load_ubyte v1, v[4:5], off
	s_movk_i32 s0, 0x7f
                                        ; implicit-def: $sgpr44
	s_waitcnt vmcnt(0)
	v_cmp_lt_i16_e32 vcc, s0, v1
	s_mov_b64 s[0:1], 0
	s_and_saveexec_b64 s[36:37], vcc
	s_xor_b64 s[36:37], exec, s[36:37]
	s_cbranch_execz .LBB47_106
; %bb.84:
	s_movk_i32 s0, 0x80
	v_cmp_eq_u16_e32 vcc, s0, v1
	s_mov_b64 s[0:1], -1
                                        ; implicit-def: $sgpr44
	s_and_saveexec_b64 s[38:39], vcc
; %bb.85:
	s_mov_b32 s44, 0x7f800001
	s_xor_b64 s[0:1], exec, -1
; %bb.86:
	s_or_b64 exec, exec, s[38:39]
	s_and_b64 s[0:1], s[0:1], exec
	s_or_saveexec_b64 s[36:37], s[36:37]
	v_mov_b32_e32 v3, s44
	s_xor_b64 exec, exec, s[36:37]
	s_cbranch_execnz .LBB47_107
.LBB47_87:
	s_or_b64 exec, exec, s[36:37]
	s_and_saveexec_b64 s[36:37], s[0:1]
	s_cbranch_execz .LBB47_89
.LBB47_88:
	v_lshlrev_b32_e32 v3, 24, v1
	v_and_b32_e32 v1, 0xffff, v1
	v_and_b32_e32 v10, 3, v1
	v_ffbh_u32_e32 v12, v10
	v_min_u32_e32 v12, 32, v12
	v_subrev_u32_e32 v13, 29, v12
	v_bfe_u32 v11, v1, 2, 5
	v_lshlrev_b32_e32 v1, v13, v1
	v_sub_u32_e32 v12, 30, v12
	v_and_b32_e32 v1, 3, v1
	v_cmp_eq_u32_e32 vcc, 0, v11
	v_cndmask_b32_e32 v11, v11, v12, vcc
	v_cndmask_b32_e32 v1, v10, v1, vcc
	v_mov_b32_e32 v10, 0x37800000
	v_lshlrev_b32_e32 v1, 21, v1
	v_and_b32_e32 v3, 0x80000000, v3
	v_lshl_add_u32 v10, v11, 23, v10
	v_or3_b32 v3, v3, v10, v1
.LBB47_89:
	s_or_b64 exec, exec, s[36:37]
	v_bfe_u32 v1, v3, 16, 1
	s_movk_i32 s0, 0x7fff
	v_add3_u32 v1, v3, v1, s0
	v_lshrrev_b32_e32 v1, 16, v1
	v_mov_b32_e32 v10, 0x7fc0
	v_cmp_o_f32_e32 vcc, v3, v3
	v_cndmask_b32_e32 v1, v10, v1, vcc
	s_mov_b64 s[0:1], 0
	s_branch .LBB47_95
.LBB47_90:
	s_mov_b64 s[36:37], -1
                                        ; implicit-def: $vgpr1
	s_branch .LBB47_101
.LBB47_91:
	s_or_saveexec_b64 s[36:37], s[36:37]
	v_mov_b32_e32 v3, s44
	s_xor_b64 exec, exec, s[36:37]
	s_cbranch_execz .LBB47_75
.LBB47_92:
	v_cmp_ne_u16_e32 vcc, 0, v1
	s_andn2_b64 s[0:1], s[0:1], exec
	s_and_b64 s[38:39], vcc, exec
	v_mov_b32_e32 v3, 0
	s_or_b64 s[0:1], s[0:1], s[38:39]
	s_or_b64 exec, exec, s[36:37]
	s_and_saveexec_b64 s[36:37], s[0:1]
	s_cbranch_execnz .LBB47_76
	s_branch .LBB47_77
.LBB47_93:
	s_mov_b64 s[0:1], -1
                                        ; implicit-def: $vgpr1
	s_branch .LBB47_98
.LBB47_94:
	s_mov_b64 s[0:1], -1
                                        ; implicit-def: $vgpr1
.LBB47_95:
	s_and_b64 vcc, exec, s[0:1]
	s_cbranch_vccz .LBB47_97
; %bb.96:
	global_load_ubyte v1, v[4:5], off
	s_mov_b32 s0, 0x7f800000
	s_brev_b32 s1, 1
	s_movk_i32 s36, 0x7fff
	v_mov_b32_e32 v3, 0x7fc0
	s_waitcnt vmcnt(0)
	v_lshlrev_b32_e32 v1, 24, v1
	v_and_b32_e32 v10, 0x7f000000, v1
	v_ffbh_u32_e32 v11, v10
	v_min_u32_e32 v11, 32, v11
	v_sub_u32_e64 v11, v11, 4 clamp
	v_lshlrev_b32_e32 v13, v11, v10
	v_lshlrev_b32_e32 v11, 23, v11
	v_lshrrev_b32_e32 v13, 4, v13
	v_add_u32_e32 v12, 0x1000000, v10
	v_sub_u32_e32 v11, v13, v11
	v_ashrrev_i32_e32 v12, 8, v12
	v_add_u32_e32 v11, 0x3c000000, v11
	v_and_or_b32 v11, v12, s0, v11
	v_cmp_ne_u32_e32 vcc, 0, v10
	v_cndmask_b32_e32 v10, 0, v11, vcc
	v_and_or_b32 v1, v1, s1, v10
	v_bfe_u32 v10, v10, 16, 1
	v_add3_u32 v10, v1, v10, s36
	v_lshrrev_b32_e32 v10, 16, v10
	v_cmp_o_f32_e32 vcc, v1, v1
	v_cndmask_b32_e32 v1, v3, v10, vcc
.LBB47_97:
	s_mov_b64 s[0:1], 0
.LBB47_98:
	s_andn2_b64 vcc, exec, s[0:1]
	s_cbranch_vccnz .LBB47_100
; %bb.99:
	global_load_ubyte v1, v[4:5], off
	s_movk_i32 s0, 0x7f00
	s_brev_b32 s1, 16
	s_brev_b32 s36, 1
	s_movk_i32 s37, 0x7fff
	v_mov_b32_e32 v3, 0x7fc0
	s_waitcnt vmcnt(0)
	v_lshlrev_b16_e32 v10, 8, v1
	v_lshlrev_b32_e32 v1, 25, v1
	v_lshrrev_b32_e32 v11, 4, v1
	v_and_or_b32 v12, v10, s0, 0.5
	v_or_b32_e32 v11, 0x70000000, v11
	v_add_f32_e32 v12, -0.5, v12
	v_mul_f32_e32 v11, 0x7800000, v11
	v_cmp_gt_u32_e32 vcc, s1, v1
	v_bfe_i32 v10, v10, 0, 16
	v_cndmask_b32_e32 v1, v11, v12, vcc
	v_and_or_b32 v10, v10, s36, v1
	v_bfe_u32 v1, v1, 16, 1
	v_add3_u32 v1, v10, v1, s37
	v_lshrrev_b32_e32 v1, 16, v1
	v_cmp_o_f32_e32 vcc, v10, v10
	v_cndmask_b32_e32 v1, v3, v1, vcc
.LBB47_100:
	s_mov_b64 s[36:37], 0
	s_mov_b64 s[0:1], -1
.LBB47_101:
	s_andn2_b64 vcc, exec, s[36:37]
	s_cbranch_vccnz .LBB47_114
; %bb.102:
	v_mov_b32_e32 v1, 14
	v_cmp_gt_i16_sdwa s[36:37], v9, v1 src0_sel:BYTE_0 src1_sel:DWORD
	s_and_b64 vcc, exec, s[36:37]
	s_cbranch_vccz .LBB47_105
; %bb.103:
	v_mov_b32_e32 v1, 15
	v_cmp_eq_u16_sdwa s[36:37], v9, v1 src0_sel:BYTE_0 src1_sel:DWORD
	s_and_b64 vcc, exec, s[36:37]
	s_cbranch_vccz .LBB47_108
; %bb.104:
	global_load_ushort v1, v[4:5], off
	s_mov_b64 s[0:1], -1
	s_mov_b64 s[40:41], 0
	s_branch .LBB47_109
.LBB47_105:
	s_mov_b64 s[36:37], -1
                                        ; implicit-def: $vgpr1
	s_branch .LBB47_110
.LBB47_106:
	s_or_saveexec_b64 s[36:37], s[36:37]
	v_mov_b32_e32 v3, s44
	s_xor_b64 exec, exec, s[36:37]
	s_cbranch_execz .LBB47_87
.LBB47_107:
	v_cmp_ne_u16_e32 vcc, 0, v1
	s_andn2_b64 s[0:1], s[0:1], exec
	s_and_b64 s[38:39], vcc, exec
	v_mov_b32_e32 v3, 0
	s_or_b64 s[0:1], s[0:1], s[38:39]
	s_or_b64 exec, exec, s[36:37]
	s_and_saveexec_b64 s[36:37], s[0:1]
	s_cbranch_execnz .LBB47_88
	s_branch .LBB47_89
.LBB47_108:
	s_mov_b64 s[40:41], -1
                                        ; implicit-def: $vgpr1
.LBB47_109:
	s_mov_b64 s[36:37], 0
.LBB47_110:
	s_and_b64 vcc, exec, s[36:37]
	s_cbranch_vccz .LBB47_114
; %bb.111:
	s_waitcnt vmcnt(0)
	v_mov_b32_e32 v1, 11
	v_cmp_eq_u16_sdwa s[36:37], v9, v1 src0_sel:BYTE_0 src1_sel:DWORD
	s_and_b64 vcc, exec, s[36:37]
	s_cbranch_vccz .LBB47_113
; %bb.112:
	global_load_ubyte v1, v[4:5], off
	s_mov_b64 s[0:1], -1
	s_mov_b64 s[40:41], 0
	s_waitcnt vmcnt(0)
	v_cmp_ne_u16_e32 vcc, 0, v1
	v_cndmask_b32_e64 v1, 0, 1.0, vcc
	v_lshrrev_b32_e32 v1, 16, v1
	s_branch .LBB47_114
.LBB47_113:
	s_mov_b64 s[40:41], -1
                                        ; implicit-def: $vgpr1
.LBB47_114:
	s_branch .LBB47_20
.LBB47_115:
	s_waitcnt vmcnt(0)
	v_mov_b32_e32 v1, 5
	v_cmp_lt_i16_sdwa s[0:1], v9, v1 src0_sel:BYTE_0 src1_sel:DWORD
	s_and_b64 vcc, exec, s[0:1]
	s_cbranch_vccnz .LBB47_120
; %bb.116:
	v_mov_b32_e32 v1, 8
	v_cmp_lt_i16_sdwa s[0:1], v9, v1 src0_sel:BYTE_0 src1_sel:DWORD
	s_and_b64 vcc, exec, s[0:1]
	s_cbranch_vccnz .LBB47_121
; %bb.117:
	;; [unrolled: 5-line block ×3, first 2 shown]
	v_cmp_gt_i16_sdwa s[0:1], v9, v1 src0_sel:BYTE_0 src1_sel:DWORD
	s_and_b64 vcc, exec, s[0:1]
	s_cbranch_vccz .LBB47_123
; %bb.119:
	global_load_dwordx2 v[10:11], v[4:5], off
	s_movk_i32 s0, 0x7fff
	v_mov_b32_e32 v1, 0x7fc0
	s_waitcnt vmcnt(0)
	v_cvt_f32_f64_e32 v3, v[10:11]
	v_bfe_u32 v10, v3, 16, 1
	v_add3_u32 v10, v3, v10, s0
	v_lshrrev_b32_e32 v10, 16, v10
	v_cmp_o_f32_e32 vcc, v3, v3
	v_cndmask_b32_e32 v1, v1, v10, vcc
	s_mov_b64 s[0:1], 0
	s_branch .LBB47_124
.LBB47_120:
                                        ; implicit-def: $vgpr1
	s_branch .LBB47_142
.LBB47_121:
	s_mov_b64 s[0:1], -1
                                        ; implicit-def: $vgpr1
	s_branch .LBB47_130
.LBB47_122:
	s_mov_b64 s[0:1], -1
                                        ; implicit-def: $vgpr1
	s_branch .LBB47_127
.LBB47_123:
	s_mov_b64 s[0:1], -1
                                        ; implicit-def: $vgpr1
.LBB47_124:
	s_andn2_b64 vcc, exec, s[0:1]
	s_cbranch_vccnz .LBB47_126
; %bb.125:
	global_load_dword v1, v[4:5], off
	s_movk_i32 s0, 0x7fff
	v_mov_b32_e32 v3, 0x7fc0
	s_waitcnt vmcnt(0)
	v_bfe_u32 v10, v1, 16, 1
	v_add3_u32 v10, v1, v10, s0
	v_lshrrev_b32_e32 v10, 16, v10
	v_cmp_o_f32_e32 vcc, v1, v1
	v_cndmask_b32_e32 v1, v3, v10, vcc
.LBB47_126:
	s_mov_b64 s[0:1], 0
.LBB47_127:
	s_andn2_b64 vcc, exec, s[0:1]
	s_cbranch_vccnz .LBB47_129
; %bb.128:
	global_load_dword v1, v[4:5], off
	s_movk_i32 s0, 0x7fff
	v_mov_b32_e32 v10, 0x7fc0
	s_waitcnt vmcnt(0)
	v_cvt_f32_f16_e32 v3, v1
	v_cmp_o_f16_e32 vcc, v1, v1
	v_bfe_u32 v11, v3, 16, 1
	v_add3_u32 v3, v3, v11, s0
	v_lshrrev_b32_e32 v3, 16, v3
	v_cndmask_b32_e32 v1, v10, v3, vcc
.LBB47_129:
	s_mov_b64 s[0:1], 0
.LBB47_130:
	s_andn2_b64 vcc, exec, s[0:1]
	s_cbranch_vccnz .LBB47_141
; %bb.131:
	v_mov_b32_e32 v1, 6
	v_cmp_lt_i16_sdwa s[0:1], v9, v1 src0_sel:BYTE_0 src1_sel:DWORD
	s_and_b64 vcc, exec, s[0:1]
	s_cbranch_vccnz .LBB47_134
; %bb.132:
	v_cmp_gt_i16_sdwa s[0:1], v9, v1 src0_sel:BYTE_0 src1_sel:DWORD
	s_and_b64 vcc, exec, s[0:1]
	s_cbranch_vccz .LBB47_135
; %bb.133:
	global_load_dwordx2 v[10:11], v[4:5], off
	s_movk_i32 s0, 0x7fff
	v_mov_b32_e32 v1, 0x7fc0
	s_waitcnt vmcnt(0)
	v_cvt_f32_f64_e32 v3, v[10:11]
	v_bfe_u32 v10, v3, 16, 1
	v_add3_u32 v10, v3, v10, s0
	v_lshrrev_b32_e32 v10, 16, v10
	v_cmp_o_f32_e32 vcc, v3, v3
	v_cndmask_b32_e32 v1, v1, v10, vcc
	s_mov_b64 s[0:1], 0
	s_branch .LBB47_136
.LBB47_134:
	s_mov_b64 s[0:1], -1
                                        ; implicit-def: $vgpr1
	s_branch .LBB47_139
.LBB47_135:
	s_mov_b64 s[0:1], -1
                                        ; implicit-def: $vgpr1
.LBB47_136:
	s_andn2_b64 vcc, exec, s[0:1]
	s_cbranch_vccnz .LBB47_138
; %bb.137:
	global_load_dword v1, v[4:5], off
	s_movk_i32 s0, 0x7fff
	v_mov_b32_e32 v3, 0x7fc0
	s_waitcnt vmcnt(0)
	v_bfe_u32 v10, v1, 16, 1
	v_add3_u32 v10, v1, v10, s0
	v_lshrrev_b32_e32 v10, 16, v10
	v_cmp_o_f32_e32 vcc, v1, v1
	v_cndmask_b32_e32 v1, v3, v10, vcc
.LBB47_138:
	s_mov_b64 s[0:1], 0
.LBB47_139:
	s_andn2_b64 vcc, exec, s[0:1]
	s_cbranch_vccnz .LBB47_141
; %bb.140:
	global_load_ushort v1, v[4:5], off
	s_movk_i32 s0, 0x7fff
	v_mov_b32_e32 v10, 0x7fc0
	s_waitcnt vmcnt(0)
	v_cvt_f32_f16_e32 v3, v1
	v_cmp_o_f16_e32 vcc, v1, v1
	v_bfe_u32 v11, v3, 16, 1
	v_add3_u32 v3, v3, v11, s0
	v_lshrrev_b32_e32 v3, 16, v3
	v_cndmask_b32_e32 v1, v10, v3, vcc
.LBB47_141:
	s_cbranch_execnz .LBB47_161
.LBB47_142:
	v_mov_b32_e32 v1, 2
	v_cmp_lt_i16_sdwa s[0:1], v9, v1 src0_sel:BYTE_0 src1_sel:DWORD
	s_and_b64 vcc, exec, s[0:1]
	s_cbranch_vccnz .LBB47_146
; %bb.143:
	v_mov_b32_e32 v1, 3
	v_cmp_lt_i16_sdwa s[0:1], v9, v1 src0_sel:BYTE_0 src1_sel:DWORD
	s_and_b64 vcc, exec, s[0:1]
	s_cbranch_vccnz .LBB47_147
; %bb.144:
	v_cmp_gt_i16_sdwa s[0:1], v9, v1 src0_sel:BYTE_0 src1_sel:DWORD
	s_and_b64 vcc, exec, s[0:1]
	s_cbranch_vccz .LBB47_148
; %bb.145:
	global_load_dwordx2 v[10:11], v[4:5], off
	s_movk_i32 s0, 0x7fff
	s_waitcnt vmcnt(0)
	v_xor_b32_e32 v3, v10, v11
	v_ffbh_i32_e32 v1, v11
	v_ashrrev_i32_e32 v3, 31, v3
	v_add_u32_e32 v1, -1, v1
	v_add_u32_e32 v3, 32, v3
	v_min_u32_e32 v1, v1, v3
	v_lshlrev_b64 v[10:11], v1, v[10:11]
	v_min_u32_e32 v3, 1, v10
	v_or_b32_e32 v3, v11, v3
	v_cvt_f32_i32_e32 v3, v3
	v_sub_u32_e32 v1, 32, v1
	v_ldexp_f32 v1, v3, v1
	v_bfe_u32 v3, v1, 16, 1
	v_add3_u32 v1, v1, v3, s0
	v_lshrrev_b32_e32 v1, 16, v1
	s_mov_b64 s[0:1], 0
	s_branch .LBB47_149
.LBB47_146:
	s_mov_b64 s[0:1], -1
                                        ; implicit-def: $vgpr1
	s_branch .LBB47_155
.LBB47_147:
	s_mov_b64 s[0:1], -1
                                        ; implicit-def: $vgpr1
	s_branch .LBB47_152
.LBB47_148:
	s_mov_b64 s[0:1], -1
                                        ; implicit-def: $vgpr1
.LBB47_149:
	s_andn2_b64 vcc, exec, s[0:1]
	s_cbranch_vccnz .LBB47_151
; %bb.150:
	global_load_dword v1, v[4:5], off
	s_movk_i32 s0, 0x7fff
	s_waitcnt vmcnt(0)
	v_cvt_f32_i32_e32 v1, v1
	v_bfe_u32 v3, v1, 16, 1
	v_add3_u32 v1, v1, v3, s0
	v_lshrrev_b32_e32 v1, 16, v1
.LBB47_151:
	s_mov_b64 s[0:1], 0
.LBB47_152:
	s_andn2_b64 vcc, exec, s[0:1]
	s_cbranch_vccnz .LBB47_154
; %bb.153:
	global_load_sshort v1, v[4:5], off
	s_movk_i32 s0, 0x7fff
	s_waitcnt vmcnt(0)
	v_cvt_f32_i32_e32 v1, v1
	v_bfe_u32 v3, v1, 16, 1
	v_add3_u32 v1, v1, v3, s0
	v_lshrrev_b32_e32 v1, 16, v1
.LBB47_154:
	s_mov_b64 s[0:1], 0
.LBB47_155:
	s_andn2_b64 vcc, exec, s[0:1]
	s_cbranch_vccnz .LBB47_161
; %bb.156:
	v_mov_b32_e32 v1, 0
	v_cmp_gt_i16_sdwa s[0:1], v9, v1 src0_sel:BYTE_0 src1_sel:DWORD
	s_and_b64 vcc, exec, s[0:1]
	s_cbranch_vccz .LBB47_158
; %bb.157:
	global_load_sbyte v1, v[4:5], off
	s_movk_i32 s0, 0x7fff
	s_waitcnt vmcnt(0)
	v_cvt_f32_i32_e32 v1, v1
	v_bfe_u32 v3, v1, 16, 1
	v_add3_u32 v1, v1, v3, s0
	v_lshrrev_b32_e32 v1, 16, v1
	s_mov_b64 s[0:1], 0
	s_branch .LBB47_159
.LBB47_158:
	s_mov_b64 s[0:1], -1
                                        ; implicit-def: $vgpr1
.LBB47_159:
	s_andn2_b64 vcc, exec, s[0:1]
	s_cbranch_vccnz .LBB47_161
; %bb.160:
	global_load_ubyte v1, v[4:5], off
	s_movk_i32 s0, 0x7fff
	s_waitcnt vmcnt(0)
	v_cvt_f32_ubyte0_e32 v1, v1
	v_bfe_u32 v3, v1, 16, 1
	v_add3_u32 v1, v1, v3, s0
	v_lshrrev_b32_e32 v1, 16, v1
.LBB47_161:
	s_branch .LBB47_21
.LBB47_162:
	s_mov_b64 s[0:1], 0
	s_mov_b64 s[38:39], 0
	s_branch .LBB47_391
.LBB47_163:
	s_mov_b64 s[38:39], -1
.LBB47_164:
	s_mov_b64 s[0:1], 0
                                        ; implicit-def: $vgpr4
.LBB47_165:
	s_and_b64 vcc, exec, s[36:37]
	s_cbranch_vccz .LBB47_281
; %bb.166:
	s_waitcnt vmcnt(0)
	v_mov_b32_e32 v4, 44
	v_cmp_eq_u16_sdwa s[36:37], v7, v4 src0_sel:BYTE_0 src1_sel:DWORD
	s_and_b64 vcc, exec, s[36:37]
	s_cbranch_vccz .LBB47_280
; %bb.167:
	global_load_ubyte v4, v[2:3], off
	s_movk_i32 s36, 0xff
	v_mov_b32_e32 v5, 0x7f800001
	v_mov_b32_e32 v10, 0x400000
	;; [unrolled: 1-line block ×3, first 2 shown]
	s_mov_b64 s[0:1], -1
	s_mov_b64 s[38:39], 0
	s_waitcnt vmcnt(0)
	v_lshlrev_b32_e32 v12, 23, v4
	v_cmp_ne_u32_e32 vcc, s36, v4
	v_cndmask_b32_e32 v5, v5, v12, vcc
	v_cmp_ne_u32_e32 vcc, 0, v4
	v_cndmask_b32_e32 v4, v10, v5, vcc
	v_add_u32_e32 v5, 0x7fff, v4
	v_lshrrev_b32_e32 v5, 16, v5
	v_cmp_o_f32_e32 vcc, v4, v4
	v_cndmask_b32_e32 v4, v11, v5, vcc
	s_branch .LBB47_281
.LBB47_168:
	s_mov_b64 s[44:45], -1
	s_mov_b64 s[0:1], 0
	s_mov_b64 s[36:37], 0
.LBB47_169:
	s_and_b64 vcc, exec, s[44:45]
	s_cbranch_vccz .LBB47_174
; %bb.170:
	v_mov_b32_e32 v4, 44
	v_cmp_eq_u16_sdwa s[44:45], v6, v4 src0_sel:BYTE_0 src1_sel:DWORD
	s_mov_b64 s[0:1], -1
	s_and_b64 vcc, exec, s[44:45]
	s_cbranch_vccz .LBB47_174
; %bb.171:
	v_and_b32_e32 v5, 0xffff, v2
	v_bfe_u32 v4, v5, 7, 8
	s_movk_i32 s0, 0xff
	v_cmp_ne_u32_e32 vcc, s0, v4
	v_mov_b32_e32 v10, 0xff
	s_and_saveexec_b64 s[36:37], vcc
; %bb.172:
	v_lshlrev_b32_e32 v11, 16, v5
	s_mov_b32 s0, 0x3f0000
	v_lshrrev_b32_e32 v10, 7, v5
	v_and_b32_e32 v5, 64, v5
	v_and_or_b32 v4, v11, s0, v4
	v_cmp_ne_u32_e32 vcc, 0, v5
	v_cmp_ne_u32_e64 s[0:1], 0, v4
	s_and_b64 s[0:1], vcc, s[0:1]
	v_cndmask_b32_e64 v4, 0, 1, s[0:1]
	v_add_u32_e32 v10, v10, v4
; %bb.173:
	s_or_b64 exec, exec, s[36:37]
	s_mov_b64 s[36:37], -1
	s_mov_b64 s[0:1], 0
	global_store_byte v[0:1], v10, off
.LBB47_174:
	s_mov_b64 s[44:45], 0
.LBB47_175:
	s_and_b64 vcc, exec, s[44:45]
	s_cbranch_vccz .LBB47_178
; %bb.176:
	v_mov_b32_e32 v4, 29
	v_cmp_eq_u16_sdwa s[44:45], v6, v4 src0_sel:BYTE_0 src1_sel:DWORD
	s_mov_b64 s[0:1], -1
	s_and_b64 vcc, exec, s[44:45]
	s_cbranch_vccz .LBB47_178
; %bb.177:
	v_lshlrev_b32_e32 v4, 16, v2
	v_trunc_f32_e32 v4, v4
	v_mul_f32_e32 v5, 0x2f800000, v4
	v_floor_f32_e32 v10, v5
	v_fmac_f32_e32 v4, 0xcf800000, v10
	v_cvt_u32_f32_e32 v5, v10
	v_cvt_u32_f32_e32 v4, v4
	s_mov_b64 s[36:37], -1
	s_mov_b64 s[0:1], 0
	s_mov_b64 s[44:45], 0
	global_store_dwordx2 v[0:1], v[4:5], off
	s_branch .LBB47_179
.LBB47_178:
	s_mov_b64 s[44:45], 0
.LBB47_179:
	s_and_b64 vcc, exec, s[44:45]
	s_cbranch_vccz .LBB47_195
; %bb.180:
	v_mov_b32_e32 v4, 27
	v_cmp_lt_i16_sdwa s[44:45], v6, v4 src0_sel:BYTE_0 src1_sel:DWORD
	s_mov_b64 s[36:37], -1
	s_and_b64 vcc, exec, s[44:45]
	s_cbranch_vccnz .LBB47_186
; %bb.181:
	v_cmp_gt_i16_sdwa s[44:45], v6, v4 src0_sel:BYTE_0 src1_sel:DWORD
	s_and_b64 vcc, exec, s[44:45]
	s_cbranch_vccz .LBB47_183
; %bb.182:
	v_lshlrev_b32_e32 v4, 16, v2
	v_cvt_u32_f32_e32 v4, v4
	s_mov_b64 s[36:37], 0
	global_store_dword v[0:1], v4, off
.LBB47_183:
	s_andn2_b64 vcc, exec, s[36:37]
	s_cbranch_vccnz .LBB47_185
; %bb.184:
	v_lshlrev_b32_e32 v4, 16, v2
	v_cvt_u32_f32_e32 v4, v4
	global_store_short v[0:1], v4, off
.LBB47_185:
	s_mov_b64 s[36:37], 0
.LBB47_186:
	s_andn2_b64 vcc, exec, s[36:37]
	s_cbranch_vccnz .LBB47_194
; %bb.187:
	v_lshlrev_b32_e32 v10, 16, v2
	v_and_b32_e32 v5, 0x7fffffff, v10
	s_mov_b32 s36, 0x43800000
	v_cmp_gt_u32_e32 vcc, s36, v5
	v_mov_b32_e32 v11, 0x80
	s_and_saveexec_b64 s[36:37], vcc
	s_cbranch_execz .LBB47_193
; %bb.188:
	s_mov_b32 s44, 0x3bffffff
	v_and_b32_e32 v4, 0xffff, v2
	v_cmp_lt_u32_e32 vcc, s44, v5
	s_mov_b64 s[44:45], 0
                                        ; implicit-def: $vgpr5
	s_and_saveexec_b64 s[48:49], vcc
	s_xor_b64 s[48:49], exec, s[48:49]
	s_cbranch_execz .LBB47_432
; %bb.189:
	v_bfe_u32 v5, v4, 4, 1
	s_mov_b32 s50, 0x487ffff
	v_add3_u32 v5, v10, v5, s50
	s_mov_b64 s[44:45], exec
	v_lshrrev_b32_e32 v5, 20, v5
                                        ; implicit-def: $vgpr10
	s_or_saveexec_b64 s[48:49], s[48:49]
                                        ; implicit-def: $sgpr50
	s_xor_b64 exec, exec, s[48:49]
	s_cbranch_execnz .LBB47_433
.LBB47_190:
	s_or_b64 exec, exec, s[48:49]
	v_mov_b32_e32 v11, s50
	s_and_saveexec_b64 s[48:49], s[44:45]
.LBB47_191:
	v_lshrrev_b32_e32 v4, 8, v4
	s_movk_i32 s44, 0x80
	v_and_or_b32 v11, v4, s44, v5
.LBB47_192:
	s_or_b64 exec, exec, s[48:49]
.LBB47_193:
	s_or_b64 exec, exec, s[36:37]
	global_store_byte v[0:1], v11, off
.LBB47_194:
	s_mov_b64 s[36:37], -1
.LBB47_195:
	s_mov_b64 s[44:45], 0
.LBB47_196:
	s_and_b64 vcc, exec, s[44:45]
	s_cbranch_vccz .LBB47_237
; %bb.197:
	v_mov_b32_e32 v4, 22
	v_cmp_gt_i16_sdwa s[48:49], v6, v4 src0_sel:BYTE_0 src1_sel:DWORD
	s_mov_b64 s[44:45], -1
	s_and_b64 vcc, exec, s[48:49]
	s_cbranch_vccz .LBB47_229
; %bb.198:
	v_mov_b32_e32 v4, 24
	v_cmp_lt_i16_sdwa s[44:45], v6, v4 src0_sel:BYTE_0 src1_sel:DWORD
	s_mov_b64 s[36:37], -1
	s_and_b64 vcc, exec, s[44:45]
	s_cbranch_vccnz .LBB47_218
; %bb.199:
	v_cmp_gt_i16_sdwa s[44:45], v6, v4 src0_sel:BYTE_0 src1_sel:DWORD
	s_and_b64 vcc, exec, s[44:45]
	s_cbranch_vccz .LBB47_207
; %bb.200:
	v_lshlrev_b32_e32 v10, 16, v2
	v_and_b32_e32 v5, 0x7fffffff, v10
	s_mov_b32 s36, 0x47800000
	v_cmp_gt_u32_e32 vcc, s36, v5
	v_mov_b32_e32 v11, 0x80
	s_and_saveexec_b64 s[36:37], vcc
	s_cbranch_execz .LBB47_206
; %bb.201:
	s_mov_b32 s44, 0x37ffffff
	v_and_b32_e32 v4, 0xffff, v2
	v_cmp_lt_u32_e32 vcc, s44, v5
	s_mov_b64 s[44:45], 0
                                        ; implicit-def: $vgpr5
	s_and_saveexec_b64 s[48:49], vcc
	s_xor_b64 s[48:49], exec, s[48:49]
	s_cbranch_execz .LBB47_551
; %bb.202:
	v_bfe_u32 v5, v4, 5, 1
	s_mov_b32 s50, 0x88fffff
	v_add3_u32 v5, v10, v5, s50
	s_mov_b64 s[44:45], exec
	v_lshrrev_b32_e32 v5, 21, v5
                                        ; implicit-def: $vgpr10
	s_or_saveexec_b64 s[48:49], s[48:49]
                                        ; implicit-def: $sgpr50
	s_xor_b64 exec, exec, s[48:49]
	s_cbranch_execnz .LBB47_552
.LBB47_203:
	s_or_b64 exec, exec, s[48:49]
	v_mov_b32_e32 v11, s50
	s_and_saveexec_b64 s[48:49], s[44:45]
.LBB47_204:
	v_lshrrev_b32_e32 v4, 8, v4
	s_movk_i32 s44, 0x80
	v_and_or_b32 v11, v4, s44, v5
.LBB47_205:
	s_or_b64 exec, exec, s[48:49]
.LBB47_206:
	s_or_b64 exec, exec, s[36:37]
	s_mov_b64 s[36:37], 0
	global_store_byte v[0:1], v11, off
.LBB47_207:
	s_and_b64 vcc, exec, s[36:37]
	s_cbranch_vccz .LBB47_217
; %bb.208:
	v_lshlrev_b32_e32 v10, 16, v2
	v_and_b32_e32 v11, 0x7fffffff, v10
	s_mov_b32 s36, 0x43f00000
	v_and_b32_e32 v4, 0xffff, v2
	v_cmp_gt_u32_e32 vcc, s36, v11
                                        ; implicit-def: $vgpr5
	s_and_saveexec_b64 s[36:37], vcc
	s_xor_b64 s[36:37], exec, s[36:37]
	s_cbranch_execz .LBB47_214
; %bb.209:
	s_mov_b32 s44, 0x3c7fffff
	v_cmp_lt_u32_e32 vcc, s44, v11
                                        ; implicit-def: $vgpr5
	s_and_saveexec_b64 s[44:45], vcc
	s_xor_b64 s[44:45], exec, s[44:45]
; %bb.210:
	v_bfe_u32 v5, v4, 4, 1
	s_mov_b32 s48, 0x407ffff
	v_add3_u32 v5, v10, v5, s48
	v_lshrrev_b32_e32 v10, 20, v5
	v_and_b32_e32 v5, 0xff00000, v5
	s_mov_b32 s48, 0x7f00000
	v_mov_b32_e32 v11, 0x7e
	v_cmp_ne_u32_e32 vcc, s48, v5
	v_cndmask_b32_e32 v5, v11, v10, vcc
                                        ; implicit-def: $vgpr10
; %bb.211:
	s_andn2_saveexec_b64 s[44:45], s[44:45]
; %bb.212:
	s_mov_b32 s48, 0x46800000
	v_add_f32_e64 v5, |v10|, s48
; %bb.213:
	s_or_b64 exec, exec, s[44:45]
                                        ; implicit-def: $vgpr11
.LBB47_214:
	s_andn2_saveexec_b64 s[36:37], s[36:37]
; %bb.215:
	s_mov_b32 s44, 0x7f800000
	v_mov_b32_e32 v5, 0x7e
	v_mov_b32_e32 v10, 0x7f
	v_cmp_lt_u32_e32 vcc, s44, v11
	v_cndmask_b32_e32 v5, v5, v10, vcc
; %bb.216:
	s_or_b64 exec, exec, s[36:37]
	v_lshrrev_b32_e32 v4, 8, v4
	s_movk_i32 s36, 0x80
	v_and_or_b32 v4, v4, s36, v5
	global_store_byte v[0:1], v4, off
.LBB47_217:
	s_mov_b64 s[36:37], 0
.LBB47_218:
	s_andn2_b64 vcc, exec, s[36:37]
	s_cbranch_vccnz .LBB47_228
; %bb.219:
	v_lshlrev_b32_e32 v10, 16, v2
	v_and_b32_e32 v11, 0x7fffffff, v10
	s_mov_b32 s36, 0x47800000
	v_and_b32_e32 v4, 0xffff, v2
	v_cmp_gt_u32_e32 vcc, s36, v11
                                        ; implicit-def: $vgpr5
	s_and_saveexec_b64 s[36:37], vcc
	s_xor_b64 s[36:37], exec, s[36:37]
	s_cbranch_execz .LBB47_225
; %bb.220:
	s_mov_b32 s44, 0x387fffff
	v_cmp_lt_u32_e32 vcc, s44, v11
                                        ; implicit-def: $vgpr5
	s_and_saveexec_b64 s[44:45], vcc
	s_xor_b64 s[44:45], exec, s[44:45]
; %bb.221:
	v_bfe_u32 v5, v4, 5, 1
	s_mov_b32 s48, 0x80fffff
	v_add3_u32 v5, v10, v5, s48
	v_lshrrev_b32_e32 v5, 21, v5
                                        ; implicit-def: $vgpr10
; %bb.222:
	s_andn2_saveexec_b64 s[44:45], s[44:45]
; %bb.223:
	s_mov_b32 s48, 0x43000000
	v_add_f32_e64 v5, |v10|, s48
; %bb.224:
	s_or_b64 exec, exec, s[44:45]
                                        ; implicit-def: $vgpr11
.LBB47_225:
	s_andn2_saveexec_b64 s[36:37], s[36:37]
; %bb.226:
	s_mov_b32 s44, 0x7f800000
	v_mov_b32_e32 v5, 0x7c
	v_mov_b32_e32 v10, 0x7f
	v_cmp_lt_u32_e32 vcc, s44, v11
	v_cndmask_b32_e32 v5, v5, v10, vcc
; %bb.227:
	s_or_b64 exec, exec, s[36:37]
	v_lshrrev_b32_e32 v4, 8, v4
	s_movk_i32 s36, 0x80
	v_and_or_b32 v4, v4, s36, v5
	global_store_byte v[0:1], v4, off
.LBB47_228:
	s_mov_b64 s[44:45], 0
	s_mov_b64 s[36:37], -1
.LBB47_229:
	s_andn2_b64 vcc, exec, s[44:45]
	s_cbranch_vccnz .LBB47_237
; %bb.230:
	v_mov_b32_e32 v4, 14
	v_cmp_gt_i16_sdwa s[48:49], v6, v4 src0_sel:BYTE_0 src1_sel:DWORD
	s_mov_b64 s[44:45], -1
	s_and_b64 vcc, exec, s[48:49]
	s_cbranch_vccz .LBB47_234
; %bb.231:
	v_mov_b32_e32 v4, 15
	v_cmp_eq_u16_sdwa s[44:45], v6, v4 src0_sel:BYTE_0 src1_sel:DWORD
	s_mov_b64 s[0:1], -1
	s_and_b64 vcc, exec, s[44:45]
	s_cbranch_vccz .LBB47_233
; %bb.232:
	global_store_short v[0:1], v2, off
	s_mov_b64 s[36:37], -1
	s_mov_b64 s[0:1], 0
.LBB47_233:
	s_mov_b64 s[44:45], 0
.LBB47_234:
	s_and_b64 vcc, exec, s[44:45]
	s_cbranch_vccz .LBB47_237
; %bb.235:
	v_mov_b32_e32 v4, 11
	v_cmp_eq_u16_sdwa s[44:45], v6, v4 src0_sel:BYTE_0 src1_sel:DWORD
	s_mov_b64 s[0:1], -1
	s_and_b64 vcc, exec, s[44:45]
	s_cbranch_vccz .LBB47_237
; %bb.236:
	v_cmp_ne_u16_e32 vcc, 0, v3
	v_cndmask_b32_e64 v3, 0, 1, vcc
	s_mov_b64 s[36:37], -1
	s_mov_b64 s[0:1], 0
	global_store_byte v[0:1], v3, off
.LBB47_237:
	s_mov_b64 s[44:45], 0
.LBB47_238:
	s_and_b64 vcc, exec, s[44:45]
	s_cbranch_vccz .LBB47_277
; %bb.239:
	v_mov_b32_e32 v3, 5
	v_cmp_lt_i16_sdwa s[44:45], v6, v3 src0_sel:BYTE_0 src1_sel:DWORD
	s_mov_b64 s[36:37], -1
	s_and_b64 vcc, exec, s[44:45]
	s_cbranch_vccnz .LBB47_260
; %bb.240:
	v_mov_b32_e32 v3, 8
	v_cmp_lt_i16_sdwa s[44:45], v6, v3 src0_sel:BYTE_0 src1_sel:DWORD
	s_and_b64 vcc, exec, s[44:45]
	s_cbranch_vccnz .LBB47_250
; %bb.241:
	v_mov_b32_e32 v3, 9
	v_cmp_lt_i16_sdwa s[44:45], v6, v3 src0_sel:BYTE_0 src1_sel:DWORD
	s_and_b64 vcc, exec, s[44:45]
	s_cbranch_vccnz .LBB47_247
; %bb.242:
	v_cmp_gt_i16_sdwa s[44:45], v6, v3 src0_sel:BYTE_0 src1_sel:DWORD
	s_and_b64 vcc, exec, s[44:45]
	s_cbranch_vccz .LBB47_244
; %bb.243:
	v_lshlrev_b32_e32 v3, 16, v2
	v_mov_b32_e32 v12, 0
	v_cvt_f64_f32_e32 v[10:11], v3
	v_mov_b32_e32 v13, v12
	global_store_dwordx4 v[0:1], v[10:13], off
	s_mov_b64 s[36:37], 0
.LBB47_244:
	s_andn2_b64 vcc, exec, s[36:37]
	s_cbranch_vccnz .LBB47_246
; %bb.245:
	v_lshlrev_b32_e32 v4, 16, v2
	v_mov_b32_e32 v5, 0
	global_store_dwordx2 v[0:1], v[4:5], off
.LBB47_246:
	s_mov_b64 s[36:37], 0
.LBB47_247:
	s_andn2_b64 vcc, exec, s[36:37]
	s_cbranch_vccnz .LBB47_249
; %bb.248:
	v_lshlrev_b32_e32 v3, 16, v2
	v_cvt_f16_f32_e32 v3, v3
	global_store_dword v[0:1], v3, off
.LBB47_249:
	s_mov_b64 s[36:37], 0
.LBB47_250:
	s_andn2_b64 vcc, exec, s[36:37]
	s_cbranch_vccnz .LBB47_259
; %bb.251:
	v_mov_b32_e32 v3, 6
	v_cmp_lt_i16_sdwa s[44:45], v6, v3 src0_sel:BYTE_0 src1_sel:DWORD
	s_mov_b64 s[36:37], -1
	s_and_b64 vcc, exec, s[44:45]
	s_cbranch_vccnz .LBB47_257
; %bb.252:
	v_cmp_gt_i16_sdwa s[44:45], v6, v3 src0_sel:BYTE_0 src1_sel:DWORD
	s_and_b64 vcc, exec, s[44:45]
	s_cbranch_vccz .LBB47_254
; %bb.253:
	v_lshlrev_b32_e32 v3, 16, v2
	v_cvt_f64_f32_e32 v[4:5], v3
	global_store_dwordx2 v[0:1], v[4:5], off
	s_mov_b64 s[36:37], 0
.LBB47_254:
	s_andn2_b64 vcc, exec, s[36:37]
	s_cbranch_vccnz .LBB47_256
; %bb.255:
	v_lshlrev_b32_e32 v3, 16, v2
	global_store_dword v[0:1], v3, off
.LBB47_256:
	s_mov_b64 s[36:37], 0
.LBB47_257:
	s_andn2_b64 vcc, exec, s[36:37]
	s_cbranch_vccnz .LBB47_259
; %bb.258:
	v_lshlrev_b32_e32 v3, 16, v2
	v_cvt_f16_f32_e32 v3, v3
	global_store_short v[0:1], v3, off
.LBB47_259:
	s_mov_b64 s[36:37], 0
.LBB47_260:
	s_andn2_b64 vcc, exec, s[36:37]
	s_cbranch_vccnz .LBB47_276
; %bb.261:
	v_mov_b32_e32 v3, 2
	v_cmp_lt_i16_sdwa s[44:45], v6, v3 src0_sel:BYTE_0 src1_sel:DWORD
	s_mov_b64 s[36:37], -1
	s_and_b64 vcc, exec, s[44:45]
	s_cbranch_vccnz .LBB47_271
; %bb.262:
	v_mov_b32_e32 v3, 3
	v_cmp_lt_i16_sdwa s[44:45], v6, v3 src0_sel:BYTE_0 src1_sel:DWORD
	s_and_b64 vcc, exec, s[44:45]
	s_cbranch_vccnz .LBB47_268
; %bb.263:
	v_cmp_gt_i16_sdwa s[44:45], v6, v3 src0_sel:BYTE_0 src1_sel:DWORD
	s_and_b64 vcc, exec, s[44:45]
	s_cbranch_vccz .LBB47_265
; %bb.264:
	v_lshlrev_b32_e32 v3, 16, v2
	v_trunc_f32_e32 v3, v3
	s_mov_b32 s36, 0x2f800000
	v_mul_f32_e64 v4, |v3|, s36
	v_floor_f32_e32 v4, v4
	s_mov_b32 s36, 0xcf800000
	v_cvt_u32_f32_e32 v5, v4
	v_fma_f32 v4, v4, s36, |v3|
	v_cvt_u32_f32_e32 v4, v4
	v_ashrrev_i32_e32 v3, 31, v3
	v_xor_b32_e32 v5, v5, v3
	s_mov_b64 s[36:37], 0
	v_xor_b32_e32 v4, v4, v3
	v_sub_co_u32_e32 v4, vcc, v4, v3
	v_subb_co_u32_e32 v5, vcc, v5, v3, vcc
	global_store_dwordx2 v[0:1], v[4:5], off
.LBB47_265:
	s_andn2_b64 vcc, exec, s[36:37]
	s_cbranch_vccnz .LBB47_267
; %bb.266:
	v_lshlrev_b32_e32 v3, 16, v2
	v_cvt_i32_f32_e32 v3, v3
	global_store_dword v[0:1], v3, off
.LBB47_267:
	s_mov_b64 s[36:37], 0
.LBB47_268:
	s_andn2_b64 vcc, exec, s[36:37]
	s_cbranch_vccnz .LBB47_270
; %bb.269:
	v_lshlrev_b32_e32 v3, 16, v2
	v_cvt_i32_f32_e32 v3, v3
	global_store_short v[0:1], v3, off
.LBB47_270:
	s_mov_b64 s[36:37], 0
.LBB47_271:
	s_andn2_b64 vcc, exec, s[36:37]
	s_cbranch_vccnz .LBB47_276
; %bb.272:
	v_mov_b32_e32 v3, 0
	v_cmp_gt_i16_sdwa s[44:45], v6, v3 src0_sel:BYTE_0 src1_sel:DWORD
	s_mov_b64 s[36:37], -1
	s_and_b64 vcc, exec, s[44:45]
	s_cbranch_vccz .LBB47_274
; %bb.273:
	v_lshlrev_b32_e32 v3, 16, v2
	v_cvt_i32_f32_e32 v3, v3
	s_mov_b64 s[36:37], 0
	global_store_byte v[0:1], v3, off
.LBB47_274:
	s_andn2_b64 vcc, exec, s[36:37]
	s_cbranch_vccnz .LBB47_276
; %bb.275:
	v_lshlrev_b32_e32 v2, 16, v2
	v_trunc_f32_e32 v2, v2
	s_mov_b32 s36, 0x2f800000
	v_mul_f32_e64 v3, |v2|, s36
	v_floor_f32_e32 v3, v3
	s_mov_b32 s36, 0xcf800000
	v_fma_f32 v3, v3, s36, |v2|
	v_cvt_u32_f32_e32 v3, v3
	v_ashrrev_i32_e32 v2, 31, v2
	v_xor_b32_e32 v3, v3, v2
	v_sub_u32_e32 v2, v3, v2
	global_store_byte v[0:1], v2, off
.LBB47_276:
	s_mov_b64 s[36:37], -1
.LBB47_277:
	s_andn2_b64 vcc, exec, s[36:37]
	s_cbranch_vccnz .LBB47_279
; %bb.278:
	v_add_u32_e32 v8, 0x80, v8
	s_mov_b64 s[44:45], -1
	s_branch .LBB47_392
.LBB47_279:
	s_mov_b64 s[44:45], 0
                                        ; implicit-def: $vgpr8
	s_branch .LBB47_392
.LBB47_280:
	s_mov_b64 s[38:39], -1
                                        ; implicit-def: $vgpr4
.LBB47_281:
	s_mov_b64 s[36:37], 0
.LBB47_282:
	s_and_b64 vcc, exec, s[36:37]
	s_cbranch_vccz .LBB47_286
; %bb.283:
	s_waitcnt vmcnt(0)
	v_mov_b32_e32 v4, 29
	v_cmp_eq_u16_sdwa s[36:37], v7, v4 src0_sel:BYTE_0 src1_sel:DWORD
	s_and_b64 vcc, exec, s[36:37]
	s_cbranch_vccz .LBB47_285
; %bb.284:
	global_load_dwordx2 v[4:5], v[2:3], off
	s_movk_i32 s36, 0x7fff
	s_mov_b64 s[0:1], -1
	s_mov_b64 s[38:39], 0
	s_waitcnt vmcnt(0)
	v_ffbh_u32_e32 v10, v5
	v_min_u32_e32 v10, 32, v10
	v_lshlrev_b64 v[4:5], v10, v[4:5]
	v_min_u32_e32 v4, 1, v4
	v_or_b32_e32 v4, v5, v4
	v_cvt_f32_u32_e32 v4, v4
	v_sub_u32_e32 v5, 32, v10
	v_ldexp_f32 v4, v4, v5
	v_bfe_u32 v5, v4, 16, 1
	v_add3_u32 v4, v4, v5, s36
	v_lshrrev_b32_e32 v4, 16, v4
	s_branch .LBB47_286
.LBB47_285:
	s_mov_b64 s[38:39], -1
                                        ; implicit-def: $vgpr4
.LBB47_286:
	s_mov_b64 s[36:37], 0
.LBB47_287:
	s_and_b64 vcc, exec, s[36:37]
	s_cbranch_vccz .LBB47_305
; %bb.288:
	s_waitcnt vmcnt(0)
	v_mov_b32_e32 v4, 27
	v_cmp_lt_i16_sdwa s[0:1], v7, v4 src0_sel:BYTE_0 src1_sel:DWORD
	s_and_b64 vcc, exec, s[0:1]
	s_cbranch_vccnz .LBB47_291
; %bb.289:
	v_cmp_gt_i16_sdwa s[0:1], v7, v4 src0_sel:BYTE_0 src1_sel:DWORD
	s_and_b64 vcc, exec, s[0:1]
	s_cbranch_vccz .LBB47_292
; %bb.290:
	global_load_dword v4, v[2:3], off
	s_movk_i32 s0, 0x7fff
	s_waitcnt vmcnt(0)
	v_cvt_f32_u32_e32 v4, v4
	v_bfe_u32 v5, v4, 16, 1
	v_add3_u32 v4, v4, v5, s0
	v_lshrrev_b32_e32 v4, 16, v4
	s_mov_b64 s[0:1], 0
	s_branch .LBB47_293
.LBB47_291:
	s_mov_b64 s[0:1], -1
                                        ; implicit-def: $vgpr4
	s_branch .LBB47_296
.LBB47_292:
	s_mov_b64 s[0:1], -1
                                        ; implicit-def: $vgpr4
.LBB47_293:
	s_andn2_b64 vcc, exec, s[0:1]
	s_cbranch_vccnz .LBB47_295
; %bb.294:
	global_load_ushort v4, v[2:3], off
	s_movk_i32 s0, 0x7fff
	s_waitcnt vmcnt(0)
	v_cvt_f32_u32_e32 v4, v4
	v_bfe_u32 v5, v4, 16, 1
	v_add3_u32 v4, v4, v5, s0
	v_lshrrev_b32_e32 v4, 16, v4
.LBB47_295:
	s_mov_b64 s[0:1], 0
.LBB47_296:
	s_andn2_b64 vcc, exec, s[0:1]
	s_cbranch_vccnz .LBB47_304
; %bb.297:
	global_load_ubyte v4, v[2:3], off
	s_movk_i32 s0, 0x7f
                                        ; implicit-def: $sgpr48
	s_waitcnt vmcnt(0)
	v_cmp_lt_i16_e32 vcc, s0, v4
	s_mov_b64 s[0:1], 0
	s_and_saveexec_b64 s[36:37], vcc
	s_xor_b64 s[36:37], exec, s[36:37]
	s_cbranch_execz .LBB47_318
; %bb.298:
	s_movk_i32 s0, 0x80
	v_cmp_eq_u16_e32 vcc, s0, v4
	s_mov_b64 s[0:1], -1
                                        ; implicit-def: $sgpr48
	s_and_saveexec_b64 s[44:45], vcc
; %bb.299:
	s_mov_b32 s48, 0x7f800001
	s_xor_b64 s[0:1], exec, -1
; %bb.300:
	s_or_b64 exec, exec, s[44:45]
	s_and_b64 s[0:1], s[0:1], exec
	s_or_saveexec_b64 s[36:37], s[36:37]
	v_mov_b32_e32 v5, s48
	s_xor_b64 exec, exec, s[36:37]
	s_cbranch_execnz .LBB47_319
.LBB47_301:
	s_or_b64 exec, exec, s[36:37]
	s_and_saveexec_b64 s[36:37], s[0:1]
	s_cbranch_execz .LBB47_303
.LBB47_302:
	v_lshlrev_b32_e32 v5, 24, v4
	v_and_b32_e32 v4, 0xffff, v4
	v_and_b32_e32 v10, 7, v4
	v_ffbh_u32_e32 v12, v10
	v_min_u32_e32 v12, 32, v12
	v_subrev_u32_e32 v13, 28, v12
	v_bfe_u32 v11, v4, 3, 4
	v_lshlrev_b32_e32 v4, v13, v4
	v_sub_u32_e32 v12, 29, v12
	v_and_b32_e32 v4, 7, v4
	v_cmp_eq_u32_e32 vcc, 0, v11
	v_cndmask_b32_e32 v11, v11, v12, vcc
	v_cndmask_b32_e32 v4, v10, v4, vcc
	v_mov_b32_e32 v10, 0x3b800000
	v_lshlrev_b32_e32 v4, 20, v4
	v_and_b32_e32 v5, 0x80000000, v5
	v_lshl_add_u32 v10, v11, 23, v10
	v_or3_b32 v5, v5, v10, v4
.LBB47_303:
	s_or_b64 exec, exec, s[36:37]
	v_bfe_u32 v4, v5, 16, 1
	s_movk_i32 s0, 0x7fff
	v_add3_u32 v4, v5, v4, s0
	v_lshrrev_b32_e32 v4, 16, v4
	v_mov_b32_e32 v10, 0x7fc0
	v_cmp_o_f32_e32 vcc, v5, v5
	v_cndmask_b32_e32 v4, v10, v4, vcc
.LBB47_304:
	s_mov_b64 s[0:1], -1
.LBB47_305:
	s_mov_b64 s[36:37], 0
.LBB47_306:
	s_and_b64 vcc, exec, s[36:37]
	s_cbranch_vccz .LBB47_341
; %bb.307:
	s_waitcnt vmcnt(0)
	v_mov_b32_e32 v4, 22
	v_cmp_gt_i16_sdwa s[36:37], v7, v4 src0_sel:BYTE_0 src1_sel:DWORD
	s_and_b64 vcc, exec, s[36:37]
	s_cbranch_vccz .LBB47_317
; %bb.308:
	v_mov_b32_e32 v4, 24
	v_cmp_lt_i16_sdwa s[0:1], v7, v4 src0_sel:BYTE_0 src1_sel:DWORD
	s_and_b64 vcc, exec, s[0:1]
	s_cbranch_vccnz .LBB47_320
; %bb.309:
	v_cmp_gt_i16_sdwa s[0:1], v7, v4 src0_sel:BYTE_0 src1_sel:DWORD
	s_and_b64 vcc, exec, s[0:1]
	s_cbranch_vccz .LBB47_321
; %bb.310:
	global_load_ubyte v4, v[2:3], off
	s_movk_i32 s0, 0x7f
                                        ; implicit-def: $sgpr48
	s_waitcnt vmcnt(0)
	v_cmp_lt_i16_e32 vcc, s0, v4
	s_mov_b64 s[0:1], 0
	s_and_saveexec_b64 s[36:37], vcc
	s_xor_b64 s[36:37], exec, s[36:37]
	s_cbranch_execz .LBB47_333
; %bb.311:
	s_movk_i32 s0, 0x80
	v_cmp_eq_u16_e32 vcc, s0, v4
	s_mov_b64 s[0:1], -1
                                        ; implicit-def: $sgpr48
	s_and_saveexec_b64 s[44:45], vcc
; %bb.312:
	s_mov_b32 s48, 0x7f800001
	s_xor_b64 s[0:1], exec, -1
; %bb.313:
	s_or_b64 exec, exec, s[44:45]
	s_and_b64 s[0:1], s[0:1], exec
	s_or_saveexec_b64 s[36:37], s[36:37]
	v_mov_b32_e32 v5, s48
	s_xor_b64 exec, exec, s[36:37]
	s_cbranch_execnz .LBB47_334
.LBB47_314:
	s_or_b64 exec, exec, s[36:37]
	s_and_saveexec_b64 s[36:37], s[0:1]
	s_cbranch_execz .LBB47_316
.LBB47_315:
	v_lshlrev_b32_e32 v5, 24, v4
	v_and_b32_e32 v4, 0xffff, v4
	v_and_b32_e32 v10, 3, v4
	v_ffbh_u32_e32 v12, v10
	v_min_u32_e32 v12, 32, v12
	v_subrev_u32_e32 v13, 29, v12
	v_bfe_u32 v11, v4, 2, 5
	v_lshlrev_b32_e32 v4, v13, v4
	v_sub_u32_e32 v12, 30, v12
	v_and_b32_e32 v4, 3, v4
	v_cmp_eq_u32_e32 vcc, 0, v11
	v_cndmask_b32_e32 v11, v11, v12, vcc
	v_cndmask_b32_e32 v4, v10, v4, vcc
	v_mov_b32_e32 v10, 0x37800000
	v_lshlrev_b32_e32 v4, 21, v4
	v_and_b32_e32 v5, 0x80000000, v5
	v_lshl_add_u32 v10, v11, 23, v10
	v_or3_b32 v5, v5, v10, v4
.LBB47_316:
	s_or_b64 exec, exec, s[36:37]
	v_bfe_u32 v4, v5, 16, 1
	s_movk_i32 s0, 0x7fff
	v_add3_u32 v4, v5, v4, s0
	v_lshrrev_b32_e32 v4, 16, v4
	v_mov_b32_e32 v10, 0x7fc0
	v_cmp_o_f32_e32 vcc, v5, v5
	v_cndmask_b32_e32 v4, v10, v4, vcc
	s_mov_b64 s[0:1], 0
	s_branch .LBB47_322
.LBB47_317:
	s_mov_b64 s[36:37], -1
                                        ; implicit-def: $vgpr4
	s_branch .LBB47_328
.LBB47_318:
	s_or_saveexec_b64 s[36:37], s[36:37]
	v_mov_b32_e32 v5, s48
	s_xor_b64 exec, exec, s[36:37]
	s_cbranch_execz .LBB47_301
.LBB47_319:
	v_cmp_ne_u16_e32 vcc, 0, v4
	s_andn2_b64 s[0:1], s[0:1], exec
	s_and_b64 s[44:45], vcc, exec
	v_mov_b32_e32 v5, 0
	s_or_b64 s[0:1], s[0:1], s[44:45]
	s_or_b64 exec, exec, s[36:37]
	s_and_saveexec_b64 s[36:37], s[0:1]
	s_cbranch_execnz .LBB47_302
	s_branch .LBB47_303
.LBB47_320:
	s_mov_b64 s[0:1], -1
                                        ; implicit-def: $vgpr4
	s_branch .LBB47_325
.LBB47_321:
	s_mov_b64 s[0:1], -1
                                        ; implicit-def: $vgpr4
.LBB47_322:
	s_and_b64 vcc, exec, s[0:1]
	s_cbranch_vccz .LBB47_324
; %bb.323:
	global_load_ubyte v4, v[2:3], off
	s_mov_b32 s0, 0x7f800000
	s_brev_b32 s1, 1
	s_movk_i32 s36, 0x7fff
	v_mov_b32_e32 v5, 0x7fc0
	s_waitcnt vmcnt(0)
	v_lshlrev_b32_e32 v4, 24, v4
	v_and_b32_e32 v10, 0x7f000000, v4
	v_ffbh_u32_e32 v11, v10
	v_min_u32_e32 v11, 32, v11
	v_sub_u32_e64 v11, v11, 4 clamp
	v_lshlrev_b32_e32 v13, v11, v10
	v_lshlrev_b32_e32 v11, 23, v11
	v_lshrrev_b32_e32 v13, 4, v13
	v_add_u32_e32 v12, 0x1000000, v10
	v_sub_u32_e32 v11, v13, v11
	v_ashrrev_i32_e32 v12, 8, v12
	v_add_u32_e32 v11, 0x3c000000, v11
	v_and_or_b32 v11, v12, s0, v11
	v_cmp_ne_u32_e32 vcc, 0, v10
	v_cndmask_b32_e32 v10, 0, v11, vcc
	v_and_or_b32 v4, v4, s1, v10
	v_bfe_u32 v10, v10, 16, 1
	v_add3_u32 v10, v4, v10, s36
	v_lshrrev_b32_e32 v10, 16, v10
	v_cmp_o_f32_e32 vcc, v4, v4
	v_cndmask_b32_e32 v4, v5, v10, vcc
.LBB47_324:
	s_mov_b64 s[0:1], 0
.LBB47_325:
	s_andn2_b64 vcc, exec, s[0:1]
	s_cbranch_vccnz .LBB47_327
; %bb.326:
	global_load_ubyte v4, v[2:3], off
	s_movk_i32 s0, 0x7f00
	s_brev_b32 s1, 16
	s_brev_b32 s36, 1
	s_movk_i32 s37, 0x7fff
	v_mov_b32_e32 v5, 0x7fc0
	s_waitcnt vmcnt(0)
	v_lshlrev_b16_e32 v10, 8, v4
	v_lshlrev_b32_e32 v4, 25, v4
	v_lshrrev_b32_e32 v11, 4, v4
	v_and_or_b32 v12, v10, s0, 0.5
	v_or_b32_e32 v11, 0x70000000, v11
	v_add_f32_e32 v12, -0.5, v12
	v_mul_f32_e32 v11, 0x7800000, v11
	v_cmp_gt_u32_e32 vcc, s1, v4
	v_bfe_i32 v10, v10, 0, 16
	v_cndmask_b32_e32 v4, v11, v12, vcc
	v_and_or_b32 v10, v10, s36, v4
	v_bfe_u32 v4, v4, 16, 1
	v_add3_u32 v4, v10, v4, s37
	v_lshrrev_b32_e32 v4, 16, v4
	v_cmp_o_f32_e32 vcc, v10, v10
	v_cndmask_b32_e32 v4, v5, v4, vcc
.LBB47_327:
	s_mov_b64 s[36:37], 0
	s_mov_b64 s[0:1], -1
.LBB47_328:
	s_andn2_b64 vcc, exec, s[36:37]
	s_cbranch_vccnz .LBB47_341
; %bb.329:
	v_mov_b32_e32 v4, 14
	v_cmp_gt_i16_sdwa s[36:37], v7, v4 src0_sel:BYTE_0 src1_sel:DWORD
	s_and_b64 vcc, exec, s[36:37]
	s_cbranch_vccz .LBB47_332
; %bb.330:
	v_mov_b32_e32 v4, 15
	v_cmp_eq_u16_sdwa s[36:37], v7, v4 src0_sel:BYTE_0 src1_sel:DWORD
	s_and_b64 vcc, exec, s[36:37]
	s_cbranch_vccz .LBB47_335
; %bb.331:
	global_load_ushort v4, v[2:3], off
	s_mov_b64 s[0:1], -1
	s_mov_b64 s[38:39], 0
	s_branch .LBB47_336
.LBB47_332:
	s_mov_b64 s[36:37], -1
                                        ; implicit-def: $vgpr4
	s_branch .LBB47_337
.LBB47_333:
	s_or_saveexec_b64 s[36:37], s[36:37]
	v_mov_b32_e32 v5, s48
	s_xor_b64 exec, exec, s[36:37]
	s_cbranch_execz .LBB47_314
.LBB47_334:
	v_cmp_ne_u16_e32 vcc, 0, v4
	s_andn2_b64 s[0:1], s[0:1], exec
	s_and_b64 s[44:45], vcc, exec
	v_mov_b32_e32 v5, 0
	s_or_b64 s[0:1], s[0:1], s[44:45]
	s_or_b64 exec, exec, s[36:37]
	s_and_saveexec_b64 s[36:37], s[0:1]
	s_cbranch_execnz .LBB47_315
	s_branch .LBB47_316
.LBB47_335:
	s_mov_b64 s[38:39], -1
                                        ; implicit-def: $vgpr4
.LBB47_336:
	s_mov_b64 s[36:37], 0
.LBB47_337:
	s_and_b64 vcc, exec, s[36:37]
	s_cbranch_vccz .LBB47_341
; %bb.338:
	s_waitcnt vmcnt(0)
	v_mov_b32_e32 v4, 11
	v_cmp_eq_u16_sdwa s[36:37], v7, v4 src0_sel:BYTE_0 src1_sel:DWORD
	s_and_b64 vcc, exec, s[36:37]
	s_cbranch_vccz .LBB47_340
; %bb.339:
	global_load_ubyte v4, v[2:3], off
	s_mov_b64 s[0:1], -1
	s_mov_b64 s[38:39], 0
	s_waitcnt vmcnt(0)
	v_cmp_ne_u16_e32 vcc, 0, v4
	v_cndmask_b32_e64 v4, 0, 1.0, vcc
	v_lshrrev_b32_e32 v4, 16, v4
	s_branch .LBB47_341
.LBB47_340:
	s_mov_b64 s[38:39], -1
                                        ; implicit-def: $vgpr4
.LBB47_341:
	s_branch .LBB47_30
.LBB47_342:
	s_waitcnt vmcnt(0)
	v_mov_b32_e32 v4, 5
	v_cmp_lt_i16_sdwa s[0:1], v7, v4 src0_sel:BYTE_0 src1_sel:DWORD
	s_and_b64 vcc, exec, s[0:1]
	s_cbranch_vccnz .LBB47_347
; %bb.343:
	v_mov_b32_e32 v4, 8
	v_cmp_lt_i16_sdwa s[0:1], v7, v4 src0_sel:BYTE_0 src1_sel:DWORD
	s_and_b64 vcc, exec, s[0:1]
	s_cbranch_vccnz .LBB47_348
; %bb.344:
	;; [unrolled: 5-line block ×3, first 2 shown]
	v_cmp_gt_i16_sdwa s[0:1], v7, v4 src0_sel:BYTE_0 src1_sel:DWORD
	s_and_b64 vcc, exec, s[0:1]
	s_cbranch_vccz .LBB47_350
; %bb.346:
	global_load_dwordx2 v[4:5], v[2:3], off
	s_movk_i32 s0, 0x7fff
	v_mov_b32_e32 v10, 0x7fc0
	s_waitcnt vmcnt(0)
	v_cvt_f32_f64_e32 v4, v[4:5]
	v_bfe_u32 v5, v4, 16, 1
	v_add3_u32 v5, v4, v5, s0
	v_lshrrev_b32_e32 v5, 16, v5
	v_cmp_o_f32_e32 vcc, v4, v4
	v_cndmask_b32_e32 v4, v10, v5, vcc
	s_mov_b64 s[0:1], 0
	s_branch .LBB47_351
.LBB47_347:
	s_mov_b64 s[0:1], -1
                                        ; implicit-def: $vgpr4
	s_branch .LBB47_369
.LBB47_348:
	s_mov_b64 s[0:1], -1
                                        ; implicit-def: $vgpr4
	s_branch .LBB47_357
.LBB47_349:
	s_mov_b64 s[0:1], -1
                                        ; implicit-def: $vgpr4
	s_branch .LBB47_354
.LBB47_350:
	s_mov_b64 s[0:1], -1
                                        ; implicit-def: $vgpr4
.LBB47_351:
	s_andn2_b64 vcc, exec, s[0:1]
	s_cbranch_vccnz .LBB47_353
; %bb.352:
	global_load_dword v4, v[2:3], off
	s_movk_i32 s0, 0x7fff
	v_mov_b32_e32 v5, 0x7fc0
	s_waitcnt vmcnt(0)
	v_bfe_u32 v10, v4, 16, 1
	v_add3_u32 v10, v4, v10, s0
	v_lshrrev_b32_e32 v10, 16, v10
	v_cmp_o_f32_e32 vcc, v4, v4
	v_cndmask_b32_e32 v4, v5, v10, vcc
.LBB47_353:
	s_mov_b64 s[0:1], 0
.LBB47_354:
	s_andn2_b64 vcc, exec, s[0:1]
	s_cbranch_vccnz .LBB47_356
; %bb.355:
	global_load_dword v4, v[2:3], off
	s_movk_i32 s0, 0x7fff
	v_mov_b32_e32 v10, 0x7fc0
	s_waitcnt vmcnt(0)
	v_cvt_f32_f16_e32 v5, v4
	v_cmp_o_f16_e32 vcc, v4, v4
	v_bfe_u32 v11, v5, 16, 1
	v_add3_u32 v5, v5, v11, s0
	v_lshrrev_b32_e32 v5, 16, v5
	v_cndmask_b32_e32 v4, v10, v5, vcc
.LBB47_356:
	s_mov_b64 s[0:1], 0
.LBB47_357:
	s_andn2_b64 vcc, exec, s[0:1]
	s_cbranch_vccnz .LBB47_368
; %bb.358:
	v_mov_b32_e32 v4, 6
	v_cmp_lt_i16_sdwa s[0:1], v7, v4 src0_sel:BYTE_0 src1_sel:DWORD
	s_and_b64 vcc, exec, s[0:1]
	s_cbranch_vccnz .LBB47_361
; %bb.359:
	v_cmp_gt_i16_sdwa s[0:1], v7, v4 src0_sel:BYTE_0 src1_sel:DWORD
	s_and_b64 vcc, exec, s[0:1]
	s_cbranch_vccz .LBB47_362
; %bb.360:
	global_load_dwordx2 v[4:5], v[2:3], off
	s_movk_i32 s0, 0x7fff
	v_mov_b32_e32 v10, 0x7fc0
	s_waitcnt vmcnt(0)
	v_cvt_f32_f64_e32 v4, v[4:5]
	v_bfe_u32 v5, v4, 16, 1
	v_add3_u32 v5, v4, v5, s0
	v_lshrrev_b32_e32 v5, 16, v5
	v_cmp_o_f32_e32 vcc, v4, v4
	v_cndmask_b32_e32 v4, v10, v5, vcc
	s_mov_b64 s[0:1], 0
	s_branch .LBB47_363
.LBB47_361:
	s_mov_b64 s[0:1], -1
                                        ; implicit-def: $vgpr4
	s_branch .LBB47_366
.LBB47_362:
	s_mov_b64 s[0:1], -1
                                        ; implicit-def: $vgpr4
.LBB47_363:
	s_andn2_b64 vcc, exec, s[0:1]
	s_cbranch_vccnz .LBB47_365
; %bb.364:
	global_load_dword v4, v[2:3], off
	s_movk_i32 s0, 0x7fff
	v_mov_b32_e32 v5, 0x7fc0
	s_waitcnt vmcnt(0)
	v_bfe_u32 v10, v4, 16, 1
	v_add3_u32 v10, v4, v10, s0
	v_lshrrev_b32_e32 v10, 16, v10
	v_cmp_o_f32_e32 vcc, v4, v4
	v_cndmask_b32_e32 v4, v5, v10, vcc
.LBB47_365:
	s_mov_b64 s[0:1], 0
.LBB47_366:
	s_andn2_b64 vcc, exec, s[0:1]
	s_cbranch_vccnz .LBB47_368
; %bb.367:
	global_load_ushort v4, v[2:3], off
	s_movk_i32 s0, 0x7fff
	v_mov_b32_e32 v10, 0x7fc0
	s_waitcnt vmcnt(0)
	v_cvt_f32_f16_e32 v5, v4
	v_cmp_o_f16_e32 vcc, v4, v4
	v_bfe_u32 v11, v5, 16, 1
	v_add3_u32 v5, v5, v11, s0
	v_lshrrev_b32_e32 v5, 16, v5
	v_cndmask_b32_e32 v4, v10, v5, vcc
.LBB47_368:
	s_mov_b64 s[0:1], 0
.LBB47_369:
	s_andn2_b64 vcc, exec, s[0:1]
	s_cbranch_vccnz .LBB47_389
; %bb.370:
	v_mov_b32_e32 v4, 2
	v_cmp_lt_i16_sdwa s[0:1], v7, v4 src0_sel:BYTE_0 src1_sel:DWORD
	s_and_b64 vcc, exec, s[0:1]
	s_cbranch_vccnz .LBB47_374
; %bb.371:
	v_mov_b32_e32 v4, 3
	v_cmp_lt_i16_sdwa s[0:1], v7, v4 src0_sel:BYTE_0 src1_sel:DWORD
	s_and_b64 vcc, exec, s[0:1]
	s_cbranch_vccnz .LBB47_375
; %bb.372:
	v_cmp_gt_i16_sdwa s[0:1], v7, v4 src0_sel:BYTE_0 src1_sel:DWORD
	s_and_b64 vcc, exec, s[0:1]
	s_cbranch_vccz .LBB47_376
; %bb.373:
	global_load_dwordx2 v[4:5], v[2:3], off
	s_movk_i32 s0, 0x7fff
	s_waitcnt vmcnt(0)
	v_xor_b32_e32 v11, v4, v5
	v_ffbh_i32_e32 v10, v5
	v_ashrrev_i32_e32 v11, 31, v11
	v_add_u32_e32 v10, -1, v10
	v_add_u32_e32 v11, 32, v11
	v_min_u32_e32 v10, v10, v11
	v_lshlrev_b64 v[4:5], v10, v[4:5]
	v_min_u32_e32 v4, 1, v4
	v_or_b32_e32 v4, v5, v4
	v_cvt_f32_i32_e32 v4, v4
	v_sub_u32_e32 v5, 32, v10
	v_ldexp_f32 v4, v4, v5
	v_bfe_u32 v5, v4, 16, 1
	v_add3_u32 v4, v4, v5, s0
	v_lshrrev_b32_e32 v4, 16, v4
	s_mov_b64 s[0:1], 0
	s_branch .LBB47_377
.LBB47_374:
	s_mov_b64 s[0:1], -1
                                        ; implicit-def: $vgpr4
	s_branch .LBB47_383
.LBB47_375:
	s_mov_b64 s[0:1], -1
                                        ; implicit-def: $vgpr4
	s_branch .LBB47_380
.LBB47_376:
	s_mov_b64 s[0:1], -1
                                        ; implicit-def: $vgpr4
.LBB47_377:
	s_andn2_b64 vcc, exec, s[0:1]
	s_cbranch_vccnz .LBB47_379
; %bb.378:
	global_load_dword v4, v[2:3], off
	s_movk_i32 s0, 0x7fff
	s_waitcnt vmcnt(0)
	v_cvt_f32_i32_e32 v4, v4
	v_bfe_u32 v5, v4, 16, 1
	v_add3_u32 v4, v4, v5, s0
	v_lshrrev_b32_e32 v4, 16, v4
.LBB47_379:
	s_mov_b64 s[0:1], 0
.LBB47_380:
	s_andn2_b64 vcc, exec, s[0:1]
	s_cbranch_vccnz .LBB47_382
; %bb.381:
	global_load_sshort v4, v[2:3], off
	s_movk_i32 s0, 0x7fff
	s_waitcnt vmcnt(0)
	v_cvt_f32_i32_e32 v4, v4
	v_bfe_u32 v5, v4, 16, 1
	v_add3_u32 v4, v4, v5, s0
	v_lshrrev_b32_e32 v4, 16, v4
.LBB47_382:
	s_mov_b64 s[0:1], 0
.LBB47_383:
	s_andn2_b64 vcc, exec, s[0:1]
	s_cbranch_vccnz .LBB47_389
; %bb.384:
	v_mov_b32_e32 v4, 0
	v_cmp_gt_i16_sdwa s[0:1], v7, v4 src0_sel:BYTE_0 src1_sel:DWORD
	s_and_b64 vcc, exec, s[0:1]
	s_cbranch_vccz .LBB47_386
; %bb.385:
	global_load_sbyte v4, v[2:3], off
	s_movk_i32 s0, 0x7fff
	s_waitcnt vmcnt(0)
	v_cvt_f32_i32_e32 v4, v4
	v_bfe_u32 v5, v4, 16, 1
	v_add3_u32 v4, v4, v5, s0
	v_lshrrev_b32_e32 v4, 16, v4
	s_mov_b64 s[0:1], 0
	s_branch .LBB47_387
.LBB47_386:
	s_mov_b64 s[0:1], -1
                                        ; implicit-def: $vgpr4
.LBB47_387:
	s_andn2_b64 vcc, exec, s[0:1]
	s_cbranch_vccnz .LBB47_389
; %bb.388:
	global_load_ubyte v2, v[2:3], off
	s_movk_i32 s0, 0x7fff
	s_waitcnt vmcnt(0)
	v_cvt_f32_ubyte0_e32 v2, v2
	v_bfe_u32 v3, v2, 16, 1
	v_add3_u32 v2, v2, v3, s0
	v_lshrrev_b32_e32 v4, 16, v2
.LBB47_389:
	s_branch .LBB47_31
.LBB47_390:
	s_mov_b64 s[0:1], 0
.LBB47_391:
                                        ; implicit-def: $vgpr8
	s_mov_b64 s[44:45], 0
.LBB47_392:
	s_and_b64 s[36:37], s[0:1], exec
	s_and_b64 s[38:39], s[38:39], exec
	;; [unrolled: 1-line block ×3, first 2 shown]
	s_orn2_b64 s[0:1], s[44:45], exec
.LBB47_393:
	s_or_b64 exec, exec, s[42:43]
	s_mov_b64 s[50:51], 0
	s_mov_b64 s[48:49], 0
                                        ; implicit-def: $vgpr3
                                        ; implicit-def: $vgpr4_vgpr5
                                        ; implicit-def: $vgpr2
                                        ; implicit-def: $vgpr0
                                        ; implicit-def: $vgpr1
	s_and_saveexec_b64 s[42:43], s[0:1]
	s_cbranch_execz .LBB47_402
; %bb.394:
	v_cmp_gt_i32_e32 vcc, s66, v8
	s_mov_b64 s[0:1], -1
	s_mov_b64 s[44:45], s[40:41]
	s_mov_b64 s[46:47], s[38:39]
	;; [unrolled: 1-line block ×3, first 2 shown]
	s_and_saveexec_b64 s[50:51], vcc
	s_cbranch_execz .LBB47_793
; %bb.395:
	s_andn2_b64 vcc, exec, s[20:21]
	s_cbranch_vccnz .LBB47_405
; %bb.396:
	s_andn2_b64 vcc, exec, s[34:35]
	v_mov_b32_e32 v2, 0
	s_waitcnt vmcnt(0)
	v_mov_b32_e32 v4, 0
	v_mov_b32_e32 v0, 0
	s_cbranch_vccnz .LBB47_401
; %bb.397:
	s_add_i32 s0, s69, 1
	s_and_b32 s44, s0, 30
	s_add_u32 s0, s2, 0xffffffec
	s_addc_u32 s1, s3, -1
	v_mov_b32_e32 v0, 0
	v_mov_b32_e32 v1, v8
	;; [unrolled: 1-line block ×4, first 2 shown]
.LBB47_398:                             ; =>This Inner Loop Header: Depth=1
	s_mov_b64 s[46:47], s[0:1]
	s_load_dwordx4 s[52:55], s[46:47], 0x18
	s_load_dwordx2 s[48:49], s[46:47], 0x28
	s_load_dwordx2 s[60:61], s[46:47], 0xe8
	s_load_dwordx4 s[56:59], s[46:47], 0xd8
	s_add_u32 s0, s46, 24
	s_waitcnt lgkmcnt(0)
	v_mul_hi_u32 v3, s53, v1
	v_add_u32_e32 v3, v1, v3
	v_lshrrev_b32_e32 v3, s54, v3
	v_mul_lo_u32 v5, v3, s52
	v_mul_hi_u32 v10, s48, v3
	v_sub_u32_e32 v1, v1, v5
	v_add_u32_e32 v5, v3, v10
	v_mul_lo_u32 v10, v1, s56
	v_mul_lo_u32 v11, v1, s57
	;; [unrolled: 1-line block ×3, first 2 shown]
	v_lshrrev_b32_e32 v1, s49, v5
	v_mul_lo_u32 v5, v1, s55
	v_sub_u32_e32 v3, v3, v5
	s_addc_u32 s1, s47, 0
	s_add_i32 s44, s44, -2
	v_mul_lo_u32 v5, v3, s59
	v_mul_lo_u32 v13, v3, s60
	;; [unrolled: 1-line block ×3, first 2 shown]
	s_cmp_eq_u32 s44, 0
	v_add3_u32 v0, v10, v0, v5
	v_add3_u32 v2, v12, v2, v3
	;; [unrolled: 1-line block ×3, first 2 shown]
	s_cbranch_scc0 .LBB47_398
; %bb.399:
	s_bitcmp1_b32 s69, 0
	s_cselect_b64 s[44:45], -1, 0
	s_and_b64 vcc, exec, s[44:45]
	s_cbranch_vccnz .LBB47_401
; %bb.400:
	s_load_dwordx2 s[44:45], s[0:1], 0x18
	s_load_dword s46, s[0:1], 0x20
	s_load_dword s47, s[0:1], 0xe0
	s_nop 0
	s_load_dwordx2 s[0:1], s[0:1], 0xd8
	s_waitcnt lgkmcnt(0)
	v_mul_hi_u32 v3, s45, v1
	v_add_u32_e32 v3, v1, v3
	v_lshrrev_b32_e32 v3, s46, v3
	v_mul_lo_u32 v3, v3, s44
	v_sub_u32_e32 v3, v1, v3
	v_mad_u64_u32 v[0:1], s[44:45], v3, s0, v[0:1]
	v_mad_u64_u32 v[4:5], s[0:1], v3, s1, v[4:5]
	;; [unrolled: 1-line block ×3, first 2 shown]
.LBB47_401:
	s_cbranch_execz .LBB47_406
	s_branch .LBB47_408
.LBB47_402:
	s_or_b64 exec, exec, s[42:43]
	s_waitcnt lgkmcnt(0)
	s_mov_b64 s[10:11], 0
	s_and_saveexec_b64 s[0:1], s[40:41]
	s_cbranch_execnz .LBB47_1289
.LBB47_403:
	s_or_b64 exec, exec, s[0:1]
	s_and_saveexec_b64 s[0:1], s[46:47]
	s_xor_b64 s[0:1], exec, s[0:1]
	s_cbranch_execz .LBB47_1290
.LBB47_404:
	s_waitcnt vmcnt(0)
	global_load_ubyte v1, v[4:5], off
	s_or_b64 s[48:49], s[48:49], exec
	s_waitcnt vmcnt(0)
	v_cmp_ne_u16_e32 vcc, 0, v1
	v_cndmask_b32_e64 v1, 0, 1.0, vcc
	v_lshrrev_b32_e32 v1, 16, v1
	s_or_b64 exec, exec, s[0:1]
	s_and_saveexec_b64 s[0:1], s[50:51]
	s_cbranch_execz .LBB47_1336
	s_branch .LBB47_1291
.LBB47_405:
                                        ; implicit-def: $vgpr2
                                        ; implicit-def: $vgpr4
                                        ; implicit-def: $vgpr0
	s_andn2_b64 vcc, exec, s[0:1]
	s_cbranch_vccnz .LBB47_408
.LBB47_406:
	s_waitcnt lgkmcnt(0)
	v_mul_hi_u32 v0, s17, v8
	v_add_u32_e32 v0, v8, v0
	s_waitcnt vmcnt(0)
	v_lshrrev_b32_e32 v1, s18, v0
	v_mul_lo_u32 v0, v1, s16
	v_sub_u32_e32 v3, v8, v0
	v_mul_lo_u32 v0, v3, s12
	v_mul_lo_u32 v2, v3, s14
	s_andn2_b64 vcc, exec, s[30:31]
	v_mul_lo_u32 v4, v3, s13
	s_cbranch_vccnz .LBB47_408
; %bb.407:
	v_mul_hi_u32 v3, s28, v1
	v_add_u32_e32 v3, v1, v3
	v_lshrrev_b32_e32 v3, s29, v3
	v_mul_lo_u32 v3, v3, s19
	v_sub_u32_e32 v3, v1, v3
	v_mad_u64_u32 v[0:1], s[0:1], v3, s15, v[0:1]
	v_mad_u64_u32 v[4:5], s[0:1], v3, s26, v[4:5]
	;; [unrolled: 1-line block ×3, first 2 shown]
.LBB47_408:
	s_waitcnt vmcnt(0) lgkmcnt(0)
	v_mov_b32_e32 v1, s11
	v_add_co_u32_e32 v4, vcc, s10, v4
	v_addc_co_u32_e32 v5, vcc, 0, v1, vcc
	v_mov_b32_e32 v1, 11
	v_cmp_lt_i16_sdwa s[0:1], v9, v1 src0_sel:BYTE_0 src1_sel:DWORD
	s_and_b64 vcc, exec, s[0:1]
	s_cbranch_vccnz .LBB47_415
; %bb.409:
	v_mov_b32_e32 v1, 25
	v_cmp_gt_i16_sdwa s[0:1], v9, v1 src0_sel:BYTE_0 src1_sel:DWORD
	s_and_b64 vcc, exec, s[0:1]
	s_cbranch_vccz .LBB47_424
; %bb.410:
	v_mov_b32_e32 v1, 28
	v_cmp_gt_i16_sdwa s[0:1], v9, v1 src0_sel:BYTE_0 src1_sel:DWORD
	s_and_b64 vcc, exec, s[0:1]
	s_cbranch_vccz .LBB47_426
	;; [unrolled: 5-line block ×4, first 2 shown]
; %bb.413:
	v_mov_b32_e32 v1, 46
	v_cmp_eq_u16_sdwa s[0:1], v9, v1 src0_sel:BYTE_0 src1_sel:DWORD
	s_mov_b64 s[46:47], 0
	s_and_b64 vcc, exec, s[0:1]
	s_cbranch_vccz .LBB47_434
; %bb.414:
	global_load_dword v1, v[4:5], off
	s_mov_b64 s[0:1], -1
	s_mov_b64 s[44:45], 0
	s_branch .LBB47_435
.LBB47_415:
	s_mov_b64 s[0:1], 0
                                        ; implicit-def: $vgpr1
	s_mov_b64 s[44:45], s[40:41]
	s_cbranch_execnz .LBB47_501
.LBB47_416:
	s_andn2_b64 vcc, exec, s[0:1]
	s_cbranch_vccnz .LBB47_549
.LBB47_417:
	v_mov_b32_e32 v3, s25
	v_add_co_u32_e32 v2, vcc, s24, v2
	v_mov_b32_e32 v4, 11
	v_addc_co_u32_e32 v3, vcc, 0, v3, vcc
	v_cmp_lt_i16_sdwa s[0:1], v7, v4 src0_sel:BYTE_0 src1_sel:DWORD
	s_and_b64 vcc, exec, s[0:1]
	s_cbranch_vccnz .LBB47_425
; %bb.418:
	v_mov_b32_e32 v4, 25
	v_cmp_gt_i16_sdwa s[0:1], v7, v4 src0_sel:BYTE_0 src1_sel:DWORD
	s_and_b64 vcc, exec, s[0:1]
	s_cbranch_vccz .LBB47_427
; %bb.419:
	v_mov_b32_e32 v4, 28
	v_cmp_gt_i16_sdwa s[0:1], v7, v4 src0_sel:BYTE_0 src1_sel:DWORD
	s_and_b64 vcc, exec, s[0:1]
	s_cbranch_vccz .LBB47_429
	;; [unrolled: 5-line block ×4, first 2 shown]
; %bb.422:
	v_mov_b32_e32 v4, 46
	v_cmp_eq_u16_sdwa s[0:1], v7, v4 src0_sel:BYTE_0 src1_sel:DWORD
	s_mov_b64 s[48:49], 0
	s_and_b64 vcc, exec, s[0:1]
	s_cbranch_vccz .LBB47_553
; %bb.423:
	global_load_dword v4, v[2:3], off
	s_mov_b64 s[0:1], -1
	s_mov_b64 s[46:47], 0
	s_branch .LBB47_554
.LBB47_424:
	s_mov_b64 s[46:47], -1
	s_mov_b64 s[0:1], 0
	s_mov_b64 s[44:45], s[40:41]
                                        ; implicit-def: $vgpr1
	s_branch .LBB47_465
.LBB47_425:
	s_mov_b64 s[48:49], -1
	s_mov_b64 s[0:1], 0
                                        ; implicit-def: $vgpr4
	s_mov_b64 s[46:47], s[38:39]
	s_branch .LBB47_619
.LBB47_426:
	s_mov_b64 s[46:47], -1
	s_mov_b64 s[0:1], 0
	s_mov_b64 s[44:45], s[40:41]
                                        ; implicit-def: $vgpr1
	s_branch .LBB47_446
.LBB47_427:
	s_mov_b64 s[48:49], -1
	s_mov_b64 s[0:1], 0
	s_mov_b64 s[46:47], s[38:39]
                                        ; implicit-def: $vgpr4
	s_branch .LBB47_583
.LBB47_428:
	s_mov_b64 s[46:47], -1
	s_mov_b64 s[0:1], 0
	s_mov_b64 s[44:45], s[40:41]
                                        ; implicit-def: $vgpr1
	s_branch .LBB47_441
.LBB47_429:
	s_mov_b64 s[48:49], -1
	s_mov_b64 s[0:1], 0
	s_mov_b64 s[46:47], s[38:39]
                                        ; implicit-def: $vgpr4
	s_branch .LBB47_564
.LBB47_430:
	s_mov_b64 s[46:47], -1
	s_mov_b64 s[0:1], 0
	s_mov_b64 s[44:45], s[40:41]
                                        ; implicit-def: $vgpr1
	s_branch .LBB47_435
.LBB47_431:
	s_mov_b64 s[48:49], -1
	s_mov_b64 s[0:1], 0
	s_mov_b64 s[46:47], s[38:39]
                                        ; implicit-def: $vgpr4
	s_branch .LBB47_559
.LBB47_432:
	s_or_saveexec_b64 s[48:49], s[48:49]
                                        ; implicit-def: $sgpr50
	s_xor_b64 exec, exec, s[48:49]
	s_cbranch_execz .LBB47_190
.LBB47_433:
	s_mov_b32 s50, 0x46000000
	v_add_f32_e64 v5, |v10|, s50
	v_and_b32_e32 v5, 0xff, v5
	v_cmp_ne_u32_e32 vcc, 0, v5
	s_andn2_b64 s[44:45], s[44:45], exec
	s_and_b64 s[52:53], vcc, exec
	s_mov_b32 s50, 0
	s_or_b64 s[44:45], s[44:45], s[52:53]
	s_or_b64 exec, exec, s[48:49]
	v_mov_b32_e32 v11, s50
	s_and_saveexec_b64 s[48:49], s[44:45]
	s_cbranch_execnz .LBB47_191
	s_branch .LBB47_192
.LBB47_434:
	s_mov_b64 s[44:45], -1
                                        ; implicit-def: $vgpr1
	s_mov_b64 s[0:1], 0
.LBB47_435:
	s_and_b64 vcc, exec, s[46:47]
	s_cbranch_vccz .LBB47_440
; %bb.436:
	s_waitcnt vmcnt(0)
	v_mov_b32_e32 v1, 44
	v_cmp_eq_u16_sdwa s[44:45], v9, v1 src0_sel:BYTE_0 src1_sel:DWORD
	s_and_b64 vcc, exec, s[44:45]
	s_cbranch_vccz .LBB47_439
; %bb.437:
	global_load_ubyte v1, v[4:5], off
	s_movk_i32 s44, 0xff
	v_mov_b32_e32 v3, 0x7f800001
	v_mov_b32_e32 v10, 0x400000
	;; [unrolled: 1-line block ×3, first 2 shown]
	s_mov_b64 s[0:1], -1
	s_waitcnt vmcnt(0)
	v_lshlrev_b32_e32 v12, 23, v1
	v_cmp_ne_u32_e32 vcc, s44, v1
	v_cndmask_b32_e32 v3, v3, v12, vcc
	v_cmp_ne_u32_e32 vcc, 0, v1
	v_cndmask_b32_e32 v1, v10, v3, vcc
	v_add_u32_e32 v3, 0x7fff, v1
	v_lshrrev_b32_e32 v3, 16, v3
	v_cmp_o_f32_e32 vcc, v1, v1
	v_cndmask_b32_e32 v1, v11, v3, vcc
	s_mov_b64 s[44:45], 0
	s_branch .LBB47_440
.LBB47_438:
	s_mov_b64 s[48:49], -1
	s_mov_b64 s[0:1], 0
	s_mov_b64 s[46:47], s[38:39]
                                        ; implicit-def: $vgpr4
	s_branch .LBB47_554
.LBB47_439:
	s_mov_b64 s[44:45], -1
                                        ; implicit-def: $vgpr1
.LBB47_440:
	s_mov_b64 s[46:47], 0
.LBB47_441:
	s_and_b64 vcc, exec, s[46:47]
	s_cbranch_vccz .LBB47_445
; %bb.442:
	s_waitcnt vmcnt(0)
	v_mov_b32_e32 v1, 29
	v_cmp_eq_u16_sdwa s[44:45], v9, v1 src0_sel:BYTE_0 src1_sel:DWORD
	s_and_b64 vcc, exec, s[44:45]
	s_cbranch_vccz .LBB47_444
; %bb.443:
	global_load_dwordx2 v[10:11], v[4:5], off
	s_movk_i32 s44, 0x7fff
	s_mov_b64 s[0:1], -1
	s_mov_b64 s[46:47], 0
	s_waitcnt vmcnt(0)
	v_ffbh_u32_e32 v1, v11
	v_min_u32_e32 v1, 32, v1
	v_lshlrev_b64 v[10:11], v1, v[10:11]
	v_min_u32_e32 v3, 1, v10
	v_or_b32_e32 v3, v11, v3
	v_cvt_f32_u32_e32 v3, v3
	v_sub_u32_e32 v1, 32, v1
	v_ldexp_f32 v1, v3, v1
	v_bfe_u32 v3, v1, 16, 1
	v_add3_u32 v1, v1, v3, s44
	v_lshrrev_b32_e32 v1, 16, v1
	s_mov_b64 s[44:45], 0
	s_branch .LBB47_446
.LBB47_444:
	s_mov_b64 s[44:45], -1
                                        ; implicit-def: $vgpr1
.LBB47_445:
	s_mov_b64 s[46:47], 0
.LBB47_446:
	s_and_b64 vcc, exec, s[46:47]
	s_cbranch_vccz .LBB47_464
; %bb.447:
	s_waitcnt vmcnt(0)
	v_mov_b32_e32 v1, 27
	v_cmp_lt_i16_sdwa s[0:1], v9, v1 src0_sel:BYTE_0 src1_sel:DWORD
	s_and_b64 vcc, exec, s[0:1]
	s_cbranch_vccnz .LBB47_450
; %bb.448:
	v_cmp_gt_i16_sdwa s[0:1], v9, v1 src0_sel:BYTE_0 src1_sel:DWORD
	s_and_b64 vcc, exec, s[0:1]
	s_cbranch_vccz .LBB47_451
; %bb.449:
	global_load_dword v1, v[4:5], off
	s_movk_i32 s0, 0x7fff
	s_waitcnt vmcnt(0)
	v_cvt_f32_u32_e32 v1, v1
	v_bfe_u32 v3, v1, 16, 1
	v_add3_u32 v1, v1, v3, s0
	v_lshrrev_b32_e32 v1, 16, v1
	s_mov_b64 s[0:1], 0
	s_branch .LBB47_452
.LBB47_450:
	s_mov_b64 s[0:1], -1
                                        ; implicit-def: $vgpr1
	s_branch .LBB47_455
.LBB47_451:
	s_mov_b64 s[0:1], -1
                                        ; implicit-def: $vgpr1
.LBB47_452:
	s_andn2_b64 vcc, exec, s[0:1]
	s_cbranch_vccnz .LBB47_454
; %bb.453:
	global_load_ushort v1, v[4:5], off
	s_movk_i32 s0, 0x7fff
	s_waitcnt vmcnt(0)
	v_cvt_f32_u32_e32 v1, v1
	v_bfe_u32 v3, v1, 16, 1
	v_add3_u32 v1, v1, v3, s0
	v_lshrrev_b32_e32 v1, 16, v1
.LBB47_454:
	s_mov_b64 s[0:1], 0
.LBB47_455:
	s_andn2_b64 vcc, exec, s[0:1]
	s_cbranch_vccnz .LBB47_463
; %bb.456:
	global_load_ubyte v1, v[4:5], off
	s_movk_i32 s0, 0x7f
                                        ; implicit-def: $sgpr52
	s_waitcnt vmcnt(0)
	v_cmp_lt_i16_e32 vcc, s0, v1
	s_mov_b64 s[0:1], 0
	s_and_saveexec_b64 s[46:47], vcc
	s_xor_b64 s[46:47], exec, s[46:47]
	s_cbranch_execz .LBB47_477
; %bb.457:
	s_movk_i32 s0, 0x80
	v_cmp_eq_u16_e32 vcc, s0, v1
	s_mov_b64 s[0:1], -1
                                        ; implicit-def: $sgpr52
	s_and_saveexec_b64 s[48:49], vcc
; %bb.458:
	s_mov_b32 s52, 0x7f800001
	s_xor_b64 s[0:1], exec, -1
; %bb.459:
	s_or_b64 exec, exec, s[48:49]
	s_and_b64 s[0:1], s[0:1], exec
	s_or_saveexec_b64 s[46:47], s[46:47]
	v_mov_b32_e32 v3, s52
	s_xor_b64 exec, exec, s[46:47]
	s_cbranch_execnz .LBB47_478
.LBB47_460:
	s_or_b64 exec, exec, s[46:47]
	s_and_saveexec_b64 s[46:47], s[0:1]
	s_cbranch_execz .LBB47_462
.LBB47_461:
	v_lshlrev_b32_e32 v3, 24, v1
	v_and_b32_e32 v1, 0xffff, v1
	v_and_b32_e32 v10, 7, v1
	v_ffbh_u32_e32 v12, v10
	v_min_u32_e32 v12, 32, v12
	v_subrev_u32_e32 v13, 28, v12
	v_bfe_u32 v11, v1, 3, 4
	v_lshlrev_b32_e32 v1, v13, v1
	v_sub_u32_e32 v12, 29, v12
	v_and_b32_e32 v1, 7, v1
	v_cmp_eq_u32_e32 vcc, 0, v11
	v_cndmask_b32_e32 v11, v11, v12, vcc
	v_cndmask_b32_e32 v1, v10, v1, vcc
	v_mov_b32_e32 v10, 0x3b800000
	v_lshlrev_b32_e32 v1, 20, v1
	v_and_b32_e32 v3, 0x80000000, v3
	v_lshl_add_u32 v10, v11, 23, v10
	v_or3_b32 v3, v3, v10, v1
.LBB47_462:
	s_or_b64 exec, exec, s[46:47]
	v_bfe_u32 v1, v3, 16, 1
	s_movk_i32 s0, 0x7fff
	v_add3_u32 v1, v3, v1, s0
	v_lshrrev_b32_e32 v1, 16, v1
	v_mov_b32_e32 v10, 0x7fc0
	v_cmp_o_f32_e32 vcc, v3, v3
	v_cndmask_b32_e32 v1, v10, v1, vcc
.LBB47_463:
	s_mov_b64 s[0:1], -1
.LBB47_464:
	s_mov_b64 s[46:47], 0
.LBB47_465:
	s_and_b64 vcc, exec, s[46:47]
	s_cbranch_vccz .LBB47_500
; %bb.466:
	s_waitcnt vmcnt(0)
	v_mov_b32_e32 v1, 22
	v_cmp_gt_i16_sdwa s[46:47], v9, v1 src0_sel:BYTE_0 src1_sel:DWORD
	s_and_b64 vcc, exec, s[46:47]
	s_cbranch_vccz .LBB47_476
; %bb.467:
	v_mov_b32_e32 v1, 24
	v_cmp_lt_i16_sdwa s[0:1], v9, v1 src0_sel:BYTE_0 src1_sel:DWORD
	s_and_b64 vcc, exec, s[0:1]
	s_cbranch_vccnz .LBB47_479
; %bb.468:
	v_cmp_gt_i16_sdwa s[0:1], v9, v1 src0_sel:BYTE_0 src1_sel:DWORD
	s_and_b64 vcc, exec, s[0:1]
	s_cbranch_vccz .LBB47_480
; %bb.469:
	global_load_ubyte v1, v[4:5], off
	s_movk_i32 s0, 0x7f
                                        ; implicit-def: $sgpr52
	s_waitcnt vmcnt(0)
	v_cmp_lt_i16_e32 vcc, s0, v1
	s_mov_b64 s[0:1], 0
	s_and_saveexec_b64 s[46:47], vcc
	s_xor_b64 s[46:47], exec, s[46:47]
	s_cbranch_execz .LBB47_492
; %bb.470:
	s_movk_i32 s0, 0x80
	v_cmp_eq_u16_e32 vcc, s0, v1
	s_mov_b64 s[0:1], -1
                                        ; implicit-def: $sgpr52
	s_and_saveexec_b64 s[48:49], vcc
; %bb.471:
	s_mov_b32 s52, 0x7f800001
	s_xor_b64 s[0:1], exec, -1
; %bb.472:
	s_or_b64 exec, exec, s[48:49]
	s_and_b64 s[0:1], s[0:1], exec
	s_or_saveexec_b64 s[46:47], s[46:47]
	v_mov_b32_e32 v3, s52
	s_xor_b64 exec, exec, s[46:47]
	s_cbranch_execnz .LBB47_493
.LBB47_473:
	s_or_b64 exec, exec, s[46:47]
	s_and_saveexec_b64 s[46:47], s[0:1]
	s_cbranch_execz .LBB47_475
.LBB47_474:
	v_lshlrev_b32_e32 v3, 24, v1
	v_and_b32_e32 v1, 0xffff, v1
	v_and_b32_e32 v10, 3, v1
	v_ffbh_u32_e32 v12, v10
	v_min_u32_e32 v12, 32, v12
	v_subrev_u32_e32 v13, 29, v12
	v_bfe_u32 v11, v1, 2, 5
	v_lshlrev_b32_e32 v1, v13, v1
	v_sub_u32_e32 v12, 30, v12
	v_and_b32_e32 v1, 3, v1
	v_cmp_eq_u32_e32 vcc, 0, v11
	v_cndmask_b32_e32 v11, v11, v12, vcc
	v_cndmask_b32_e32 v1, v10, v1, vcc
	v_mov_b32_e32 v10, 0x37800000
	v_lshlrev_b32_e32 v1, 21, v1
	v_and_b32_e32 v3, 0x80000000, v3
	v_lshl_add_u32 v10, v11, 23, v10
	v_or3_b32 v3, v3, v10, v1
.LBB47_475:
	s_or_b64 exec, exec, s[46:47]
	v_bfe_u32 v1, v3, 16, 1
	s_movk_i32 s0, 0x7fff
	v_add3_u32 v1, v3, v1, s0
	v_lshrrev_b32_e32 v1, 16, v1
	v_mov_b32_e32 v10, 0x7fc0
	v_cmp_o_f32_e32 vcc, v3, v3
	v_cndmask_b32_e32 v1, v10, v1, vcc
	s_mov_b64 s[0:1], 0
	s_branch .LBB47_481
.LBB47_476:
	s_mov_b64 s[46:47], -1
                                        ; implicit-def: $vgpr1
	s_branch .LBB47_487
.LBB47_477:
	s_or_saveexec_b64 s[46:47], s[46:47]
	v_mov_b32_e32 v3, s52
	s_xor_b64 exec, exec, s[46:47]
	s_cbranch_execz .LBB47_460
.LBB47_478:
	v_cmp_ne_u16_e32 vcc, 0, v1
	s_andn2_b64 s[0:1], s[0:1], exec
	s_and_b64 s[48:49], vcc, exec
	v_mov_b32_e32 v3, 0
	s_or_b64 s[0:1], s[0:1], s[48:49]
	s_or_b64 exec, exec, s[46:47]
	s_and_saveexec_b64 s[46:47], s[0:1]
	s_cbranch_execnz .LBB47_461
	s_branch .LBB47_462
.LBB47_479:
	s_mov_b64 s[0:1], -1
                                        ; implicit-def: $vgpr1
	s_branch .LBB47_484
.LBB47_480:
	s_mov_b64 s[0:1], -1
                                        ; implicit-def: $vgpr1
.LBB47_481:
	s_and_b64 vcc, exec, s[0:1]
	s_cbranch_vccz .LBB47_483
; %bb.482:
	global_load_ubyte v1, v[4:5], off
	s_mov_b32 s0, 0x7f800000
	s_brev_b32 s1, 1
	s_movk_i32 s46, 0x7fff
	v_mov_b32_e32 v3, 0x7fc0
	s_waitcnt vmcnt(0)
	v_lshlrev_b32_e32 v1, 24, v1
	v_and_b32_e32 v10, 0x7f000000, v1
	v_ffbh_u32_e32 v11, v10
	v_min_u32_e32 v11, 32, v11
	v_sub_u32_e64 v11, v11, 4 clamp
	v_lshlrev_b32_e32 v13, v11, v10
	v_lshlrev_b32_e32 v11, 23, v11
	v_lshrrev_b32_e32 v13, 4, v13
	v_add_u32_e32 v12, 0x1000000, v10
	v_sub_u32_e32 v11, v13, v11
	v_ashrrev_i32_e32 v12, 8, v12
	v_add_u32_e32 v11, 0x3c000000, v11
	v_and_or_b32 v11, v12, s0, v11
	v_cmp_ne_u32_e32 vcc, 0, v10
	v_cndmask_b32_e32 v10, 0, v11, vcc
	v_and_or_b32 v1, v1, s1, v10
	v_bfe_u32 v10, v10, 16, 1
	v_add3_u32 v10, v1, v10, s46
	v_lshrrev_b32_e32 v10, 16, v10
	v_cmp_o_f32_e32 vcc, v1, v1
	v_cndmask_b32_e32 v1, v3, v10, vcc
.LBB47_483:
	s_mov_b64 s[0:1], 0
.LBB47_484:
	s_andn2_b64 vcc, exec, s[0:1]
	s_cbranch_vccnz .LBB47_486
; %bb.485:
	global_load_ubyte v1, v[4:5], off
	s_movk_i32 s0, 0x7f00
	s_brev_b32 s1, 16
	s_brev_b32 s46, 1
	s_movk_i32 s47, 0x7fff
	v_mov_b32_e32 v3, 0x7fc0
	s_waitcnt vmcnt(0)
	v_lshlrev_b16_e32 v10, 8, v1
	v_lshlrev_b32_e32 v1, 25, v1
	v_lshrrev_b32_e32 v11, 4, v1
	v_and_or_b32 v12, v10, s0, 0.5
	v_or_b32_e32 v11, 0x70000000, v11
	v_add_f32_e32 v12, -0.5, v12
	v_mul_f32_e32 v11, 0x7800000, v11
	v_cmp_gt_u32_e32 vcc, s1, v1
	v_bfe_i32 v10, v10, 0, 16
	v_cndmask_b32_e32 v1, v11, v12, vcc
	v_and_or_b32 v10, v10, s46, v1
	v_bfe_u32 v1, v1, 16, 1
	v_add3_u32 v1, v10, v1, s47
	v_lshrrev_b32_e32 v1, 16, v1
	v_cmp_o_f32_e32 vcc, v10, v10
	v_cndmask_b32_e32 v1, v3, v1, vcc
.LBB47_486:
	s_mov_b64 s[46:47], 0
	s_mov_b64 s[0:1], -1
.LBB47_487:
	s_andn2_b64 vcc, exec, s[46:47]
	s_cbranch_vccnz .LBB47_500
; %bb.488:
	v_mov_b32_e32 v1, 14
	v_cmp_gt_i16_sdwa s[46:47], v9, v1 src0_sel:BYTE_0 src1_sel:DWORD
	s_and_b64 vcc, exec, s[46:47]
	s_cbranch_vccz .LBB47_491
; %bb.489:
	v_mov_b32_e32 v1, 15
	v_cmp_eq_u16_sdwa s[44:45], v9, v1 src0_sel:BYTE_0 src1_sel:DWORD
	s_and_b64 vcc, exec, s[44:45]
	s_cbranch_vccz .LBB47_494
; %bb.490:
	global_load_ushort v1, v[4:5], off
	s_mov_b64 s[0:1], -1
	s_mov_b64 s[44:45], 0
	s_branch .LBB47_495
.LBB47_491:
	s_mov_b64 s[46:47], -1
                                        ; implicit-def: $vgpr1
	s_branch .LBB47_496
.LBB47_492:
	s_or_saveexec_b64 s[46:47], s[46:47]
	v_mov_b32_e32 v3, s52
	s_xor_b64 exec, exec, s[46:47]
	s_cbranch_execz .LBB47_473
.LBB47_493:
	v_cmp_ne_u16_e32 vcc, 0, v1
	s_andn2_b64 s[0:1], s[0:1], exec
	s_and_b64 s[48:49], vcc, exec
	v_mov_b32_e32 v3, 0
	s_or_b64 s[0:1], s[0:1], s[48:49]
	s_or_b64 exec, exec, s[46:47]
	s_and_saveexec_b64 s[46:47], s[0:1]
	s_cbranch_execnz .LBB47_474
	s_branch .LBB47_475
.LBB47_494:
	s_mov_b64 s[44:45], -1
                                        ; implicit-def: $vgpr1
.LBB47_495:
	s_mov_b64 s[46:47], 0
.LBB47_496:
	s_and_b64 vcc, exec, s[46:47]
	s_cbranch_vccz .LBB47_500
; %bb.497:
	s_waitcnt vmcnt(0)
	v_mov_b32_e32 v1, 11
	v_cmp_eq_u16_sdwa s[44:45], v9, v1 src0_sel:BYTE_0 src1_sel:DWORD
	s_and_b64 vcc, exec, s[44:45]
	s_cbranch_vccz .LBB47_499
; %bb.498:
	global_load_ubyte v1, v[4:5], off
	s_mov_b64 s[0:1], -1
	s_mov_b64 s[44:45], 0
	s_waitcnt vmcnt(0)
	v_cmp_ne_u16_e32 vcc, 0, v1
	v_cndmask_b32_e64 v1, 0, 1.0, vcc
	v_lshrrev_b32_e32 v1, 16, v1
	s_branch .LBB47_500
.LBB47_499:
	s_mov_b64 s[44:45], -1
                                        ; implicit-def: $vgpr1
.LBB47_500:
	s_branch .LBB47_416
.LBB47_501:
	s_waitcnt vmcnt(0)
	v_mov_b32_e32 v1, 5
	v_cmp_lt_i16_sdwa s[0:1], v9, v1 src0_sel:BYTE_0 src1_sel:DWORD
	s_and_b64 vcc, exec, s[0:1]
	s_cbranch_vccnz .LBB47_506
; %bb.502:
	v_mov_b32_e32 v1, 8
	v_cmp_lt_i16_sdwa s[0:1], v9, v1 src0_sel:BYTE_0 src1_sel:DWORD
	s_and_b64 vcc, exec, s[0:1]
	s_cbranch_vccnz .LBB47_507
; %bb.503:
	;; [unrolled: 5-line block ×3, first 2 shown]
	v_cmp_gt_i16_sdwa s[0:1], v9, v1 src0_sel:BYTE_0 src1_sel:DWORD
	s_and_b64 vcc, exec, s[0:1]
	s_cbranch_vccz .LBB47_509
; %bb.505:
	global_load_dwordx2 v[10:11], v[4:5], off
	s_movk_i32 s0, 0x7fff
	v_mov_b32_e32 v1, 0x7fc0
	s_waitcnt vmcnt(0)
	v_cvt_f32_f64_e32 v3, v[10:11]
	v_bfe_u32 v10, v3, 16, 1
	v_add3_u32 v10, v3, v10, s0
	v_lshrrev_b32_e32 v10, 16, v10
	v_cmp_o_f32_e32 vcc, v3, v3
	v_cndmask_b32_e32 v1, v1, v10, vcc
	s_mov_b64 s[0:1], 0
	s_branch .LBB47_510
.LBB47_506:
	s_mov_b64 s[0:1], -1
                                        ; implicit-def: $vgpr1
	s_branch .LBB47_528
.LBB47_507:
	s_mov_b64 s[0:1], -1
                                        ; implicit-def: $vgpr1
	s_branch .LBB47_516
.LBB47_508:
	s_mov_b64 s[0:1], -1
                                        ; implicit-def: $vgpr1
	s_branch .LBB47_513
.LBB47_509:
	s_mov_b64 s[0:1], -1
                                        ; implicit-def: $vgpr1
.LBB47_510:
	s_andn2_b64 vcc, exec, s[0:1]
	s_cbranch_vccnz .LBB47_512
; %bb.511:
	global_load_dword v1, v[4:5], off
	s_movk_i32 s0, 0x7fff
	v_mov_b32_e32 v3, 0x7fc0
	s_waitcnt vmcnt(0)
	v_bfe_u32 v10, v1, 16, 1
	v_add3_u32 v10, v1, v10, s0
	v_lshrrev_b32_e32 v10, 16, v10
	v_cmp_o_f32_e32 vcc, v1, v1
	v_cndmask_b32_e32 v1, v3, v10, vcc
.LBB47_512:
	s_mov_b64 s[0:1], 0
.LBB47_513:
	s_andn2_b64 vcc, exec, s[0:1]
	s_cbranch_vccnz .LBB47_515
; %bb.514:
	global_load_dword v1, v[4:5], off
	s_movk_i32 s0, 0x7fff
	v_mov_b32_e32 v10, 0x7fc0
	s_waitcnt vmcnt(0)
	v_cvt_f32_f16_e32 v3, v1
	v_cmp_o_f16_e32 vcc, v1, v1
	v_bfe_u32 v11, v3, 16, 1
	v_add3_u32 v3, v3, v11, s0
	v_lshrrev_b32_e32 v3, 16, v3
	v_cndmask_b32_e32 v1, v10, v3, vcc
.LBB47_515:
	s_mov_b64 s[0:1], 0
.LBB47_516:
	s_andn2_b64 vcc, exec, s[0:1]
	s_cbranch_vccnz .LBB47_527
; %bb.517:
	v_mov_b32_e32 v1, 6
	v_cmp_lt_i16_sdwa s[0:1], v9, v1 src0_sel:BYTE_0 src1_sel:DWORD
	s_and_b64 vcc, exec, s[0:1]
	s_cbranch_vccnz .LBB47_520
; %bb.518:
	v_cmp_gt_i16_sdwa s[0:1], v9, v1 src0_sel:BYTE_0 src1_sel:DWORD
	s_and_b64 vcc, exec, s[0:1]
	s_cbranch_vccz .LBB47_521
; %bb.519:
	global_load_dwordx2 v[10:11], v[4:5], off
	s_movk_i32 s0, 0x7fff
	v_mov_b32_e32 v1, 0x7fc0
	s_waitcnt vmcnt(0)
	v_cvt_f32_f64_e32 v3, v[10:11]
	v_bfe_u32 v10, v3, 16, 1
	v_add3_u32 v10, v3, v10, s0
	v_lshrrev_b32_e32 v10, 16, v10
	v_cmp_o_f32_e32 vcc, v3, v3
	v_cndmask_b32_e32 v1, v1, v10, vcc
	s_mov_b64 s[0:1], 0
	s_branch .LBB47_522
.LBB47_520:
	s_mov_b64 s[0:1], -1
                                        ; implicit-def: $vgpr1
	s_branch .LBB47_525
.LBB47_521:
	s_mov_b64 s[0:1], -1
                                        ; implicit-def: $vgpr1
.LBB47_522:
	s_andn2_b64 vcc, exec, s[0:1]
	s_cbranch_vccnz .LBB47_524
; %bb.523:
	global_load_dword v1, v[4:5], off
	s_movk_i32 s0, 0x7fff
	v_mov_b32_e32 v3, 0x7fc0
	s_waitcnt vmcnt(0)
	v_bfe_u32 v10, v1, 16, 1
	v_add3_u32 v10, v1, v10, s0
	v_lshrrev_b32_e32 v10, 16, v10
	v_cmp_o_f32_e32 vcc, v1, v1
	v_cndmask_b32_e32 v1, v3, v10, vcc
.LBB47_524:
	s_mov_b64 s[0:1], 0
.LBB47_525:
	s_andn2_b64 vcc, exec, s[0:1]
	s_cbranch_vccnz .LBB47_527
; %bb.526:
	global_load_ushort v1, v[4:5], off
	s_movk_i32 s0, 0x7fff
	v_mov_b32_e32 v10, 0x7fc0
	s_waitcnt vmcnt(0)
	v_cvt_f32_f16_e32 v3, v1
	v_cmp_o_f16_e32 vcc, v1, v1
	v_bfe_u32 v11, v3, 16, 1
	v_add3_u32 v3, v3, v11, s0
	v_lshrrev_b32_e32 v3, 16, v3
	v_cndmask_b32_e32 v1, v10, v3, vcc
.LBB47_527:
	s_mov_b64 s[0:1], 0
.LBB47_528:
	s_andn2_b64 vcc, exec, s[0:1]
	s_cbranch_vccnz .LBB47_548
; %bb.529:
	v_mov_b32_e32 v1, 2
	v_cmp_lt_i16_sdwa s[0:1], v9, v1 src0_sel:BYTE_0 src1_sel:DWORD
	s_and_b64 vcc, exec, s[0:1]
	s_cbranch_vccnz .LBB47_533
; %bb.530:
	v_mov_b32_e32 v1, 3
	v_cmp_lt_i16_sdwa s[0:1], v9, v1 src0_sel:BYTE_0 src1_sel:DWORD
	s_and_b64 vcc, exec, s[0:1]
	s_cbranch_vccnz .LBB47_534
; %bb.531:
	v_cmp_gt_i16_sdwa s[0:1], v9, v1 src0_sel:BYTE_0 src1_sel:DWORD
	s_and_b64 vcc, exec, s[0:1]
	s_cbranch_vccz .LBB47_535
; %bb.532:
	global_load_dwordx2 v[10:11], v[4:5], off
	s_movk_i32 s0, 0x7fff
	s_waitcnt vmcnt(0)
	v_xor_b32_e32 v3, v10, v11
	v_ffbh_i32_e32 v1, v11
	v_ashrrev_i32_e32 v3, 31, v3
	v_add_u32_e32 v1, -1, v1
	v_add_u32_e32 v3, 32, v3
	v_min_u32_e32 v1, v1, v3
	v_lshlrev_b64 v[10:11], v1, v[10:11]
	v_min_u32_e32 v3, 1, v10
	v_or_b32_e32 v3, v11, v3
	v_cvt_f32_i32_e32 v3, v3
	v_sub_u32_e32 v1, 32, v1
	v_ldexp_f32 v1, v3, v1
	v_bfe_u32 v3, v1, 16, 1
	v_add3_u32 v1, v1, v3, s0
	v_lshrrev_b32_e32 v1, 16, v1
	s_mov_b64 s[0:1], 0
	s_branch .LBB47_536
.LBB47_533:
	s_mov_b64 s[0:1], -1
                                        ; implicit-def: $vgpr1
	s_branch .LBB47_542
.LBB47_534:
	s_mov_b64 s[0:1], -1
                                        ; implicit-def: $vgpr1
	s_branch .LBB47_539
.LBB47_535:
	s_mov_b64 s[0:1], -1
                                        ; implicit-def: $vgpr1
.LBB47_536:
	s_andn2_b64 vcc, exec, s[0:1]
	s_cbranch_vccnz .LBB47_538
; %bb.537:
	global_load_dword v1, v[4:5], off
	s_movk_i32 s0, 0x7fff
	s_waitcnt vmcnt(0)
	v_cvt_f32_i32_e32 v1, v1
	v_bfe_u32 v3, v1, 16, 1
	v_add3_u32 v1, v1, v3, s0
	v_lshrrev_b32_e32 v1, 16, v1
.LBB47_538:
	s_mov_b64 s[0:1], 0
.LBB47_539:
	s_andn2_b64 vcc, exec, s[0:1]
	s_cbranch_vccnz .LBB47_541
; %bb.540:
	global_load_sshort v1, v[4:5], off
	s_movk_i32 s0, 0x7fff
	s_waitcnt vmcnt(0)
	v_cvt_f32_i32_e32 v1, v1
	v_bfe_u32 v3, v1, 16, 1
	v_add3_u32 v1, v1, v3, s0
	v_lshrrev_b32_e32 v1, 16, v1
.LBB47_541:
	s_mov_b64 s[0:1], 0
.LBB47_542:
	s_andn2_b64 vcc, exec, s[0:1]
	s_cbranch_vccnz .LBB47_548
; %bb.543:
	v_mov_b32_e32 v1, 0
	v_cmp_gt_i16_sdwa s[0:1], v9, v1 src0_sel:BYTE_0 src1_sel:DWORD
	s_and_b64 vcc, exec, s[0:1]
	s_cbranch_vccz .LBB47_545
; %bb.544:
	global_load_sbyte v1, v[4:5], off
	s_movk_i32 s0, 0x7fff
	s_waitcnt vmcnt(0)
	v_cvt_f32_i32_e32 v1, v1
	v_bfe_u32 v3, v1, 16, 1
	v_add3_u32 v1, v1, v3, s0
	v_lshrrev_b32_e32 v1, 16, v1
	s_mov_b64 s[0:1], 0
	s_branch .LBB47_546
.LBB47_545:
	s_mov_b64 s[0:1], -1
                                        ; implicit-def: $vgpr1
.LBB47_546:
	s_andn2_b64 vcc, exec, s[0:1]
	s_cbranch_vccnz .LBB47_548
; %bb.547:
	global_load_ubyte v1, v[4:5], off
	s_movk_i32 s0, 0x7fff
	s_waitcnt vmcnt(0)
	v_cvt_f32_ubyte0_e32 v1, v1
	v_bfe_u32 v3, v1, 16, 1
	v_add3_u32 v1, v1, v3, s0
	v_lshrrev_b32_e32 v1, 16, v1
.LBB47_548:
	s_branch .LBB47_417
.LBB47_549:
	s_mov_b64 s[52:53], 0
	s_mov_b64 s[0:1], s[36:37]
	;; [unrolled: 1-line block ×3, first 2 shown]
.LBB47_550:
                                        ; implicit-def: $vgpr8
	s_branch .LBB47_792
.LBB47_551:
	s_or_saveexec_b64 s[48:49], s[48:49]
                                        ; implicit-def: $sgpr50
	s_xor_b64 exec, exec, s[48:49]
	s_cbranch_execz .LBB47_203
.LBB47_552:
	s_mov_b32 s50, 0x42800000
	v_add_f32_e64 v5, |v10|, s50
	v_and_b32_e32 v5, 0xff, v5
	v_cmp_ne_u32_e32 vcc, 0, v5
	s_andn2_b64 s[44:45], s[44:45], exec
	s_and_b64 s[52:53], vcc, exec
	s_mov_b32 s50, 0
	s_or_b64 s[44:45], s[44:45], s[52:53]
	s_or_b64 exec, exec, s[48:49]
	v_mov_b32_e32 v11, s50
	s_and_saveexec_b64 s[48:49], s[44:45]
	s_cbranch_execnz .LBB47_204
	s_branch .LBB47_205
.LBB47_553:
	s_mov_b64 s[46:47], -1
                                        ; implicit-def: $vgpr4
	s_mov_b64 s[0:1], 0
.LBB47_554:
	s_and_b64 vcc, exec, s[48:49]
	s_cbranch_vccz .LBB47_558
; %bb.555:
	s_waitcnt vmcnt(0)
	v_mov_b32_e32 v4, 44
	v_cmp_eq_u16_sdwa s[46:47], v7, v4 src0_sel:BYTE_0 src1_sel:DWORD
	s_and_b64 vcc, exec, s[46:47]
	s_cbranch_vccz .LBB47_557
; %bb.556:
	global_load_ubyte v4, v[2:3], off
	s_movk_i32 s46, 0xff
	v_mov_b32_e32 v5, 0x7f800001
	v_mov_b32_e32 v10, 0x400000
	;; [unrolled: 1-line block ×3, first 2 shown]
	s_mov_b64 s[0:1], -1
	s_waitcnt vmcnt(0)
	v_lshlrev_b32_e32 v12, 23, v4
	v_cmp_ne_u32_e32 vcc, s46, v4
	v_cndmask_b32_e32 v5, v5, v12, vcc
	v_cmp_ne_u32_e32 vcc, 0, v4
	v_cndmask_b32_e32 v4, v10, v5, vcc
	v_add_u32_e32 v5, 0x7fff, v4
	v_lshrrev_b32_e32 v5, 16, v5
	v_cmp_o_f32_e32 vcc, v4, v4
	v_cndmask_b32_e32 v4, v11, v5, vcc
	s_mov_b64 s[46:47], 0
	s_branch .LBB47_558
.LBB47_557:
	s_mov_b64 s[46:47], -1
                                        ; implicit-def: $vgpr4
.LBB47_558:
	s_mov_b64 s[48:49], 0
.LBB47_559:
	s_and_b64 vcc, exec, s[48:49]
	s_cbranch_vccz .LBB47_563
; %bb.560:
	s_waitcnt vmcnt(0)
	v_mov_b32_e32 v4, 29
	v_cmp_eq_u16_sdwa s[46:47], v7, v4 src0_sel:BYTE_0 src1_sel:DWORD
	s_and_b64 vcc, exec, s[46:47]
	s_cbranch_vccz .LBB47_562
; %bb.561:
	global_load_dwordx2 v[4:5], v[2:3], off
	s_movk_i32 s46, 0x7fff
	s_mov_b64 s[0:1], -1
	s_mov_b64 s[48:49], 0
	s_waitcnt vmcnt(0)
	v_ffbh_u32_e32 v10, v5
	v_min_u32_e32 v10, 32, v10
	v_lshlrev_b64 v[4:5], v10, v[4:5]
	v_min_u32_e32 v4, 1, v4
	v_or_b32_e32 v4, v5, v4
	v_cvt_f32_u32_e32 v4, v4
	v_sub_u32_e32 v5, 32, v10
	v_ldexp_f32 v4, v4, v5
	v_bfe_u32 v5, v4, 16, 1
	v_add3_u32 v4, v4, v5, s46
	v_lshrrev_b32_e32 v4, 16, v4
	s_mov_b64 s[46:47], 0
	s_branch .LBB47_564
.LBB47_562:
	s_mov_b64 s[46:47], -1
                                        ; implicit-def: $vgpr4
.LBB47_563:
	s_mov_b64 s[48:49], 0
.LBB47_564:
	s_and_b64 vcc, exec, s[48:49]
	s_cbranch_vccz .LBB47_582
; %bb.565:
	s_waitcnt vmcnt(0)
	v_mov_b32_e32 v4, 27
	v_cmp_lt_i16_sdwa s[0:1], v7, v4 src0_sel:BYTE_0 src1_sel:DWORD
	s_and_b64 vcc, exec, s[0:1]
	s_cbranch_vccnz .LBB47_568
; %bb.566:
	v_cmp_gt_i16_sdwa s[0:1], v7, v4 src0_sel:BYTE_0 src1_sel:DWORD
	s_and_b64 vcc, exec, s[0:1]
	s_cbranch_vccz .LBB47_569
; %bb.567:
	global_load_dword v4, v[2:3], off
	s_movk_i32 s0, 0x7fff
	s_waitcnt vmcnt(0)
	v_cvt_f32_u32_e32 v4, v4
	v_bfe_u32 v5, v4, 16, 1
	v_add3_u32 v4, v4, v5, s0
	v_lshrrev_b32_e32 v4, 16, v4
	s_mov_b64 s[0:1], 0
	s_branch .LBB47_570
.LBB47_568:
	s_mov_b64 s[0:1], -1
                                        ; implicit-def: $vgpr4
	s_branch .LBB47_573
.LBB47_569:
	s_mov_b64 s[0:1], -1
                                        ; implicit-def: $vgpr4
.LBB47_570:
	s_andn2_b64 vcc, exec, s[0:1]
	s_cbranch_vccnz .LBB47_572
; %bb.571:
	global_load_ushort v4, v[2:3], off
	s_movk_i32 s0, 0x7fff
	s_waitcnt vmcnt(0)
	v_cvt_f32_u32_e32 v4, v4
	v_bfe_u32 v5, v4, 16, 1
	v_add3_u32 v4, v4, v5, s0
	v_lshrrev_b32_e32 v4, 16, v4
.LBB47_572:
	s_mov_b64 s[0:1], 0
.LBB47_573:
	s_andn2_b64 vcc, exec, s[0:1]
	s_cbranch_vccnz .LBB47_581
; %bb.574:
	global_load_ubyte v4, v[2:3], off
	s_movk_i32 s0, 0x7f
                                        ; implicit-def: $sgpr54
	s_waitcnt vmcnt(0)
	v_cmp_lt_i16_e32 vcc, s0, v4
	s_mov_b64 s[0:1], 0
	s_and_saveexec_b64 s[48:49], vcc
	s_xor_b64 s[48:49], exec, s[48:49]
	s_cbranch_execz .LBB47_595
; %bb.575:
	s_movk_i32 s0, 0x80
	v_cmp_eq_u16_e32 vcc, s0, v4
	s_mov_b64 s[0:1], -1
                                        ; implicit-def: $sgpr54
	s_and_saveexec_b64 s[52:53], vcc
; %bb.576:
	s_mov_b32 s54, 0x7f800001
	s_xor_b64 s[0:1], exec, -1
; %bb.577:
	s_or_b64 exec, exec, s[52:53]
	s_and_b64 s[0:1], s[0:1], exec
	s_or_saveexec_b64 s[48:49], s[48:49]
	v_mov_b32_e32 v5, s54
	s_xor_b64 exec, exec, s[48:49]
	s_cbranch_execnz .LBB47_596
.LBB47_578:
	s_or_b64 exec, exec, s[48:49]
	s_and_saveexec_b64 s[48:49], s[0:1]
	s_cbranch_execz .LBB47_580
.LBB47_579:
	v_lshlrev_b32_e32 v5, 24, v4
	v_and_b32_e32 v4, 0xffff, v4
	v_and_b32_e32 v10, 7, v4
	v_ffbh_u32_e32 v12, v10
	v_min_u32_e32 v12, 32, v12
	v_subrev_u32_e32 v13, 28, v12
	v_bfe_u32 v11, v4, 3, 4
	v_lshlrev_b32_e32 v4, v13, v4
	v_sub_u32_e32 v12, 29, v12
	v_and_b32_e32 v4, 7, v4
	v_cmp_eq_u32_e32 vcc, 0, v11
	v_cndmask_b32_e32 v11, v11, v12, vcc
	v_cndmask_b32_e32 v4, v10, v4, vcc
	v_mov_b32_e32 v10, 0x3b800000
	v_lshlrev_b32_e32 v4, 20, v4
	v_and_b32_e32 v5, 0x80000000, v5
	v_lshl_add_u32 v10, v11, 23, v10
	v_or3_b32 v5, v5, v10, v4
.LBB47_580:
	s_or_b64 exec, exec, s[48:49]
	v_bfe_u32 v4, v5, 16, 1
	s_movk_i32 s0, 0x7fff
	v_add3_u32 v4, v5, v4, s0
	v_lshrrev_b32_e32 v4, 16, v4
	v_mov_b32_e32 v10, 0x7fc0
	v_cmp_o_f32_e32 vcc, v5, v5
	v_cndmask_b32_e32 v4, v10, v4, vcc
.LBB47_581:
	s_mov_b64 s[0:1], -1
.LBB47_582:
	s_mov_b64 s[48:49], 0
.LBB47_583:
	s_and_b64 vcc, exec, s[48:49]
	s_cbranch_vccz .LBB47_618
; %bb.584:
	s_waitcnt vmcnt(0)
	v_mov_b32_e32 v4, 22
	v_cmp_gt_i16_sdwa s[48:49], v7, v4 src0_sel:BYTE_0 src1_sel:DWORD
	s_and_b64 vcc, exec, s[48:49]
	s_cbranch_vccz .LBB47_594
; %bb.585:
	v_mov_b32_e32 v4, 24
	v_cmp_lt_i16_sdwa s[0:1], v7, v4 src0_sel:BYTE_0 src1_sel:DWORD
	s_and_b64 vcc, exec, s[0:1]
	s_cbranch_vccnz .LBB47_597
; %bb.586:
	v_cmp_gt_i16_sdwa s[0:1], v7, v4 src0_sel:BYTE_0 src1_sel:DWORD
	s_and_b64 vcc, exec, s[0:1]
	s_cbranch_vccz .LBB47_598
; %bb.587:
	global_load_ubyte v4, v[2:3], off
	s_movk_i32 s0, 0x7f
                                        ; implicit-def: $sgpr54
	s_waitcnt vmcnt(0)
	v_cmp_lt_i16_e32 vcc, s0, v4
	s_mov_b64 s[0:1], 0
	s_and_saveexec_b64 s[48:49], vcc
	s_xor_b64 s[48:49], exec, s[48:49]
	s_cbranch_execz .LBB47_610
; %bb.588:
	s_movk_i32 s0, 0x80
	v_cmp_eq_u16_e32 vcc, s0, v4
	s_mov_b64 s[0:1], -1
                                        ; implicit-def: $sgpr54
	s_and_saveexec_b64 s[52:53], vcc
; %bb.589:
	s_mov_b32 s54, 0x7f800001
	s_xor_b64 s[0:1], exec, -1
; %bb.590:
	s_or_b64 exec, exec, s[52:53]
	s_and_b64 s[0:1], s[0:1], exec
	s_or_saveexec_b64 s[48:49], s[48:49]
	v_mov_b32_e32 v5, s54
	s_xor_b64 exec, exec, s[48:49]
	s_cbranch_execnz .LBB47_611
.LBB47_591:
	s_or_b64 exec, exec, s[48:49]
	s_and_saveexec_b64 s[48:49], s[0:1]
	s_cbranch_execz .LBB47_593
.LBB47_592:
	v_lshlrev_b32_e32 v5, 24, v4
	v_and_b32_e32 v4, 0xffff, v4
	v_and_b32_e32 v10, 3, v4
	v_ffbh_u32_e32 v12, v10
	v_min_u32_e32 v12, 32, v12
	v_subrev_u32_e32 v13, 29, v12
	v_bfe_u32 v11, v4, 2, 5
	v_lshlrev_b32_e32 v4, v13, v4
	v_sub_u32_e32 v12, 30, v12
	v_and_b32_e32 v4, 3, v4
	v_cmp_eq_u32_e32 vcc, 0, v11
	v_cndmask_b32_e32 v11, v11, v12, vcc
	v_cndmask_b32_e32 v4, v10, v4, vcc
	v_mov_b32_e32 v10, 0x37800000
	v_lshlrev_b32_e32 v4, 21, v4
	v_and_b32_e32 v5, 0x80000000, v5
	v_lshl_add_u32 v10, v11, 23, v10
	v_or3_b32 v5, v5, v10, v4
.LBB47_593:
	s_or_b64 exec, exec, s[48:49]
	v_bfe_u32 v4, v5, 16, 1
	s_movk_i32 s0, 0x7fff
	v_add3_u32 v4, v5, v4, s0
	v_lshrrev_b32_e32 v4, 16, v4
	v_mov_b32_e32 v10, 0x7fc0
	v_cmp_o_f32_e32 vcc, v5, v5
	v_cndmask_b32_e32 v4, v10, v4, vcc
	s_mov_b64 s[0:1], 0
	s_branch .LBB47_599
.LBB47_594:
	s_mov_b64 s[48:49], -1
                                        ; implicit-def: $vgpr4
	s_branch .LBB47_605
.LBB47_595:
	s_or_saveexec_b64 s[48:49], s[48:49]
	v_mov_b32_e32 v5, s54
	s_xor_b64 exec, exec, s[48:49]
	s_cbranch_execz .LBB47_578
.LBB47_596:
	v_cmp_ne_u16_e32 vcc, 0, v4
	s_andn2_b64 s[0:1], s[0:1], exec
	s_and_b64 s[52:53], vcc, exec
	v_mov_b32_e32 v5, 0
	s_or_b64 s[0:1], s[0:1], s[52:53]
	s_or_b64 exec, exec, s[48:49]
	s_and_saveexec_b64 s[48:49], s[0:1]
	s_cbranch_execnz .LBB47_579
	s_branch .LBB47_580
.LBB47_597:
	s_mov_b64 s[0:1], -1
                                        ; implicit-def: $vgpr4
	s_branch .LBB47_602
.LBB47_598:
	s_mov_b64 s[0:1], -1
                                        ; implicit-def: $vgpr4
.LBB47_599:
	s_and_b64 vcc, exec, s[0:1]
	s_cbranch_vccz .LBB47_601
; %bb.600:
	global_load_ubyte v4, v[2:3], off
	s_mov_b32 s0, 0x7f800000
	s_brev_b32 s1, 1
	s_movk_i32 s48, 0x7fff
	v_mov_b32_e32 v5, 0x7fc0
	s_waitcnt vmcnt(0)
	v_lshlrev_b32_e32 v4, 24, v4
	v_and_b32_e32 v10, 0x7f000000, v4
	v_ffbh_u32_e32 v11, v10
	v_min_u32_e32 v11, 32, v11
	v_sub_u32_e64 v11, v11, 4 clamp
	v_lshlrev_b32_e32 v13, v11, v10
	v_lshlrev_b32_e32 v11, 23, v11
	v_lshrrev_b32_e32 v13, 4, v13
	v_add_u32_e32 v12, 0x1000000, v10
	v_sub_u32_e32 v11, v13, v11
	v_ashrrev_i32_e32 v12, 8, v12
	v_add_u32_e32 v11, 0x3c000000, v11
	v_and_or_b32 v11, v12, s0, v11
	v_cmp_ne_u32_e32 vcc, 0, v10
	v_cndmask_b32_e32 v10, 0, v11, vcc
	v_and_or_b32 v4, v4, s1, v10
	v_bfe_u32 v10, v10, 16, 1
	v_add3_u32 v10, v4, v10, s48
	v_lshrrev_b32_e32 v10, 16, v10
	v_cmp_o_f32_e32 vcc, v4, v4
	v_cndmask_b32_e32 v4, v5, v10, vcc
.LBB47_601:
	s_mov_b64 s[0:1], 0
.LBB47_602:
	s_andn2_b64 vcc, exec, s[0:1]
	s_cbranch_vccnz .LBB47_604
; %bb.603:
	global_load_ubyte v4, v[2:3], off
	s_movk_i32 s0, 0x7f00
	s_brev_b32 s1, 16
	s_brev_b32 s48, 1
	s_movk_i32 s49, 0x7fff
	v_mov_b32_e32 v5, 0x7fc0
	s_waitcnt vmcnt(0)
	v_lshlrev_b16_e32 v10, 8, v4
	v_lshlrev_b32_e32 v4, 25, v4
	v_lshrrev_b32_e32 v11, 4, v4
	v_and_or_b32 v12, v10, s0, 0.5
	v_or_b32_e32 v11, 0x70000000, v11
	v_add_f32_e32 v12, -0.5, v12
	v_mul_f32_e32 v11, 0x7800000, v11
	v_cmp_gt_u32_e32 vcc, s1, v4
	v_bfe_i32 v10, v10, 0, 16
	v_cndmask_b32_e32 v4, v11, v12, vcc
	v_and_or_b32 v10, v10, s48, v4
	v_bfe_u32 v4, v4, 16, 1
	v_add3_u32 v4, v10, v4, s49
	v_lshrrev_b32_e32 v4, 16, v4
	v_cmp_o_f32_e32 vcc, v10, v10
	v_cndmask_b32_e32 v4, v5, v4, vcc
.LBB47_604:
	s_mov_b64 s[48:49], 0
	s_mov_b64 s[0:1], -1
.LBB47_605:
	s_andn2_b64 vcc, exec, s[48:49]
	s_cbranch_vccnz .LBB47_618
; %bb.606:
	v_mov_b32_e32 v4, 14
	v_cmp_gt_i16_sdwa s[48:49], v7, v4 src0_sel:BYTE_0 src1_sel:DWORD
	s_and_b64 vcc, exec, s[48:49]
	s_cbranch_vccz .LBB47_609
; %bb.607:
	v_mov_b32_e32 v4, 15
	v_cmp_eq_u16_sdwa s[46:47], v7, v4 src0_sel:BYTE_0 src1_sel:DWORD
	s_and_b64 vcc, exec, s[46:47]
	s_cbranch_vccz .LBB47_612
; %bb.608:
	global_load_ushort v4, v[2:3], off
	s_mov_b64 s[0:1], -1
	s_mov_b64 s[46:47], 0
	s_branch .LBB47_613
.LBB47_609:
	s_mov_b64 s[48:49], -1
                                        ; implicit-def: $vgpr4
	s_branch .LBB47_614
.LBB47_610:
	s_or_saveexec_b64 s[48:49], s[48:49]
	v_mov_b32_e32 v5, s54
	s_xor_b64 exec, exec, s[48:49]
	s_cbranch_execz .LBB47_591
.LBB47_611:
	v_cmp_ne_u16_e32 vcc, 0, v4
	s_andn2_b64 s[0:1], s[0:1], exec
	s_and_b64 s[52:53], vcc, exec
	v_mov_b32_e32 v5, 0
	s_or_b64 s[0:1], s[0:1], s[52:53]
	s_or_b64 exec, exec, s[48:49]
	s_and_saveexec_b64 s[48:49], s[0:1]
	s_cbranch_execnz .LBB47_592
	s_branch .LBB47_593
.LBB47_612:
	s_mov_b64 s[46:47], -1
                                        ; implicit-def: $vgpr4
.LBB47_613:
	s_mov_b64 s[48:49], 0
.LBB47_614:
	s_and_b64 vcc, exec, s[48:49]
	s_cbranch_vccz .LBB47_618
; %bb.615:
	s_waitcnt vmcnt(0)
	v_mov_b32_e32 v4, 11
	v_cmp_eq_u16_sdwa s[46:47], v7, v4 src0_sel:BYTE_0 src1_sel:DWORD
	s_and_b64 vcc, exec, s[46:47]
	s_cbranch_vccz .LBB47_617
; %bb.616:
	global_load_ubyte v4, v[2:3], off
	s_mov_b64 s[0:1], -1
	s_mov_b64 s[46:47], 0
	s_waitcnt vmcnt(0)
	v_cmp_ne_u16_e32 vcc, 0, v4
	v_cndmask_b32_e64 v4, 0, 1.0, vcc
	v_lshrrev_b32_e32 v4, 16, v4
	s_branch .LBB47_618
.LBB47_617:
	s_mov_b64 s[46:47], -1
                                        ; implicit-def: $vgpr4
.LBB47_618:
	s_mov_b64 s[48:49], 0
.LBB47_619:
	s_and_b64 vcc, exec, s[48:49]
	s_cbranch_vccz .LBB47_668
; %bb.620:
	s_waitcnt vmcnt(0)
	v_mov_b32_e32 v4, 5
	v_cmp_lt_i16_sdwa s[0:1], v7, v4 src0_sel:BYTE_0 src1_sel:DWORD
	s_and_b64 vcc, exec, s[0:1]
	s_cbranch_vccnz .LBB47_625
; %bb.621:
	v_mov_b32_e32 v4, 8
	v_cmp_lt_i16_sdwa s[0:1], v7, v4 src0_sel:BYTE_0 src1_sel:DWORD
	s_and_b64 vcc, exec, s[0:1]
	s_cbranch_vccnz .LBB47_626
; %bb.622:
	;; [unrolled: 5-line block ×3, first 2 shown]
	v_cmp_gt_i16_sdwa s[0:1], v7, v4 src0_sel:BYTE_0 src1_sel:DWORD
	s_and_b64 vcc, exec, s[0:1]
	s_cbranch_vccz .LBB47_628
; %bb.624:
	global_load_dwordx2 v[4:5], v[2:3], off
	s_movk_i32 s0, 0x7fff
	v_mov_b32_e32 v10, 0x7fc0
	s_waitcnt vmcnt(0)
	v_cvt_f32_f64_e32 v4, v[4:5]
	v_bfe_u32 v5, v4, 16, 1
	v_add3_u32 v5, v4, v5, s0
	v_lshrrev_b32_e32 v5, 16, v5
	v_cmp_o_f32_e32 vcc, v4, v4
	v_cndmask_b32_e32 v4, v10, v5, vcc
	s_mov_b64 s[0:1], 0
	s_branch .LBB47_629
.LBB47_625:
	s_mov_b64 s[0:1], -1
                                        ; implicit-def: $vgpr4
	s_branch .LBB47_647
.LBB47_626:
	s_mov_b64 s[0:1], -1
                                        ; implicit-def: $vgpr4
	s_branch .LBB47_635
.LBB47_627:
	s_mov_b64 s[0:1], -1
                                        ; implicit-def: $vgpr4
	s_branch .LBB47_632
.LBB47_628:
	s_mov_b64 s[0:1], -1
                                        ; implicit-def: $vgpr4
.LBB47_629:
	s_andn2_b64 vcc, exec, s[0:1]
	s_cbranch_vccnz .LBB47_631
; %bb.630:
	global_load_dword v4, v[2:3], off
	s_movk_i32 s0, 0x7fff
	v_mov_b32_e32 v5, 0x7fc0
	s_waitcnt vmcnt(0)
	v_bfe_u32 v10, v4, 16, 1
	v_add3_u32 v10, v4, v10, s0
	v_lshrrev_b32_e32 v10, 16, v10
	v_cmp_o_f32_e32 vcc, v4, v4
	v_cndmask_b32_e32 v4, v5, v10, vcc
.LBB47_631:
	s_mov_b64 s[0:1], 0
.LBB47_632:
	s_andn2_b64 vcc, exec, s[0:1]
	s_cbranch_vccnz .LBB47_634
; %bb.633:
	global_load_dword v4, v[2:3], off
	s_movk_i32 s0, 0x7fff
	v_mov_b32_e32 v10, 0x7fc0
	s_waitcnt vmcnt(0)
	v_cvt_f32_f16_e32 v5, v4
	v_cmp_o_f16_e32 vcc, v4, v4
	v_bfe_u32 v11, v5, 16, 1
	v_add3_u32 v5, v5, v11, s0
	v_lshrrev_b32_e32 v5, 16, v5
	v_cndmask_b32_e32 v4, v10, v5, vcc
.LBB47_634:
	s_mov_b64 s[0:1], 0
.LBB47_635:
	s_andn2_b64 vcc, exec, s[0:1]
	s_cbranch_vccnz .LBB47_646
; %bb.636:
	v_mov_b32_e32 v4, 6
	v_cmp_lt_i16_sdwa s[0:1], v7, v4 src0_sel:BYTE_0 src1_sel:DWORD
	s_and_b64 vcc, exec, s[0:1]
	s_cbranch_vccnz .LBB47_639
; %bb.637:
	v_cmp_gt_i16_sdwa s[0:1], v7, v4 src0_sel:BYTE_0 src1_sel:DWORD
	s_and_b64 vcc, exec, s[0:1]
	s_cbranch_vccz .LBB47_640
; %bb.638:
	global_load_dwordx2 v[4:5], v[2:3], off
	s_movk_i32 s0, 0x7fff
	v_mov_b32_e32 v10, 0x7fc0
	s_waitcnt vmcnt(0)
	v_cvt_f32_f64_e32 v4, v[4:5]
	v_bfe_u32 v5, v4, 16, 1
	v_add3_u32 v5, v4, v5, s0
	v_lshrrev_b32_e32 v5, 16, v5
	v_cmp_o_f32_e32 vcc, v4, v4
	v_cndmask_b32_e32 v4, v10, v5, vcc
	s_mov_b64 s[0:1], 0
	s_branch .LBB47_641
.LBB47_639:
	s_mov_b64 s[0:1], -1
                                        ; implicit-def: $vgpr4
	s_branch .LBB47_644
.LBB47_640:
	s_mov_b64 s[0:1], -1
                                        ; implicit-def: $vgpr4
.LBB47_641:
	s_andn2_b64 vcc, exec, s[0:1]
	s_cbranch_vccnz .LBB47_643
; %bb.642:
	global_load_dword v4, v[2:3], off
	s_movk_i32 s0, 0x7fff
	v_mov_b32_e32 v5, 0x7fc0
	s_waitcnt vmcnt(0)
	v_bfe_u32 v10, v4, 16, 1
	v_add3_u32 v10, v4, v10, s0
	v_lshrrev_b32_e32 v10, 16, v10
	v_cmp_o_f32_e32 vcc, v4, v4
	v_cndmask_b32_e32 v4, v5, v10, vcc
.LBB47_643:
	s_mov_b64 s[0:1], 0
.LBB47_644:
	s_andn2_b64 vcc, exec, s[0:1]
	s_cbranch_vccnz .LBB47_646
; %bb.645:
	global_load_ushort v4, v[2:3], off
	s_movk_i32 s0, 0x7fff
	v_mov_b32_e32 v10, 0x7fc0
	s_waitcnt vmcnt(0)
	v_cvt_f32_f16_e32 v5, v4
	v_cmp_o_f16_e32 vcc, v4, v4
	v_bfe_u32 v11, v5, 16, 1
	v_add3_u32 v5, v5, v11, s0
	v_lshrrev_b32_e32 v5, 16, v5
	v_cndmask_b32_e32 v4, v10, v5, vcc
.LBB47_646:
	s_mov_b64 s[0:1], 0
.LBB47_647:
	s_andn2_b64 vcc, exec, s[0:1]
	s_cbranch_vccnz .LBB47_667
; %bb.648:
	v_mov_b32_e32 v4, 2
	v_cmp_lt_i16_sdwa s[0:1], v7, v4 src0_sel:BYTE_0 src1_sel:DWORD
	s_and_b64 vcc, exec, s[0:1]
	s_cbranch_vccnz .LBB47_652
; %bb.649:
	v_mov_b32_e32 v4, 3
	v_cmp_lt_i16_sdwa s[0:1], v7, v4 src0_sel:BYTE_0 src1_sel:DWORD
	s_and_b64 vcc, exec, s[0:1]
	s_cbranch_vccnz .LBB47_653
; %bb.650:
	v_cmp_gt_i16_sdwa s[0:1], v7, v4 src0_sel:BYTE_0 src1_sel:DWORD
	s_and_b64 vcc, exec, s[0:1]
	s_cbranch_vccz .LBB47_654
; %bb.651:
	global_load_dwordx2 v[4:5], v[2:3], off
	s_movk_i32 s0, 0x7fff
	s_waitcnt vmcnt(0)
	v_xor_b32_e32 v11, v4, v5
	v_ffbh_i32_e32 v10, v5
	v_ashrrev_i32_e32 v11, 31, v11
	v_add_u32_e32 v10, -1, v10
	v_add_u32_e32 v11, 32, v11
	v_min_u32_e32 v10, v10, v11
	v_lshlrev_b64 v[4:5], v10, v[4:5]
	v_min_u32_e32 v4, 1, v4
	v_or_b32_e32 v4, v5, v4
	v_cvt_f32_i32_e32 v4, v4
	v_sub_u32_e32 v5, 32, v10
	v_ldexp_f32 v4, v4, v5
	v_bfe_u32 v5, v4, 16, 1
	v_add3_u32 v4, v4, v5, s0
	v_lshrrev_b32_e32 v4, 16, v4
	s_mov_b64 s[0:1], 0
	s_branch .LBB47_655
.LBB47_652:
	s_mov_b64 s[0:1], -1
                                        ; implicit-def: $vgpr4
	s_branch .LBB47_661
.LBB47_653:
	s_mov_b64 s[0:1], -1
                                        ; implicit-def: $vgpr4
	s_branch .LBB47_658
.LBB47_654:
	s_mov_b64 s[0:1], -1
                                        ; implicit-def: $vgpr4
.LBB47_655:
	s_andn2_b64 vcc, exec, s[0:1]
	s_cbranch_vccnz .LBB47_657
; %bb.656:
	global_load_dword v4, v[2:3], off
	s_movk_i32 s0, 0x7fff
	s_waitcnt vmcnt(0)
	v_cvt_f32_i32_e32 v4, v4
	v_bfe_u32 v5, v4, 16, 1
	v_add3_u32 v4, v4, v5, s0
	v_lshrrev_b32_e32 v4, 16, v4
.LBB47_657:
	s_mov_b64 s[0:1], 0
.LBB47_658:
	s_andn2_b64 vcc, exec, s[0:1]
	s_cbranch_vccnz .LBB47_660
; %bb.659:
	global_load_sshort v4, v[2:3], off
	s_movk_i32 s0, 0x7fff
	s_waitcnt vmcnt(0)
	v_cvt_f32_i32_e32 v4, v4
	v_bfe_u32 v5, v4, 16, 1
	v_add3_u32 v4, v4, v5, s0
	v_lshrrev_b32_e32 v4, 16, v4
.LBB47_660:
	s_mov_b64 s[0:1], 0
.LBB47_661:
	s_andn2_b64 vcc, exec, s[0:1]
	s_cbranch_vccnz .LBB47_667
; %bb.662:
	v_mov_b32_e32 v4, 0
	v_cmp_gt_i16_sdwa s[0:1], v7, v4 src0_sel:BYTE_0 src1_sel:DWORD
	s_and_b64 vcc, exec, s[0:1]
	s_cbranch_vccz .LBB47_664
; %bb.663:
	global_load_sbyte v4, v[2:3], off
	s_movk_i32 s0, 0x7fff
	s_waitcnt vmcnt(0)
	v_cvt_f32_i32_e32 v4, v4
	v_bfe_u32 v5, v4, 16, 1
	v_add3_u32 v4, v4, v5, s0
	v_lshrrev_b32_e32 v4, 16, v4
	s_mov_b64 s[0:1], 0
	s_branch .LBB47_665
.LBB47_664:
	s_mov_b64 s[0:1], -1
                                        ; implicit-def: $vgpr4
.LBB47_665:
	s_andn2_b64 vcc, exec, s[0:1]
	s_cbranch_vccnz .LBB47_667
; %bb.666:
	global_load_ubyte v2, v[2:3], off
	s_movk_i32 s0, 0x7fff
	s_waitcnt vmcnt(0)
	v_cvt_f32_ubyte0_e32 v2, v2
	v_bfe_u32 v3, v2, 16, 1
	v_add3_u32 v2, v2, v3, s0
	v_lshrrev_b32_e32 v4, 16, v2
.LBB47_667:
	s_mov_b64 s[0:1], -1
.LBB47_668:
	s_andn2_b64 vcc, exec, s[0:1]
	s_cbranch_vccnz .LBB47_676
; %bb.669:
	s_waitcnt vmcnt(0)
	v_and_b32_e32 v3, 0x7fff, v1
	v_and_b32_e32 v1, 0xffff8000, v4
	v_or_b32_e32 v2, v1, v3
	v_mov_b32_e32 v1, s9
	v_add_co_u32_e32 v0, vcc, s8, v0
	v_mov_b32_e32 v4, 11
	v_addc_co_u32_e32 v1, vcc, 0, v1, vcc
	v_cmp_lt_i16_sdwa s[0:1], v6, v4 src0_sel:BYTE_0 src1_sel:DWORD
	s_and_b64 vcc, exec, s[0:1]
	s_cbranch_vccnz .LBB47_677
; %bb.670:
	v_mov_b32_e32 v4, 25
	v_cmp_gt_i16_sdwa s[0:1], v6, v4 src0_sel:BYTE_0 src1_sel:DWORD
	s_and_b64 vcc, exec, s[0:1]
	s_cbranch_vccz .LBB47_678
; %bb.671:
	v_mov_b32_e32 v4, 28
	v_cmp_gt_i16_sdwa s[0:1], v6, v4 src0_sel:BYTE_0 src1_sel:DWORD
	s_and_b64 vcc, exec, s[0:1]
	s_cbranch_vccz .LBB47_679
	;; [unrolled: 5-line block ×4, first 2 shown]
; %bb.674:
	v_mov_b32_e32 v4, 46
	v_cmp_eq_u16_sdwa s[48:49], v6, v4 src0_sel:BYTE_0 src1_sel:DWORD
	s_mov_b64 s[52:53], 0
	s_mov_b64 s[0:1], -1
	s_and_b64 vcc, exec, s[48:49]
	s_mov_b64 s[48:49], 0
	s_cbranch_vccz .LBB47_682
; %bb.675:
	v_and_b32_e32 v4, 0xffff, v2
	global_store_dword v[0:1], v4, off
	s_mov_b64 s[48:49], -1
	s_mov_b64 s[0:1], 0
	s_branch .LBB47_682
.LBB47_676:
	s_mov_b64 s[52:53], 0
                                        ; implicit-def: $vgpr8
	s_mov_b64 s[0:1], s[36:37]
	s_branch .LBB47_792
.LBB47_677:
	s_mov_b64 s[52:53], -1
	s_mov_b64 s[48:49], 0
	s_mov_b64 s[0:1], s[36:37]
	s_branch .LBB47_751
.LBB47_678:
	s_mov_b64 s[52:53], -1
	s_mov_b64 s[48:49], 0
	s_mov_b64 s[0:1], s[36:37]
	s_branch .LBB47_709
.LBB47_679:
	s_mov_b64 s[52:53], -1
	s_mov_b64 s[48:49], 0
	s_mov_b64 s[0:1], s[36:37]
	s_branch .LBB47_692
.LBB47_680:
	s_mov_b64 s[52:53], -1
	s_mov_b64 s[48:49], 0
	s_mov_b64 s[0:1], s[36:37]
	s_branch .LBB47_688
.LBB47_681:
	s_mov_b64 s[52:53], -1
	s_mov_b64 s[48:49], 0
	s_mov_b64 s[0:1], s[36:37]
.LBB47_682:
	s_and_b64 vcc, exec, s[52:53]
	s_cbranch_vccz .LBB47_687
; %bb.683:
	v_mov_b32_e32 v4, 44
	v_cmp_eq_u16_sdwa s[52:53], v6, v4 src0_sel:BYTE_0 src1_sel:DWORD
	s_mov_b64 s[0:1], -1
	s_and_b64 vcc, exec, s[52:53]
	s_cbranch_vccz .LBB47_687
; %bb.684:
	v_and_b32_e32 v5, 0xffff, v2
	v_bfe_u32 v4, v5, 7, 8
	s_movk_i32 s0, 0xff
	v_cmp_ne_u32_e32 vcc, s0, v4
	v_mov_b32_e32 v10, 0xff
	s_and_saveexec_b64 s[48:49], vcc
; %bb.685:
	v_lshlrev_b32_e32 v11, 16, v5
	s_mov_b32 s0, 0x3f0000
	v_lshrrev_b32_e32 v10, 7, v5
	v_and_b32_e32 v5, 64, v5
	v_and_or_b32 v4, v11, s0, v4
	v_cmp_ne_u32_e32 vcc, 0, v5
	v_cmp_ne_u32_e64 s[0:1], 0, v4
	s_and_b64 s[0:1], vcc, s[0:1]
	v_cndmask_b32_e64 v4, 0, 1, s[0:1]
	v_add_u32_e32 v10, v10, v4
; %bb.686:
	s_or_b64 exec, exec, s[48:49]
	s_mov_b64 s[48:49], -1
	s_mov_b64 s[0:1], 0
	global_store_byte v[0:1], v10, off
.LBB47_687:
	s_mov_b64 s[52:53], 0
.LBB47_688:
	s_and_b64 vcc, exec, s[52:53]
	s_cbranch_vccz .LBB47_691
; %bb.689:
	v_mov_b32_e32 v4, 29
	v_cmp_eq_u16_sdwa s[52:53], v6, v4 src0_sel:BYTE_0 src1_sel:DWORD
	s_mov_b64 s[0:1], -1
	s_and_b64 vcc, exec, s[52:53]
	s_cbranch_vccz .LBB47_691
; %bb.690:
	v_lshlrev_b32_e32 v4, 16, v2
	v_trunc_f32_e32 v4, v4
	v_mul_f32_e32 v5, 0x2f800000, v4
	v_floor_f32_e32 v10, v5
	v_fmac_f32_e32 v4, 0xcf800000, v10
	v_cvt_u32_f32_e32 v5, v10
	v_cvt_u32_f32_e32 v4, v4
	s_mov_b64 s[48:49], -1
	s_mov_b64 s[0:1], 0
	s_mov_b64 s[52:53], 0
	global_store_dwordx2 v[0:1], v[4:5], off
	s_branch .LBB47_692
.LBB47_691:
	s_mov_b64 s[52:53], 0
.LBB47_692:
	s_and_b64 vcc, exec, s[52:53]
	s_cbranch_vccz .LBB47_708
; %bb.693:
	v_mov_b32_e32 v4, 27
	v_cmp_lt_i16_sdwa s[52:53], v6, v4 src0_sel:BYTE_0 src1_sel:DWORD
	s_mov_b64 s[48:49], -1
	s_and_b64 vcc, exec, s[52:53]
	s_cbranch_vccnz .LBB47_699
; %bb.694:
	v_cmp_gt_i16_sdwa s[52:53], v6, v4 src0_sel:BYTE_0 src1_sel:DWORD
	s_and_b64 vcc, exec, s[52:53]
	s_cbranch_vccz .LBB47_696
; %bb.695:
	v_lshlrev_b32_e32 v4, 16, v2
	v_cvt_u32_f32_e32 v4, v4
	s_mov_b64 s[48:49], 0
	global_store_dword v[0:1], v4, off
.LBB47_696:
	s_andn2_b64 vcc, exec, s[48:49]
	s_cbranch_vccnz .LBB47_698
; %bb.697:
	v_lshlrev_b32_e32 v4, 16, v2
	v_cvt_u32_f32_e32 v4, v4
	global_store_short v[0:1], v4, off
.LBB47_698:
	s_mov_b64 s[48:49], 0
.LBB47_699:
	s_andn2_b64 vcc, exec, s[48:49]
	s_cbranch_vccnz .LBB47_707
; %bb.700:
	v_lshlrev_b32_e32 v10, 16, v2
	v_and_b32_e32 v5, 0x7fffffff, v10
	s_mov_b32 s48, 0x43800000
	v_cmp_gt_u32_e32 vcc, s48, v5
	v_mov_b32_e32 v11, 0x80
	s_and_saveexec_b64 s[48:49], vcc
	s_cbranch_execz .LBB47_706
; %bb.701:
	s_mov_b32 s52, 0x3bffffff
	v_and_b32_e32 v4, 0xffff, v2
	v_cmp_lt_u32_e32 vcc, s52, v5
	s_mov_b64 s[52:53], 0
                                        ; implicit-def: $vgpr5
	s_and_saveexec_b64 s[54:55], vcc
	s_xor_b64 s[54:55], exec, s[54:55]
	s_cbranch_execz .LBB47_819
; %bb.702:
	v_bfe_u32 v5, v4, 4, 1
	s_mov_b32 s56, 0x487ffff
	v_add3_u32 v5, v10, v5, s56
	s_mov_b64 s[52:53], exec
	v_lshrrev_b32_e32 v5, 20, v5
                                        ; implicit-def: $vgpr10
	s_or_saveexec_b64 s[54:55], s[54:55]
                                        ; implicit-def: $sgpr56
	s_xor_b64 exec, exec, s[54:55]
	s_cbranch_execnz .LBB47_820
.LBB47_703:
	s_or_b64 exec, exec, s[54:55]
	v_mov_b32_e32 v11, s56
	s_and_saveexec_b64 s[54:55], s[52:53]
.LBB47_704:
	v_lshrrev_b32_e32 v4, 8, v4
	s_movk_i32 s52, 0x80
	v_and_or_b32 v11, v4, s52, v5
.LBB47_705:
	s_or_b64 exec, exec, s[54:55]
.LBB47_706:
	s_or_b64 exec, exec, s[48:49]
	global_store_byte v[0:1], v11, off
.LBB47_707:
	s_mov_b64 s[48:49], -1
.LBB47_708:
	s_mov_b64 s[52:53], 0
.LBB47_709:
	s_and_b64 vcc, exec, s[52:53]
	s_cbranch_vccz .LBB47_750
; %bb.710:
	v_mov_b32_e32 v4, 22
	v_cmp_gt_i16_sdwa s[54:55], v6, v4 src0_sel:BYTE_0 src1_sel:DWORD
	s_mov_b64 s[52:53], -1
	s_and_b64 vcc, exec, s[54:55]
	s_cbranch_vccz .LBB47_742
; %bb.711:
	v_mov_b32_e32 v4, 24
	v_cmp_lt_i16_sdwa s[52:53], v6, v4 src0_sel:BYTE_0 src1_sel:DWORD
	s_mov_b64 s[48:49], -1
	s_and_b64 vcc, exec, s[52:53]
	s_cbranch_vccnz .LBB47_731
; %bb.712:
	v_cmp_gt_i16_sdwa s[52:53], v6, v4 src0_sel:BYTE_0 src1_sel:DWORD
	s_and_b64 vcc, exec, s[52:53]
	s_cbranch_vccz .LBB47_720
; %bb.713:
	v_lshlrev_b32_e32 v10, 16, v2
	v_and_b32_e32 v5, 0x7fffffff, v10
	s_mov_b32 s48, 0x47800000
	v_cmp_gt_u32_e32 vcc, s48, v5
	v_mov_b32_e32 v11, 0x80
	s_and_saveexec_b64 s[48:49], vcc
	s_cbranch_execz .LBB47_719
; %bb.714:
	s_mov_b32 s52, 0x37ffffff
	v_and_b32_e32 v4, 0xffff, v2
	v_cmp_lt_u32_e32 vcc, s52, v5
	s_mov_b64 s[52:53], 0
                                        ; implicit-def: $vgpr5
	s_and_saveexec_b64 s[54:55], vcc
	s_xor_b64 s[54:55], exec, s[54:55]
	s_cbranch_execz .LBB47_951
; %bb.715:
	v_bfe_u32 v5, v4, 5, 1
	s_mov_b32 s56, 0x88fffff
	v_add3_u32 v5, v10, v5, s56
	s_mov_b64 s[52:53], exec
	v_lshrrev_b32_e32 v5, 21, v5
                                        ; implicit-def: $vgpr10
	s_or_saveexec_b64 s[54:55], s[54:55]
                                        ; implicit-def: $sgpr56
	s_xor_b64 exec, exec, s[54:55]
	s_cbranch_execnz .LBB47_952
.LBB47_716:
	s_or_b64 exec, exec, s[54:55]
	v_mov_b32_e32 v11, s56
	s_and_saveexec_b64 s[54:55], s[52:53]
.LBB47_717:
	v_lshrrev_b32_e32 v4, 8, v4
	s_movk_i32 s52, 0x80
	v_and_or_b32 v11, v4, s52, v5
.LBB47_718:
	s_or_b64 exec, exec, s[54:55]
.LBB47_719:
	s_or_b64 exec, exec, s[48:49]
	s_mov_b64 s[48:49], 0
	global_store_byte v[0:1], v11, off
.LBB47_720:
	s_and_b64 vcc, exec, s[48:49]
	s_cbranch_vccz .LBB47_730
; %bb.721:
	v_lshlrev_b32_e32 v10, 16, v2
	v_and_b32_e32 v11, 0x7fffffff, v10
	s_mov_b32 s48, 0x43f00000
	v_and_b32_e32 v4, 0xffff, v2
	v_cmp_gt_u32_e32 vcc, s48, v11
                                        ; implicit-def: $vgpr5
	s_and_saveexec_b64 s[48:49], vcc
	s_xor_b64 s[48:49], exec, s[48:49]
	s_cbranch_execz .LBB47_727
; %bb.722:
	s_mov_b32 s52, 0x3c7fffff
	v_cmp_lt_u32_e32 vcc, s52, v11
                                        ; implicit-def: $vgpr5
	s_and_saveexec_b64 s[52:53], vcc
	s_xor_b64 s[52:53], exec, s[52:53]
; %bb.723:
	v_bfe_u32 v5, v4, 4, 1
	s_mov_b32 s54, 0x407ffff
	v_add3_u32 v5, v10, v5, s54
	v_lshrrev_b32_e32 v10, 20, v5
	v_and_b32_e32 v5, 0xff00000, v5
	s_mov_b32 s54, 0x7f00000
	v_mov_b32_e32 v11, 0x7e
	v_cmp_ne_u32_e32 vcc, s54, v5
	v_cndmask_b32_e32 v5, v11, v10, vcc
                                        ; implicit-def: $vgpr10
; %bb.724:
	s_andn2_saveexec_b64 s[52:53], s[52:53]
; %bb.725:
	s_mov_b32 s54, 0x46800000
	v_add_f32_e64 v5, |v10|, s54
; %bb.726:
	s_or_b64 exec, exec, s[52:53]
                                        ; implicit-def: $vgpr11
.LBB47_727:
	s_andn2_saveexec_b64 s[48:49], s[48:49]
; %bb.728:
	s_mov_b32 s52, 0x7f800000
	v_mov_b32_e32 v5, 0x7e
	v_mov_b32_e32 v10, 0x7f
	v_cmp_lt_u32_e32 vcc, s52, v11
	v_cndmask_b32_e32 v5, v5, v10, vcc
; %bb.729:
	s_or_b64 exec, exec, s[48:49]
	v_lshrrev_b32_e32 v4, 8, v4
	s_movk_i32 s48, 0x80
	v_and_or_b32 v4, v4, s48, v5
	global_store_byte v[0:1], v4, off
.LBB47_730:
	s_mov_b64 s[48:49], 0
.LBB47_731:
	s_andn2_b64 vcc, exec, s[48:49]
	s_cbranch_vccnz .LBB47_741
; %bb.732:
	v_lshlrev_b32_e32 v10, 16, v2
	v_and_b32_e32 v11, 0x7fffffff, v10
	s_mov_b32 s48, 0x47800000
	v_and_b32_e32 v4, 0xffff, v2
	v_cmp_gt_u32_e32 vcc, s48, v11
                                        ; implicit-def: $vgpr5
	s_and_saveexec_b64 s[48:49], vcc
	s_xor_b64 s[48:49], exec, s[48:49]
	s_cbranch_execz .LBB47_738
; %bb.733:
	s_mov_b32 s52, 0x387fffff
	v_cmp_lt_u32_e32 vcc, s52, v11
                                        ; implicit-def: $vgpr5
	s_and_saveexec_b64 s[52:53], vcc
	s_xor_b64 s[52:53], exec, s[52:53]
; %bb.734:
	v_bfe_u32 v5, v4, 5, 1
	s_mov_b32 s54, 0x80fffff
	v_add3_u32 v5, v10, v5, s54
	v_lshrrev_b32_e32 v5, 21, v5
                                        ; implicit-def: $vgpr10
; %bb.735:
	s_andn2_saveexec_b64 s[52:53], s[52:53]
; %bb.736:
	s_mov_b32 s54, 0x43000000
	v_add_f32_e64 v5, |v10|, s54
; %bb.737:
	s_or_b64 exec, exec, s[52:53]
                                        ; implicit-def: $vgpr11
.LBB47_738:
	s_andn2_saveexec_b64 s[48:49], s[48:49]
; %bb.739:
	s_mov_b32 s52, 0x7f800000
	v_mov_b32_e32 v5, 0x7c
	v_mov_b32_e32 v10, 0x7f
	v_cmp_lt_u32_e32 vcc, s52, v11
	v_cndmask_b32_e32 v5, v5, v10, vcc
; %bb.740:
	s_or_b64 exec, exec, s[48:49]
	v_lshrrev_b32_e32 v4, 8, v4
	s_movk_i32 s48, 0x80
	v_and_or_b32 v4, v4, s48, v5
	global_store_byte v[0:1], v4, off
.LBB47_741:
	s_mov_b64 s[52:53], 0
	s_mov_b64 s[48:49], -1
.LBB47_742:
	s_andn2_b64 vcc, exec, s[52:53]
	s_cbranch_vccnz .LBB47_750
; %bb.743:
	v_mov_b32_e32 v4, 14
	v_cmp_gt_i16_sdwa s[54:55], v6, v4 src0_sel:BYTE_0 src1_sel:DWORD
	s_mov_b64 s[52:53], -1
	s_and_b64 vcc, exec, s[54:55]
	s_cbranch_vccz .LBB47_747
; %bb.744:
	v_mov_b32_e32 v4, 15
	v_cmp_eq_u16_sdwa s[52:53], v6, v4 src0_sel:BYTE_0 src1_sel:DWORD
	s_mov_b64 s[0:1], -1
	s_and_b64 vcc, exec, s[52:53]
	s_cbranch_vccz .LBB47_746
; %bb.745:
	global_store_short v[0:1], v2, off
	s_mov_b64 s[48:49], -1
	s_mov_b64 s[0:1], 0
.LBB47_746:
	s_mov_b64 s[52:53], 0
.LBB47_747:
	s_and_b64 vcc, exec, s[52:53]
	s_cbranch_vccz .LBB47_750
; %bb.748:
	v_mov_b32_e32 v4, 11
	v_cmp_eq_u16_sdwa s[52:53], v6, v4 src0_sel:BYTE_0 src1_sel:DWORD
	s_mov_b64 s[0:1], -1
	s_and_b64 vcc, exec, s[52:53]
	s_cbranch_vccz .LBB47_750
; %bb.749:
	v_cmp_ne_u16_e32 vcc, 0, v3
	v_cndmask_b32_e64 v3, 0, 1, vcc
	s_mov_b64 s[48:49], -1
	s_mov_b64 s[0:1], 0
	global_store_byte v[0:1], v3, off
.LBB47_750:
	s_mov_b64 s[52:53], 0
.LBB47_751:
	s_and_b64 vcc, exec, s[52:53]
	s_cbranch_vccz .LBB47_790
; %bb.752:
	v_mov_b32_e32 v3, 5
	v_cmp_lt_i16_sdwa s[52:53], v6, v3 src0_sel:BYTE_0 src1_sel:DWORD
	s_mov_b64 s[48:49], -1
	s_and_b64 vcc, exec, s[52:53]
	s_cbranch_vccnz .LBB47_773
; %bb.753:
	v_mov_b32_e32 v3, 8
	v_cmp_lt_i16_sdwa s[52:53], v6, v3 src0_sel:BYTE_0 src1_sel:DWORD
	s_and_b64 vcc, exec, s[52:53]
	s_cbranch_vccnz .LBB47_763
; %bb.754:
	v_mov_b32_e32 v3, 9
	v_cmp_lt_i16_sdwa s[52:53], v6, v3 src0_sel:BYTE_0 src1_sel:DWORD
	s_and_b64 vcc, exec, s[52:53]
	s_cbranch_vccnz .LBB47_760
; %bb.755:
	v_cmp_gt_i16_sdwa s[52:53], v6, v3 src0_sel:BYTE_0 src1_sel:DWORD
	s_and_b64 vcc, exec, s[52:53]
	s_cbranch_vccz .LBB47_757
; %bb.756:
	v_lshlrev_b32_e32 v3, 16, v2
	v_mov_b32_e32 v12, 0
	v_cvt_f64_f32_e32 v[10:11], v3
	v_mov_b32_e32 v13, v12
	s_mov_b64 s[48:49], 0
	global_store_dwordx4 v[0:1], v[10:13], off
.LBB47_757:
	s_andn2_b64 vcc, exec, s[48:49]
	s_cbranch_vccnz .LBB47_759
; %bb.758:
	v_lshlrev_b32_e32 v4, 16, v2
	v_mov_b32_e32 v5, 0
	global_store_dwordx2 v[0:1], v[4:5], off
.LBB47_759:
	s_mov_b64 s[48:49], 0
.LBB47_760:
	s_andn2_b64 vcc, exec, s[48:49]
	s_cbranch_vccnz .LBB47_762
; %bb.761:
	v_lshlrev_b32_e32 v3, 16, v2
	v_cvt_f16_f32_e32 v3, v3
	global_store_dword v[0:1], v3, off
.LBB47_762:
	s_mov_b64 s[48:49], 0
.LBB47_763:
	s_andn2_b64 vcc, exec, s[48:49]
	s_cbranch_vccnz .LBB47_772
; %bb.764:
	v_mov_b32_e32 v3, 6
	v_cmp_lt_i16_sdwa s[52:53], v6, v3 src0_sel:BYTE_0 src1_sel:DWORD
	s_mov_b64 s[48:49], -1
	s_and_b64 vcc, exec, s[52:53]
	s_cbranch_vccnz .LBB47_770
; %bb.765:
	v_cmp_gt_i16_sdwa s[52:53], v6, v3 src0_sel:BYTE_0 src1_sel:DWORD
	s_and_b64 vcc, exec, s[52:53]
	s_cbranch_vccz .LBB47_767
; %bb.766:
	v_lshlrev_b32_e32 v3, 16, v2
	v_cvt_f64_f32_e32 v[4:5], v3
	s_mov_b64 s[48:49], 0
	global_store_dwordx2 v[0:1], v[4:5], off
.LBB47_767:
	s_andn2_b64 vcc, exec, s[48:49]
	s_cbranch_vccnz .LBB47_769
; %bb.768:
	v_lshlrev_b32_e32 v3, 16, v2
	global_store_dword v[0:1], v3, off
.LBB47_769:
	s_mov_b64 s[48:49], 0
.LBB47_770:
	s_andn2_b64 vcc, exec, s[48:49]
	s_cbranch_vccnz .LBB47_772
; %bb.771:
	v_lshlrev_b32_e32 v3, 16, v2
	v_cvt_f16_f32_e32 v3, v3
	global_store_short v[0:1], v3, off
.LBB47_772:
	s_mov_b64 s[48:49], 0
.LBB47_773:
	s_andn2_b64 vcc, exec, s[48:49]
	s_cbranch_vccnz .LBB47_789
; %bb.774:
	v_mov_b32_e32 v3, 2
	v_cmp_lt_i16_sdwa s[52:53], v6, v3 src0_sel:BYTE_0 src1_sel:DWORD
	s_mov_b64 s[48:49], -1
	s_and_b64 vcc, exec, s[52:53]
	s_cbranch_vccnz .LBB47_784
; %bb.775:
	v_mov_b32_e32 v3, 3
	v_cmp_lt_i16_sdwa s[52:53], v6, v3 src0_sel:BYTE_0 src1_sel:DWORD
	s_and_b64 vcc, exec, s[52:53]
	s_cbranch_vccnz .LBB47_781
; %bb.776:
	v_cmp_gt_i16_sdwa s[52:53], v6, v3 src0_sel:BYTE_0 src1_sel:DWORD
	s_and_b64 vcc, exec, s[52:53]
	s_cbranch_vccz .LBB47_778
; %bb.777:
	v_lshlrev_b32_e32 v3, 16, v2
	v_trunc_f32_e32 v3, v3
	s_mov_b32 s48, 0x2f800000
	v_mul_f32_e64 v4, |v3|, s48
	v_floor_f32_e32 v4, v4
	s_mov_b32 s48, 0xcf800000
	v_cvt_u32_f32_e32 v5, v4
	v_fma_f32 v4, v4, s48, |v3|
	v_cvt_u32_f32_e32 v4, v4
	v_ashrrev_i32_e32 v3, 31, v3
	v_xor_b32_e32 v5, v5, v3
	s_mov_b64 s[48:49], 0
	v_xor_b32_e32 v4, v4, v3
	v_sub_co_u32_e32 v4, vcc, v4, v3
	v_subb_co_u32_e32 v5, vcc, v5, v3, vcc
	global_store_dwordx2 v[0:1], v[4:5], off
.LBB47_778:
	s_andn2_b64 vcc, exec, s[48:49]
	s_cbranch_vccnz .LBB47_780
; %bb.779:
	v_lshlrev_b32_e32 v3, 16, v2
	v_cvt_i32_f32_e32 v3, v3
	global_store_dword v[0:1], v3, off
.LBB47_780:
	s_mov_b64 s[48:49], 0
.LBB47_781:
	s_andn2_b64 vcc, exec, s[48:49]
	s_cbranch_vccnz .LBB47_783
; %bb.782:
	v_lshlrev_b32_e32 v3, 16, v2
	v_cvt_i32_f32_e32 v3, v3
	global_store_short v[0:1], v3, off
.LBB47_783:
	s_mov_b64 s[48:49], 0
.LBB47_784:
	s_andn2_b64 vcc, exec, s[48:49]
	s_cbranch_vccnz .LBB47_789
; %bb.785:
	v_mov_b32_e32 v3, 0
	v_cmp_gt_i16_sdwa s[52:53], v6, v3 src0_sel:BYTE_0 src1_sel:DWORD
	s_mov_b64 s[48:49], -1
	s_and_b64 vcc, exec, s[52:53]
	v_lshlrev_b32_e32 v2, 16, v2
	s_cbranch_vccz .LBB47_787
; %bb.786:
	v_cvt_i32_f32_e32 v3, v2
	s_mov_b64 s[48:49], 0
	global_store_byte v[0:1], v3, off
.LBB47_787:
	s_andn2_b64 vcc, exec, s[48:49]
	s_cbranch_vccnz .LBB47_789
; %bb.788:
	v_trunc_f32_e32 v2, v2
	s_mov_b32 s48, 0x2f800000
	v_mul_f32_e64 v3, |v2|, s48
	v_floor_f32_e32 v3, v3
	s_mov_b32 s48, 0xcf800000
	v_fma_f32 v3, v3, s48, |v2|
	v_cvt_u32_f32_e32 v3, v3
	v_ashrrev_i32_e32 v2, 31, v2
	v_xor_b32_e32 v3, v3, v2
	v_sub_u32_e32 v2, v3, v2
	global_store_byte v[0:1], v2, off
.LBB47_789:
	s_mov_b64 s[48:49], -1
.LBB47_790:
	s_andn2_b64 vcc, exec, s[48:49]
	s_cbranch_vccnz .LBB47_814
; %bb.791:
	v_add_u32_e32 v8, 0x80, v8
	s_mov_b64 s[52:53], -1
.LBB47_792:
	s_andn2_b64 s[48:49], s[36:37], exec
	s_and_b64 s[0:1], s[0:1], exec
	s_or_b64 s[48:49], s[48:49], s[0:1]
	s_andn2_b64 s[0:1], s[38:39], exec
	s_and_b64 s[46:47], s[46:47], exec
	s_or_b64 s[46:47], s[0:1], s[46:47]
	;; [unrolled: 3-line block ×3, first 2 shown]
	s_orn2_b64 s[0:1], s[52:53], exec
.LBB47_793:
	s_or_b64 exec, exec, s[50:51]
	s_mov_b64 s[52:53], 0
	s_mov_b64 s[54:55], 0
	s_mov_b64 s[56:57], 0
                                        ; implicit-def: $vgpr3
                                        ; implicit-def: $vgpr4_vgpr5
                                        ; implicit-def: $vgpr2
                                        ; implicit-def: $vgpr0
                                        ; implicit-def: $vgpr1
	s_and_saveexec_b64 s[50:51], s[0:1]
	s_cbranch_execz .LBB47_1288
; %bb.794:
	v_cmp_gt_i32_e32 vcc, s66, v8
	s_mov_b64 s[64:65], -1
	s_mov_b64 s[0:1], s[44:45]
	s_mov_b64 s[56:57], s[46:47]
	;; [unrolled: 1-line block ×3, first 2 shown]
	s_and_saveexec_b64 s[52:53], vcc
	s_cbranch_execz .LBB47_1193
; %bb.795:
	s_andn2_b64 vcc, exec, s[20:21]
	s_cbranch_vccnz .LBB47_802
; %bb.796:
	s_andn2_b64 vcc, exec, s[34:35]
	v_mov_b32_e32 v2, 0
	s_waitcnt vmcnt(0)
	v_mov_b32_e32 v4, 0
	v_mov_b32_e32 v0, 0
	s_cbranch_vccnz .LBB47_801
; %bb.797:
	s_add_i32 s0, s69, 1
	s_and_b32 s54, s0, 30
	s_add_u32 s0, s2, 0xffffffec
	s_addc_u32 s1, s3, -1
	v_mov_b32_e32 v0, 0
	v_mov_b32_e32 v1, v8
	;; [unrolled: 1-line block ×4, first 2 shown]
.LBB47_798:                             ; =>This Inner Loop Header: Depth=1
	s_mov_b64 s[64:65], s[0:1]
	s_load_dwordx4 s[56:59], s[64:65], 0x18
	s_load_dwordx2 s[70:71], s[64:65], 0x28
	s_load_dwordx2 s[72:73], s[64:65], 0xe8
	s_load_dwordx4 s[60:63], s[64:65], 0xd8
	s_add_u32 s0, s64, 24
	s_waitcnt lgkmcnt(0)
	v_mul_hi_u32 v3, s57, v1
	v_add_u32_e32 v3, v1, v3
	v_lshrrev_b32_e32 v3, s58, v3
	v_mul_lo_u32 v5, v3, s56
	v_mul_hi_u32 v10, s70, v3
	v_sub_u32_e32 v1, v1, v5
	v_add_u32_e32 v5, v3, v10
	v_mul_lo_u32 v10, v1, s60
	v_mul_lo_u32 v11, v1, s61
	;; [unrolled: 1-line block ×3, first 2 shown]
	v_lshrrev_b32_e32 v1, s71, v5
	v_mul_lo_u32 v5, v1, s59
	v_sub_u32_e32 v3, v3, v5
	s_addc_u32 s1, s65, 0
	s_add_i32 s54, s54, -2
	v_mul_lo_u32 v5, v3, s63
	v_mul_lo_u32 v13, v3, s72
	;; [unrolled: 1-line block ×3, first 2 shown]
	s_cmp_eq_u32 s54, 0
	v_add3_u32 v0, v10, v0, v5
	v_add3_u32 v2, v12, v2, v3
	;; [unrolled: 1-line block ×3, first 2 shown]
	s_cbranch_scc0 .LBB47_798
; %bb.799:
	s_bitcmp1_b32 s69, 0
	s_cselect_b64 s[54:55], -1, 0
	s_and_b64 vcc, exec, s[54:55]
	s_cbranch_vccnz .LBB47_801
; %bb.800:
	s_load_dwordx2 s[54:55], s[0:1], 0x18
	s_load_dword s56, s[0:1], 0x20
	s_load_dword s57, s[0:1], 0xe0
	s_nop 0
	s_load_dwordx2 s[0:1], s[0:1], 0xd8
	s_waitcnt lgkmcnt(0)
	v_mul_hi_u32 v3, s55, v1
	v_add_u32_e32 v3, v1, v3
	v_lshrrev_b32_e32 v3, s56, v3
	v_mul_lo_u32 v3, v3, s54
	v_sub_u32_e32 v3, v1, v3
	v_mad_u64_u32 v[0:1], s[54:55], v3, s0, v[0:1]
	v_mad_u64_u32 v[4:5], s[0:1], v3, s1, v[4:5]
	;; [unrolled: 1-line block ×3, first 2 shown]
.LBB47_801:
	s_mov_b64 s[0:1], 0
	s_branch .LBB47_803
.LBB47_802:
	s_mov_b64 s[0:1], -1
                                        ; implicit-def: $vgpr2
                                        ; implicit-def: $vgpr4
                                        ; implicit-def: $vgpr0
.LBB47_803:
	s_andn2_b64 vcc, exec, s[0:1]
	s_cbranch_vccnz .LBB47_806
; %bb.804:
	s_waitcnt lgkmcnt(0)
	v_mul_hi_u32 v0, s17, v8
	v_add_u32_e32 v0, v8, v0
	s_waitcnt vmcnt(0)
	v_lshrrev_b32_e32 v1, s18, v0
	v_mul_lo_u32 v0, v1, s16
	v_sub_u32_e32 v3, v8, v0
	v_mul_lo_u32 v0, v3, s12
	v_mul_lo_u32 v2, v3, s14
	s_andn2_b64 vcc, exec, s[30:31]
	v_mul_lo_u32 v4, v3, s13
	s_cbranch_vccnz .LBB47_806
; %bb.805:
	v_mul_hi_u32 v3, s28, v1
	v_add_u32_e32 v3, v1, v3
	v_lshrrev_b32_e32 v3, s29, v3
	v_mul_lo_u32 v3, v3, s19
	v_sub_u32_e32 v3, v1, v3
	v_mad_u64_u32 v[0:1], s[0:1], v3, s15, v[0:1]
	v_mad_u64_u32 v[4:5], s[0:1], v3, s26, v[4:5]
	;; [unrolled: 1-line block ×3, first 2 shown]
.LBB47_806:
	s_waitcnt vmcnt(0) lgkmcnt(0)
	v_mov_b32_e32 v1, s11
	v_add_co_u32_e32 v4, vcc, s10, v4
	v_addc_co_u32_e32 v5, vcc, 0, v1, vcc
	v_mov_b32_e32 v1, 11
	v_cmp_lt_i16_sdwa s[0:1], v9, v1 src0_sel:BYTE_0 src1_sel:DWORD
	s_and_b64 vcc, exec, s[0:1]
	s_cbranch_vccnz .LBB47_813
; %bb.807:
	v_mov_b32_e32 v1, 25
	v_cmp_gt_i16_sdwa s[0:1], v9, v1 src0_sel:BYTE_0 src1_sel:DWORD
	s_and_b64 vcc, exec, s[0:1]
	s_cbranch_vccz .LBB47_815
; %bb.808:
	v_mov_b32_e32 v1, 28
	v_cmp_gt_i16_sdwa s[0:1], v9, v1 src0_sel:BYTE_0 src1_sel:DWORD
	s_and_b64 vcc, exec, s[0:1]
	s_cbranch_vccz .LBB47_816
	;; [unrolled: 5-line block ×4, first 2 shown]
; %bb.811:
	v_mov_b32_e32 v1, 46
	v_cmp_eq_u16_sdwa s[0:1], v9, v1 src0_sel:BYTE_0 src1_sel:DWORD
	s_mov_b64 s[56:57], 0
	s_and_b64 vcc, exec, s[0:1]
	s_cbranch_vccz .LBB47_821
; %bb.812:
	global_load_dword v1, v[4:5], off
	s_mov_b64 s[0:1], -1
	s_mov_b64 s[54:55], 0
	s_branch .LBB47_822
.LBB47_813:
	s_mov_b64 s[56:57], -1
	s_mov_b64 s[0:1], 0
                                        ; implicit-def: $vgpr1
	s_mov_b64 s[54:55], s[44:45]
	s_branch .LBB47_887
.LBB47_814:
	s_mov_b64 s[52:53], 0
	s_branch .LBB47_550
.LBB47_815:
	s_mov_b64 s[56:57], -1
	s_mov_b64 s[0:1], 0
	s_mov_b64 s[54:55], s[44:45]
                                        ; implicit-def: $vgpr1
	s_branch .LBB47_851
.LBB47_816:
	s_mov_b64 s[56:57], -1
	s_mov_b64 s[0:1], 0
	s_mov_b64 s[54:55], s[44:45]
                                        ; implicit-def: $vgpr1
	s_branch .LBB47_832
.LBB47_817:
	s_mov_b64 s[56:57], -1
	s_mov_b64 s[0:1], 0
	s_mov_b64 s[54:55], s[44:45]
                                        ; implicit-def: $vgpr1
	s_branch .LBB47_827
.LBB47_818:
	s_mov_b64 s[56:57], -1
	s_mov_b64 s[0:1], 0
	s_mov_b64 s[54:55], s[44:45]
                                        ; implicit-def: $vgpr1
	s_branch .LBB47_822
.LBB47_819:
	s_or_saveexec_b64 s[54:55], s[54:55]
                                        ; implicit-def: $sgpr56
	s_xor_b64 exec, exec, s[54:55]
	s_cbranch_execz .LBB47_703
.LBB47_820:
	s_mov_b32 s56, 0x46000000
	v_add_f32_e64 v5, |v10|, s56
	v_and_b32_e32 v5, 0xff, v5
	v_cmp_ne_u32_e32 vcc, 0, v5
	s_andn2_b64 s[52:53], s[52:53], exec
	s_and_b64 s[58:59], vcc, exec
	s_mov_b32 s56, 0
	s_or_b64 s[52:53], s[52:53], s[58:59]
	s_or_b64 exec, exec, s[54:55]
	v_mov_b32_e32 v11, s56
	s_and_saveexec_b64 s[54:55], s[52:53]
	s_cbranch_execnz .LBB47_704
	s_branch .LBB47_705
.LBB47_821:
	s_mov_b64 s[54:55], -1
                                        ; implicit-def: $vgpr1
	s_mov_b64 s[0:1], 0
.LBB47_822:
	s_and_b64 vcc, exec, s[56:57]
	s_cbranch_vccz .LBB47_826
; %bb.823:
	s_waitcnt vmcnt(0)
	v_mov_b32_e32 v1, 44
	v_cmp_eq_u16_sdwa s[54:55], v9, v1 src0_sel:BYTE_0 src1_sel:DWORD
	s_and_b64 vcc, exec, s[54:55]
	s_cbranch_vccz .LBB47_825
; %bb.824:
	global_load_ubyte v1, v[4:5], off
	s_movk_i32 s54, 0xff
	v_mov_b32_e32 v3, 0x7f800001
	v_mov_b32_e32 v10, 0x400000
	;; [unrolled: 1-line block ×3, first 2 shown]
	s_mov_b64 s[0:1], -1
	s_waitcnt vmcnt(0)
	v_lshlrev_b32_e32 v12, 23, v1
	v_cmp_ne_u32_e32 vcc, s54, v1
	v_cndmask_b32_e32 v3, v3, v12, vcc
	v_cmp_ne_u32_e32 vcc, 0, v1
	v_cndmask_b32_e32 v1, v10, v3, vcc
	v_add_u32_e32 v3, 0x7fff, v1
	v_lshrrev_b32_e32 v3, 16, v3
	v_cmp_o_f32_e32 vcc, v1, v1
	v_cndmask_b32_e32 v1, v11, v3, vcc
	s_mov_b64 s[54:55], 0
	s_branch .LBB47_826
.LBB47_825:
	s_mov_b64 s[54:55], -1
                                        ; implicit-def: $vgpr1
.LBB47_826:
	s_mov_b64 s[56:57], 0
.LBB47_827:
	s_and_b64 vcc, exec, s[56:57]
	s_cbranch_vccz .LBB47_831
; %bb.828:
	s_waitcnt vmcnt(0)
	v_mov_b32_e32 v1, 29
	v_cmp_eq_u16_sdwa s[54:55], v9, v1 src0_sel:BYTE_0 src1_sel:DWORD
	s_and_b64 vcc, exec, s[54:55]
	s_cbranch_vccz .LBB47_830
; %bb.829:
	global_load_dwordx2 v[10:11], v[4:5], off
	s_movk_i32 s54, 0x7fff
	s_mov_b64 s[0:1], -1
	s_mov_b64 s[56:57], 0
	s_waitcnt vmcnt(0)
	v_ffbh_u32_e32 v1, v11
	v_min_u32_e32 v1, 32, v1
	v_lshlrev_b64 v[10:11], v1, v[10:11]
	v_min_u32_e32 v3, 1, v10
	v_or_b32_e32 v3, v11, v3
	v_cvt_f32_u32_e32 v3, v3
	v_sub_u32_e32 v1, 32, v1
	v_ldexp_f32 v1, v3, v1
	v_bfe_u32 v3, v1, 16, 1
	v_add3_u32 v1, v1, v3, s54
	v_lshrrev_b32_e32 v1, 16, v1
	s_mov_b64 s[54:55], 0
	s_branch .LBB47_832
.LBB47_830:
	s_mov_b64 s[54:55], -1
                                        ; implicit-def: $vgpr1
.LBB47_831:
	s_mov_b64 s[56:57], 0
.LBB47_832:
	s_and_b64 vcc, exec, s[56:57]
	s_cbranch_vccz .LBB47_850
; %bb.833:
	s_waitcnt vmcnt(0)
	v_mov_b32_e32 v1, 27
	v_cmp_lt_i16_sdwa s[0:1], v9, v1 src0_sel:BYTE_0 src1_sel:DWORD
	s_and_b64 vcc, exec, s[0:1]
	s_cbranch_vccnz .LBB47_836
; %bb.834:
	v_cmp_gt_i16_sdwa s[0:1], v9, v1 src0_sel:BYTE_0 src1_sel:DWORD
	s_and_b64 vcc, exec, s[0:1]
	s_cbranch_vccz .LBB47_837
; %bb.835:
	global_load_dword v1, v[4:5], off
	s_movk_i32 s0, 0x7fff
	s_waitcnt vmcnt(0)
	v_cvt_f32_u32_e32 v1, v1
	v_bfe_u32 v3, v1, 16, 1
	v_add3_u32 v1, v1, v3, s0
	v_lshrrev_b32_e32 v1, 16, v1
	s_mov_b64 s[0:1], 0
	s_branch .LBB47_838
.LBB47_836:
	s_mov_b64 s[0:1], -1
                                        ; implicit-def: $vgpr1
	s_branch .LBB47_841
.LBB47_837:
	s_mov_b64 s[0:1], -1
                                        ; implicit-def: $vgpr1
.LBB47_838:
	s_andn2_b64 vcc, exec, s[0:1]
	s_cbranch_vccnz .LBB47_840
; %bb.839:
	global_load_ushort v1, v[4:5], off
	s_movk_i32 s0, 0x7fff
	s_waitcnt vmcnt(0)
	v_cvt_f32_u32_e32 v1, v1
	v_bfe_u32 v3, v1, 16, 1
	v_add3_u32 v1, v1, v3, s0
	v_lshrrev_b32_e32 v1, 16, v1
.LBB47_840:
	s_mov_b64 s[0:1], 0
.LBB47_841:
	s_andn2_b64 vcc, exec, s[0:1]
	s_cbranch_vccnz .LBB47_849
; %bb.842:
	global_load_ubyte v1, v[4:5], off
	s_movk_i32 s0, 0x7f
                                        ; implicit-def: $sgpr60
	s_waitcnt vmcnt(0)
	v_cmp_lt_i16_e32 vcc, s0, v1
	s_mov_b64 s[0:1], 0
	s_and_saveexec_b64 s[56:57], vcc
	s_xor_b64 s[56:57], exec, s[56:57]
	s_cbranch_execz .LBB47_863
; %bb.843:
	s_movk_i32 s0, 0x80
	v_cmp_eq_u16_e32 vcc, s0, v1
	s_mov_b64 s[0:1], -1
                                        ; implicit-def: $sgpr60
	s_and_saveexec_b64 s[58:59], vcc
; %bb.844:
	s_mov_b32 s60, 0x7f800001
	s_xor_b64 s[0:1], exec, -1
; %bb.845:
	s_or_b64 exec, exec, s[58:59]
	s_and_b64 s[0:1], s[0:1], exec
	s_or_saveexec_b64 s[56:57], s[56:57]
	v_mov_b32_e32 v3, s60
	s_xor_b64 exec, exec, s[56:57]
	s_cbranch_execnz .LBB47_864
.LBB47_846:
	s_or_b64 exec, exec, s[56:57]
	s_and_saveexec_b64 s[56:57], s[0:1]
	s_cbranch_execz .LBB47_848
.LBB47_847:
	v_lshlrev_b32_e32 v3, 24, v1
	v_and_b32_e32 v1, 0xffff, v1
	v_and_b32_e32 v10, 7, v1
	v_ffbh_u32_e32 v12, v10
	v_min_u32_e32 v12, 32, v12
	v_subrev_u32_e32 v13, 28, v12
	v_bfe_u32 v11, v1, 3, 4
	v_lshlrev_b32_e32 v1, v13, v1
	v_sub_u32_e32 v12, 29, v12
	v_and_b32_e32 v1, 7, v1
	v_cmp_eq_u32_e32 vcc, 0, v11
	v_cndmask_b32_e32 v11, v11, v12, vcc
	v_cndmask_b32_e32 v1, v10, v1, vcc
	v_mov_b32_e32 v10, 0x3b800000
	v_lshlrev_b32_e32 v1, 20, v1
	v_and_b32_e32 v3, 0x80000000, v3
	v_lshl_add_u32 v10, v11, 23, v10
	v_or3_b32 v3, v3, v10, v1
.LBB47_848:
	s_or_b64 exec, exec, s[56:57]
	v_bfe_u32 v1, v3, 16, 1
	s_movk_i32 s0, 0x7fff
	v_add3_u32 v1, v3, v1, s0
	v_lshrrev_b32_e32 v1, 16, v1
	v_mov_b32_e32 v10, 0x7fc0
	v_cmp_o_f32_e32 vcc, v3, v3
	v_cndmask_b32_e32 v1, v10, v1, vcc
.LBB47_849:
	s_mov_b64 s[0:1], -1
.LBB47_850:
	s_mov_b64 s[56:57], 0
.LBB47_851:
	s_and_b64 vcc, exec, s[56:57]
	s_cbranch_vccz .LBB47_886
; %bb.852:
	s_waitcnt vmcnt(0)
	v_mov_b32_e32 v1, 22
	v_cmp_gt_i16_sdwa s[56:57], v9, v1 src0_sel:BYTE_0 src1_sel:DWORD
	s_and_b64 vcc, exec, s[56:57]
	s_cbranch_vccz .LBB47_862
; %bb.853:
	v_mov_b32_e32 v1, 24
	v_cmp_lt_i16_sdwa s[0:1], v9, v1 src0_sel:BYTE_0 src1_sel:DWORD
	s_and_b64 vcc, exec, s[0:1]
	s_cbranch_vccnz .LBB47_865
; %bb.854:
	v_cmp_gt_i16_sdwa s[0:1], v9, v1 src0_sel:BYTE_0 src1_sel:DWORD
	s_and_b64 vcc, exec, s[0:1]
	s_cbranch_vccz .LBB47_866
; %bb.855:
	global_load_ubyte v1, v[4:5], off
	s_movk_i32 s0, 0x7f
                                        ; implicit-def: $sgpr60
	s_waitcnt vmcnt(0)
	v_cmp_lt_i16_e32 vcc, s0, v1
	s_mov_b64 s[0:1], 0
	s_and_saveexec_b64 s[56:57], vcc
	s_xor_b64 s[56:57], exec, s[56:57]
	s_cbranch_execz .LBB47_878
; %bb.856:
	s_movk_i32 s0, 0x80
	v_cmp_eq_u16_e32 vcc, s0, v1
	s_mov_b64 s[0:1], -1
                                        ; implicit-def: $sgpr60
	s_and_saveexec_b64 s[58:59], vcc
; %bb.857:
	s_mov_b32 s60, 0x7f800001
	s_xor_b64 s[0:1], exec, -1
; %bb.858:
	s_or_b64 exec, exec, s[58:59]
	s_and_b64 s[0:1], s[0:1], exec
	s_or_saveexec_b64 s[56:57], s[56:57]
	v_mov_b32_e32 v3, s60
	s_xor_b64 exec, exec, s[56:57]
	s_cbranch_execnz .LBB47_879
.LBB47_859:
	s_or_b64 exec, exec, s[56:57]
	s_and_saveexec_b64 s[56:57], s[0:1]
	s_cbranch_execz .LBB47_861
.LBB47_860:
	v_lshlrev_b32_e32 v3, 24, v1
	v_and_b32_e32 v1, 0xffff, v1
	v_and_b32_e32 v10, 3, v1
	v_ffbh_u32_e32 v12, v10
	v_min_u32_e32 v12, 32, v12
	v_subrev_u32_e32 v13, 29, v12
	v_bfe_u32 v11, v1, 2, 5
	v_lshlrev_b32_e32 v1, v13, v1
	v_sub_u32_e32 v12, 30, v12
	v_and_b32_e32 v1, 3, v1
	v_cmp_eq_u32_e32 vcc, 0, v11
	v_cndmask_b32_e32 v11, v11, v12, vcc
	v_cndmask_b32_e32 v1, v10, v1, vcc
	v_mov_b32_e32 v10, 0x37800000
	v_lshlrev_b32_e32 v1, 21, v1
	v_and_b32_e32 v3, 0x80000000, v3
	v_lshl_add_u32 v10, v11, 23, v10
	v_or3_b32 v3, v3, v10, v1
.LBB47_861:
	s_or_b64 exec, exec, s[56:57]
	v_bfe_u32 v1, v3, 16, 1
	s_movk_i32 s0, 0x7fff
	v_add3_u32 v1, v3, v1, s0
	v_lshrrev_b32_e32 v1, 16, v1
	v_mov_b32_e32 v10, 0x7fc0
	v_cmp_o_f32_e32 vcc, v3, v3
	v_cndmask_b32_e32 v1, v10, v1, vcc
	s_mov_b64 s[0:1], 0
	s_branch .LBB47_867
.LBB47_862:
	s_mov_b64 s[56:57], -1
                                        ; implicit-def: $vgpr1
	s_branch .LBB47_873
.LBB47_863:
	s_or_saveexec_b64 s[56:57], s[56:57]
	v_mov_b32_e32 v3, s60
	s_xor_b64 exec, exec, s[56:57]
	s_cbranch_execz .LBB47_846
.LBB47_864:
	v_cmp_ne_u16_e32 vcc, 0, v1
	s_andn2_b64 s[0:1], s[0:1], exec
	s_and_b64 s[58:59], vcc, exec
	v_mov_b32_e32 v3, 0
	s_or_b64 s[0:1], s[0:1], s[58:59]
	s_or_b64 exec, exec, s[56:57]
	s_and_saveexec_b64 s[56:57], s[0:1]
	s_cbranch_execnz .LBB47_847
	s_branch .LBB47_848
.LBB47_865:
	s_mov_b64 s[0:1], -1
                                        ; implicit-def: $vgpr1
	s_branch .LBB47_870
.LBB47_866:
	s_mov_b64 s[0:1], -1
                                        ; implicit-def: $vgpr1
.LBB47_867:
	s_and_b64 vcc, exec, s[0:1]
	s_cbranch_vccz .LBB47_869
; %bb.868:
	global_load_ubyte v1, v[4:5], off
	s_mov_b32 s0, 0x7f800000
	s_brev_b32 s1, 1
	s_movk_i32 s56, 0x7fff
	v_mov_b32_e32 v3, 0x7fc0
	s_waitcnt vmcnt(0)
	v_lshlrev_b32_e32 v1, 24, v1
	v_and_b32_e32 v10, 0x7f000000, v1
	v_ffbh_u32_e32 v11, v10
	v_min_u32_e32 v11, 32, v11
	v_sub_u32_e64 v11, v11, 4 clamp
	v_lshlrev_b32_e32 v13, v11, v10
	v_lshlrev_b32_e32 v11, 23, v11
	v_lshrrev_b32_e32 v13, 4, v13
	v_add_u32_e32 v12, 0x1000000, v10
	v_sub_u32_e32 v11, v13, v11
	v_ashrrev_i32_e32 v12, 8, v12
	v_add_u32_e32 v11, 0x3c000000, v11
	v_and_or_b32 v11, v12, s0, v11
	v_cmp_ne_u32_e32 vcc, 0, v10
	v_cndmask_b32_e32 v10, 0, v11, vcc
	v_and_or_b32 v1, v1, s1, v10
	v_bfe_u32 v10, v10, 16, 1
	v_add3_u32 v10, v1, v10, s56
	v_lshrrev_b32_e32 v10, 16, v10
	v_cmp_o_f32_e32 vcc, v1, v1
	v_cndmask_b32_e32 v1, v3, v10, vcc
.LBB47_869:
	s_mov_b64 s[0:1], 0
.LBB47_870:
	s_andn2_b64 vcc, exec, s[0:1]
	s_cbranch_vccnz .LBB47_872
; %bb.871:
	global_load_ubyte v1, v[4:5], off
	s_movk_i32 s0, 0x7f00
	s_brev_b32 s1, 16
	s_brev_b32 s56, 1
	s_movk_i32 s57, 0x7fff
	v_mov_b32_e32 v3, 0x7fc0
	s_waitcnt vmcnt(0)
	v_lshlrev_b16_e32 v10, 8, v1
	v_lshlrev_b32_e32 v1, 25, v1
	v_lshrrev_b32_e32 v11, 4, v1
	v_and_or_b32 v12, v10, s0, 0.5
	v_or_b32_e32 v11, 0x70000000, v11
	v_add_f32_e32 v12, -0.5, v12
	v_mul_f32_e32 v11, 0x7800000, v11
	v_cmp_gt_u32_e32 vcc, s1, v1
	v_bfe_i32 v10, v10, 0, 16
	v_cndmask_b32_e32 v1, v11, v12, vcc
	v_and_or_b32 v10, v10, s56, v1
	v_bfe_u32 v1, v1, 16, 1
	v_add3_u32 v1, v10, v1, s57
	v_lshrrev_b32_e32 v1, 16, v1
	v_cmp_o_f32_e32 vcc, v10, v10
	v_cndmask_b32_e32 v1, v3, v1, vcc
.LBB47_872:
	s_mov_b64 s[56:57], 0
	s_mov_b64 s[0:1], -1
.LBB47_873:
	s_andn2_b64 vcc, exec, s[56:57]
	s_cbranch_vccnz .LBB47_886
; %bb.874:
	v_mov_b32_e32 v1, 14
	v_cmp_gt_i16_sdwa s[56:57], v9, v1 src0_sel:BYTE_0 src1_sel:DWORD
	s_and_b64 vcc, exec, s[56:57]
	s_cbranch_vccz .LBB47_877
; %bb.875:
	v_mov_b32_e32 v1, 15
	v_cmp_eq_u16_sdwa s[54:55], v9, v1 src0_sel:BYTE_0 src1_sel:DWORD
	s_and_b64 vcc, exec, s[54:55]
	s_cbranch_vccz .LBB47_880
; %bb.876:
	global_load_ushort v1, v[4:5], off
	s_mov_b64 s[0:1], -1
	s_mov_b64 s[54:55], 0
	s_branch .LBB47_881
.LBB47_877:
	s_mov_b64 s[56:57], -1
                                        ; implicit-def: $vgpr1
	s_branch .LBB47_882
.LBB47_878:
	s_or_saveexec_b64 s[56:57], s[56:57]
	v_mov_b32_e32 v3, s60
	s_xor_b64 exec, exec, s[56:57]
	s_cbranch_execz .LBB47_859
.LBB47_879:
	v_cmp_ne_u16_e32 vcc, 0, v1
	s_andn2_b64 s[0:1], s[0:1], exec
	s_and_b64 s[58:59], vcc, exec
	v_mov_b32_e32 v3, 0
	s_or_b64 s[0:1], s[0:1], s[58:59]
	s_or_b64 exec, exec, s[56:57]
	s_and_saveexec_b64 s[56:57], s[0:1]
	s_cbranch_execnz .LBB47_860
	s_branch .LBB47_861
.LBB47_880:
	s_mov_b64 s[54:55], -1
                                        ; implicit-def: $vgpr1
.LBB47_881:
	s_mov_b64 s[56:57], 0
.LBB47_882:
	s_and_b64 vcc, exec, s[56:57]
	s_cbranch_vccz .LBB47_886
; %bb.883:
	s_waitcnt vmcnt(0)
	v_mov_b32_e32 v1, 11
	v_cmp_eq_u16_sdwa s[54:55], v9, v1 src0_sel:BYTE_0 src1_sel:DWORD
	s_and_b64 vcc, exec, s[54:55]
	s_cbranch_vccz .LBB47_885
; %bb.884:
	global_load_ubyte v1, v[4:5], off
	s_mov_b64 s[0:1], -1
	s_mov_b64 s[54:55], 0
	s_waitcnt vmcnt(0)
	v_cmp_ne_u16_e32 vcc, 0, v1
	v_cndmask_b32_e64 v1, 0, 1.0, vcc
	v_lshrrev_b32_e32 v1, 16, v1
	s_branch .LBB47_886
.LBB47_885:
	s_mov_b64 s[54:55], -1
                                        ; implicit-def: $vgpr1
.LBB47_886:
	s_mov_b64 s[56:57], 0
.LBB47_887:
	s_and_b64 vcc, exec, s[56:57]
	s_cbranch_vccz .LBB47_936
; %bb.888:
	s_waitcnt vmcnt(0)
	v_mov_b32_e32 v1, 5
	v_cmp_lt_i16_sdwa s[0:1], v9, v1 src0_sel:BYTE_0 src1_sel:DWORD
	s_and_b64 vcc, exec, s[0:1]
	s_cbranch_vccnz .LBB47_893
; %bb.889:
	v_mov_b32_e32 v1, 8
	v_cmp_lt_i16_sdwa s[0:1], v9, v1 src0_sel:BYTE_0 src1_sel:DWORD
	s_and_b64 vcc, exec, s[0:1]
	s_cbranch_vccnz .LBB47_894
; %bb.890:
	;; [unrolled: 5-line block ×3, first 2 shown]
	v_cmp_gt_i16_sdwa s[0:1], v9, v1 src0_sel:BYTE_0 src1_sel:DWORD
	s_and_b64 vcc, exec, s[0:1]
	s_cbranch_vccz .LBB47_896
; %bb.892:
	global_load_dwordx2 v[10:11], v[4:5], off
	s_movk_i32 s0, 0x7fff
	v_mov_b32_e32 v1, 0x7fc0
	s_waitcnt vmcnt(0)
	v_cvt_f32_f64_e32 v3, v[10:11]
	v_bfe_u32 v10, v3, 16, 1
	v_add3_u32 v10, v3, v10, s0
	v_lshrrev_b32_e32 v10, 16, v10
	v_cmp_o_f32_e32 vcc, v3, v3
	v_cndmask_b32_e32 v1, v1, v10, vcc
	s_mov_b64 s[0:1], 0
	s_branch .LBB47_897
.LBB47_893:
	s_mov_b64 s[0:1], -1
                                        ; implicit-def: $vgpr1
	s_branch .LBB47_915
.LBB47_894:
	s_mov_b64 s[0:1], -1
                                        ; implicit-def: $vgpr1
	s_branch .LBB47_903
.LBB47_895:
	s_mov_b64 s[0:1], -1
                                        ; implicit-def: $vgpr1
	s_branch .LBB47_900
.LBB47_896:
	s_mov_b64 s[0:1], -1
                                        ; implicit-def: $vgpr1
.LBB47_897:
	s_andn2_b64 vcc, exec, s[0:1]
	s_cbranch_vccnz .LBB47_899
; %bb.898:
	global_load_dword v1, v[4:5], off
	s_movk_i32 s0, 0x7fff
	v_mov_b32_e32 v3, 0x7fc0
	s_waitcnt vmcnt(0)
	v_bfe_u32 v10, v1, 16, 1
	v_add3_u32 v10, v1, v10, s0
	v_lshrrev_b32_e32 v10, 16, v10
	v_cmp_o_f32_e32 vcc, v1, v1
	v_cndmask_b32_e32 v1, v3, v10, vcc
.LBB47_899:
	s_mov_b64 s[0:1], 0
.LBB47_900:
	s_andn2_b64 vcc, exec, s[0:1]
	s_cbranch_vccnz .LBB47_902
; %bb.901:
	global_load_dword v1, v[4:5], off
	s_movk_i32 s0, 0x7fff
	v_mov_b32_e32 v10, 0x7fc0
	s_waitcnt vmcnt(0)
	v_cvt_f32_f16_e32 v3, v1
	v_cmp_o_f16_e32 vcc, v1, v1
	v_bfe_u32 v11, v3, 16, 1
	v_add3_u32 v3, v3, v11, s0
	v_lshrrev_b32_e32 v3, 16, v3
	v_cndmask_b32_e32 v1, v10, v3, vcc
.LBB47_902:
	s_mov_b64 s[0:1], 0
.LBB47_903:
	s_andn2_b64 vcc, exec, s[0:1]
	s_cbranch_vccnz .LBB47_914
; %bb.904:
	v_mov_b32_e32 v1, 6
	v_cmp_lt_i16_sdwa s[0:1], v9, v1 src0_sel:BYTE_0 src1_sel:DWORD
	s_and_b64 vcc, exec, s[0:1]
	s_cbranch_vccnz .LBB47_907
; %bb.905:
	v_cmp_gt_i16_sdwa s[0:1], v9, v1 src0_sel:BYTE_0 src1_sel:DWORD
	s_and_b64 vcc, exec, s[0:1]
	s_cbranch_vccz .LBB47_908
; %bb.906:
	global_load_dwordx2 v[10:11], v[4:5], off
	s_movk_i32 s0, 0x7fff
	v_mov_b32_e32 v1, 0x7fc0
	s_waitcnt vmcnt(0)
	v_cvt_f32_f64_e32 v3, v[10:11]
	v_bfe_u32 v10, v3, 16, 1
	v_add3_u32 v10, v3, v10, s0
	v_lshrrev_b32_e32 v10, 16, v10
	v_cmp_o_f32_e32 vcc, v3, v3
	v_cndmask_b32_e32 v1, v1, v10, vcc
	s_mov_b64 s[0:1], 0
	s_branch .LBB47_909
.LBB47_907:
	s_mov_b64 s[0:1], -1
                                        ; implicit-def: $vgpr1
	s_branch .LBB47_912
.LBB47_908:
	s_mov_b64 s[0:1], -1
                                        ; implicit-def: $vgpr1
.LBB47_909:
	s_andn2_b64 vcc, exec, s[0:1]
	s_cbranch_vccnz .LBB47_911
; %bb.910:
	global_load_dword v1, v[4:5], off
	s_movk_i32 s0, 0x7fff
	v_mov_b32_e32 v3, 0x7fc0
	s_waitcnt vmcnt(0)
	v_bfe_u32 v10, v1, 16, 1
	v_add3_u32 v10, v1, v10, s0
	v_lshrrev_b32_e32 v10, 16, v10
	v_cmp_o_f32_e32 vcc, v1, v1
	v_cndmask_b32_e32 v1, v3, v10, vcc
.LBB47_911:
	s_mov_b64 s[0:1], 0
.LBB47_912:
	s_andn2_b64 vcc, exec, s[0:1]
	s_cbranch_vccnz .LBB47_914
; %bb.913:
	global_load_ushort v1, v[4:5], off
	s_movk_i32 s0, 0x7fff
	v_mov_b32_e32 v10, 0x7fc0
	s_waitcnt vmcnt(0)
	v_cvt_f32_f16_e32 v3, v1
	v_cmp_o_f16_e32 vcc, v1, v1
	v_bfe_u32 v11, v3, 16, 1
	v_add3_u32 v3, v3, v11, s0
	v_lshrrev_b32_e32 v3, 16, v3
	v_cndmask_b32_e32 v1, v10, v3, vcc
.LBB47_914:
	s_mov_b64 s[0:1], 0
.LBB47_915:
	s_andn2_b64 vcc, exec, s[0:1]
	s_cbranch_vccnz .LBB47_935
; %bb.916:
	v_mov_b32_e32 v1, 2
	v_cmp_lt_i16_sdwa s[0:1], v9, v1 src0_sel:BYTE_0 src1_sel:DWORD
	s_and_b64 vcc, exec, s[0:1]
	s_cbranch_vccnz .LBB47_920
; %bb.917:
	v_mov_b32_e32 v1, 3
	v_cmp_lt_i16_sdwa s[0:1], v9, v1 src0_sel:BYTE_0 src1_sel:DWORD
	s_and_b64 vcc, exec, s[0:1]
	s_cbranch_vccnz .LBB47_921
; %bb.918:
	v_cmp_gt_i16_sdwa s[0:1], v9, v1 src0_sel:BYTE_0 src1_sel:DWORD
	s_and_b64 vcc, exec, s[0:1]
	s_cbranch_vccz .LBB47_922
; %bb.919:
	global_load_dwordx2 v[10:11], v[4:5], off
	s_movk_i32 s0, 0x7fff
	s_waitcnt vmcnt(0)
	v_xor_b32_e32 v3, v10, v11
	v_ffbh_i32_e32 v1, v11
	v_ashrrev_i32_e32 v3, 31, v3
	v_add_u32_e32 v1, -1, v1
	v_add_u32_e32 v3, 32, v3
	v_min_u32_e32 v1, v1, v3
	v_lshlrev_b64 v[10:11], v1, v[10:11]
	v_min_u32_e32 v3, 1, v10
	v_or_b32_e32 v3, v11, v3
	v_cvt_f32_i32_e32 v3, v3
	v_sub_u32_e32 v1, 32, v1
	v_ldexp_f32 v1, v3, v1
	v_bfe_u32 v3, v1, 16, 1
	v_add3_u32 v1, v1, v3, s0
	v_lshrrev_b32_e32 v1, 16, v1
	s_mov_b64 s[0:1], 0
	s_branch .LBB47_923
.LBB47_920:
	s_mov_b64 s[0:1], -1
                                        ; implicit-def: $vgpr1
	s_branch .LBB47_929
.LBB47_921:
	s_mov_b64 s[0:1], -1
                                        ; implicit-def: $vgpr1
	s_branch .LBB47_926
.LBB47_922:
	s_mov_b64 s[0:1], -1
                                        ; implicit-def: $vgpr1
.LBB47_923:
	s_andn2_b64 vcc, exec, s[0:1]
	s_cbranch_vccnz .LBB47_925
; %bb.924:
	global_load_dword v1, v[4:5], off
	s_movk_i32 s0, 0x7fff
	s_waitcnt vmcnt(0)
	v_cvt_f32_i32_e32 v1, v1
	v_bfe_u32 v3, v1, 16, 1
	v_add3_u32 v1, v1, v3, s0
	v_lshrrev_b32_e32 v1, 16, v1
.LBB47_925:
	s_mov_b64 s[0:1], 0
.LBB47_926:
	s_andn2_b64 vcc, exec, s[0:1]
	s_cbranch_vccnz .LBB47_928
; %bb.927:
	global_load_sshort v1, v[4:5], off
	s_movk_i32 s0, 0x7fff
	s_waitcnt vmcnt(0)
	v_cvt_f32_i32_e32 v1, v1
	v_bfe_u32 v3, v1, 16, 1
	v_add3_u32 v1, v1, v3, s0
	v_lshrrev_b32_e32 v1, 16, v1
.LBB47_928:
	s_mov_b64 s[0:1], 0
.LBB47_929:
	s_andn2_b64 vcc, exec, s[0:1]
	s_cbranch_vccnz .LBB47_935
; %bb.930:
	v_mov_b32_e32 v1, 0
	v_cmp_gt_i16_sdwa s[0:1], v9, v1 src0_sel:BYTE_0 src1_sel:DWORD
	s_and_b64 vcc, exec, s[0:1]
	s_cbranch_vccz .LBB47_932
; %bb.931:
	global_load_sbyte v1, v[4:5], off
	s_movk_i32 s0, 0x7fff
	s_waitcnt vmcnt(0)
	v_cvt_f32_i32_e32 v1, v1
	v_bfe_u32 v3, v1, 16, 1
	v_add3_u32 v1, v1, v3, s0
	v_lshrrev_b32_e32 v1, 16, v1
	s_mov_b64 s[0:1], 0
	s_branch .LBB47_933
.LBB47_932:
	s_mov_b64 s[0:1], -1
                                        ; implicit-def: $vgpr1
.LBB47_933:
	s_andn2_b64 vcc, exec, s[0:1]
	s_cbranch_vccnz .LBB47_935
; %bb.934:
	global_load_ubyte v1, v[4:5], off
	s_movk_i32 s0, 0x7fff
	s_waitcnt vmcnt(0)
	v_cvt_f32_ubyte0_e32 v1, v1
	v_bfe_u32 v3, v1, 16, 1
	v_add3_u32 v1, v1, v3, s0
	v_lshrrev_b32_e32 v1, 16, v1
.LBB47_935:
	s_mov_b64 s[0:1], -1
.LBB47_936:
	s_andn2_b64 vcc, exec, s[0:1]
	s_cbranch_vccnz .LBB47_944
; %bb.937:
	v_mov_b32_e32 v3, s25
	v_add_co_u32_e32 v2, vcc, s24, v2
	v_mov_b32_e32 v4, 11
	v_addc_co_u32_e32 v3, vcc, 0, v3, vcc
	v_cmp_lt_i16_sdwa s[0:1], v7, v4 src0_sel:BYTE_0 src1_sel:DWORD
	s_and_b64 vcc, exec, s[0:1]
	s_cbranch_vccnz .LBB47_946
; %bb.938:
	v_mov_b32_e32 v4, 25
	v_cmp_gt_i16_sdwa s[0:1], v7, v4 src0_sel:BYTE_0 src1_sel:DWORD
	s_and_b64 vcc, exec, s[0:1]
	s_cbranch_vccz .LBB47_947
; %bb.939:
	v_mov_b32_e32 v4, 28
	v_cmp_gt_i16_sdwa s[0:1], v7, v4 src0_sel:BYTE_0 src1_sel:DWORD
	s_and_b64 vcc, exec, s[0:1]
	s_cbranch_vccz .LBB47_948
	;; [unrolled: 5-line block ×4, first 2 shown]
; %bb.942:
	v_mov_b32_e32 v4, 46
	v_cmp_eq_u16_sdwa s[0:1], v7, v4 src0_sel:BYTE_0 src1_sel:DWORD
	s_mov_b64 s[58:59], 0
	s_and_b64 vcc, exec, s[0:1]
	s_cbranch_vccz .LBB47_953
; %bb.943:
	global_load_dword v4, v[2:3], off
	s_mov_b64 s[0:1], -1
	s_mov_b64 s[56:57], 0
	s_branch .LBB47_954
.LBB47_944:
	s_mov_b64 s[60:61], 0
	s_mov_b64 s[0:1], s[48:49]
	;; [unrolled: 1-line block ×3, first 2 shown]
.LBB47_945:
                                        ; implicit-def: $vgpr8
	s_branch .LBB47_1192
.LBB47_946:
	s_mov_b64 s[58:59], -1
	s_mov_b64 s[0:1], 0
                                        ; implicit-def: $vgpr4
	s_mov_b64 s[56:57], s[46:47]
	s_branch .LBB47_1019
.LBB47_947:
	s_mov_b64 s[58:59], -1
	s_mov_b64 s[0:1], 0
	s_mov_b64 s[56:57], s[46:47]
                                        ; implicit-def: $vgpr4
	s_branch .LBB47_983
.LBB47_948:
	s_mov_b64 s[58:59], -1
	s_mov_b64 s[0:1], 0
	s_mov_b64 s[56:57], s[46:47]
                                        ; implicit-def: $vgpr4
	s_branch .LBB47_964
.LBB47_949:
	s_mov_b64 s[58:59], -1
	s_mov_b64 s[0:1], 0
	s_mov_b64 s[56:57], s[46:47]
                                        ; implicit-def: $vgpr4
	s_branch .LBB47_959
.LBB47_950:
	s_mov_b64 s[58:59], -1
	s_mov_b64 s[0:1], 0
	s_mov_b64 s[56:57], s[46:47]
                                        ; implicit-def: $vgpr4
	s_branch .LBB47_954
.LBB47_951:
	s_or_saveexec_b64 s[54:55], s[54:55]
                                        ; implicit-def: $sgpr56
	s_xor_b64 exec, exec, s[54:55]
	s_cbranch_execz .LBB47_716
.LBB47_952:
	s_mov_b32 s56, 0x42800000
	v_add_f32_e64 v5, |v10|, s56
	v_and_b32_e32 v5, 0xff, v5
	v_cmp_ne_u32_e32 vcc, 0, v5
	s_andn2_b64 s[52:53], s[52:53], exec
	s_and_b64 s[58:59], vcc, exec
	s_mov_b32 s56, 0
	s_or_b64 s[52:53], s[52:53], s[58:59]
	s_or_b64 exec, exec, s[54:55]
	v_mov_b32_e32 v11, s56
	s_and_saveexec_b64 s[54:55], s[52:53]
	s_cbranch_execnz .LBB47_717
	s_branch .LBB47_718
.LBB47_953:
	s_mov_b64 s[56:57], -1
                                        ; implicit-def: $vgpr4
	s_mov_b64 s[0:1], 0
.LBB47_954:
	s_and_b64 vcc, exec, s[58:59]
	s_cbranch_vccz .LBB47_958
; %bb.955:
	s_waitcnt vmcnt(0)
	v_mov_b32_e32 v4, 44
	v_cmp_eq_u16_sdwa s[56:57], v7, v4 src0_sel:BYTE_0 src1_sel:DWORD
	s_and_b64 vcc, exec, s[56:57]
	s_cbranch_vccz .LBB47_957
; %bb.956:
	global_load_ubyte v4, v[2:3], off
	s_movk_i32 s56, 0xff
	v_mov_b32_e32 v5, 0x7f800001
	v_mov_b32_e32 v10, 0x400000
	;; [unrolled: 1-line block ×3, first 2 shown]
	s_mov_b64 s[0:1], -1
	s_waitcnt vmcnt(0)
	v_lshlrev_b32_e32 v12, 23, v4
	v_cmp_ne_u32_e32 vcc, s56, v4
	v_cndmask_b32_e32 v5, v5, v12, vcc
	v_cmp_ne_u32_e32 vcc, 0, v4
	v_cndmask_b32_e32 v4, v10, v5, vcc
	v_add_u32_e32 v5, 0x7fff, v4
	v_lshrrev_b32_e32 v5, 16, v5
	v_cmp_o_f32_e32 vcc, v4, v4
	v_cndmask_b32_e32 v4, v11, v5, vcc
	s_mov_b64 s[56:57], 0
	s_branch .LBB47_958
.LBB47_957:
	s_mov_b64 s[56:57], -1
                                        ; implicit-def: $vgpr4
.LBB47_958:
	s_mov_b64 s[58:59], 0
.LBB47_959:
	s_and_b64 vcc, exec, s[58:59]
	s_cbranch_vccz .LBB47_963
; %bb.960:
	s_waitcnt vmcnt(0)
	v_mov_b32_e32 v4, 29
	v_cmp_eq_u16_sdwa s[56:57], v7, v4 src0_sel:BYTE_0 src1_sel:DWORD
	s_and_b64 vcc, exec, s[56:57]
	s_cbranch_vccz .LBB47_962
; %bb.961:
	global_load_dwordx2 v[4:5], v[2:3], off
	s_movk_i32 s56, 0x7fff
	s_mov_b64 s[0:1], -1
	s_mov_b64 s[58:59], 0
	s_waitcnt vmcnt(0)
	v_ffbh_u32_e32 v10, v5
	v_min_u32_e32 v10, 32, v10
	v_lshlrev_b64 v[4:5], v10, v[4:5]
	v_min_u32_e32 v4, 1, v4
	v_or_b32_e32 v4, v5, v4
	v_cvt_f32_u32_e32 v4, v4
	v_sub_u32_e32 v5, 32, v10
	v_ldexp_f32 v4, v4, v5
	v_bfe_u32 v5, v4, 16, 1
	v_add3_u32 v4, v4, v5, s56
	v_lshrrev_b32_e32 v4, 16, v4
	s_mov_b64 s[56:57], 0
	s_branch .LBB47_964
.LBB47_962:
	s_mov_b64 s[56:57], -1
                                        ; implicit-def: $vgpr4
.LBB47_963:
	s_mov_b64 s[58:59], 0
.LBB47_964:
	s_and_b64 vcc, exec, s[58:59]
	s_cbranch_vccz .LBB47_982
; %bb.965:
	s_waitcnt vmcnt(0)
	v_mov_b32_e32 v4, 27
	v_cmp_lt_i16_sdwa s[0:1], v7, v4 src0_sel:BYTE_0 src1_sel:DWORD
	s_and_b64 vcc, exec, s[0:1]
	s_cbranch_vccnz .LBB47_968
; %bb.966:
	v_cmp_gt_i16_sdwa s[0:1], v7, v4 src0_sel:BYTE_0 src1_sel:DWORD
	s_and_b64 vcc, exec, s[0:1]
	s_cbranch_vccz .LBB47_969
; %bb.967:
	global_load_dword v4, v[2:3], off
	s_movk_i32 s0, 0x7fff
	s_waitcnt vmcnt(0)
	v_cvt_f32_u32_e32 v4, v4
	v_bfe_u32 v5, v4, 16, 1
	v_add3_u32 v4, v4, v5, s0
	v_lshrrev_b32_e32 v4, 16, v4
	s_mov_b64 s[0:1], 0
	s_branch .LBB47_970
.LBB47_968:
	s_mov_b64 s[0:1], -1
                                        ; implicit-def: $vgpr4
	s_branch .LBB47_973
.LBB47_969:
	s_mov_b64 s[0:1], -1
                                        ; implicit-def: $vgpr4
.LBB47_970:
	s_andn2_b64 vcc, exec, s[0:1]
	s_cbranch_vccnz .LBB47_972
; %bb.971:
	global_load_ushort v4, v[2:3], off
	s_movk_i32 s0, 0x7fff
	s_waitcnt vmcnt(0)
	v_cvt_f32_u32_e32 v4, v4
	v_bfe_u32 v5, v4, 16, 1
	v_add3_u32 v4, v4, v5, s0
	v_lshrrev_b32_e32 v4, 16, v4
.LBB47_972:
	s_mov_b64 s[0:1], 0
.LBB47_973:
	s_andn2_b64 vcc, exec, s[0:1]
	s_cbranch_vccnz .LBB47_981
; %bb.974:
	global_load_ubyte v4, v[2:3], off
	s_movk_i32 s0, 0x7f
                                        ; implicit-def: $sgpr62
	s_waitcnt vmcnt(0)
	v_cmp_lt_i16_e32 vcc, s0, v4
	s_mov_b64 s[0:1], 0
	s_and_saveexec_b64 s[58:59], vcc
	s_xor_b64 s[58:59], exec, s[58:59]
	s_cbranch_execz .LBB47_995
; %bb.975:
	s_movk_i32 s0, 0x80
	v_cmp_eq_u16_e32 vcc, s0, v4
	s_mov_b64 s[0:1], -1
                                        ; implicit-def: $sgpr62
	s_and_saveexec_b64 s[60:61], vcc
; %bb.976:
	s_mov_b32 s62, 0x7f800001
	s_xor_b64 s[0:1], exec, -1
; %bb.977:
	s_or_b64 exec, exec, s[60:61]
	s_and_b64 s[0:1], s[0:1], exec
	s_or_saveexec_b64 s[58:59], s[58:59]
	v_mov_b32_e32 v5, s62
	s_xor_b64 exec, exec, s[58:59]
	s_cbranch_execnz .LBB47_996
.LBB47_978:
	s_or_b64 exec, exec, s[58:59]
	s_and_saveexec_b64 s[58:59], s[0:1]
	s_cbranch_execz .LBB47_980
.LBB47_979:
	v_lshlrev_b32_e32 v5, 24, v4
	v_and_b32_e32 v4, 0xffff, v4
	v_and_b32_e32 v10, 7, v4
	v_ffbh_u32_e32 v12, v10
	v_min_u32_e32 v12, 32, v12
	v_subrev_u32_e32 v13, 28, v12
	v_bfe_u32 v11, v4, 3, 4
	v_lshlrev_b32_e32 v4, v13, v4
	v_sub_u32_e32 v12, 29, v12
	v_and_b32_e32 v4, 7, v4
	v_cmp_eq_u32_e32 vcc, 0, v11
	v_cndmask_b32_e32 v11, v11, v12, vcc
	v_cndmask_b32_e32 v4, v10, v4, vcc
	v_mov_b32_e32 v10, 0x3b800000
	v_lshlrev_b32_e32 v4, 20, v4
	v_and_b32_e32 v5, 0x80000000, v5
	v_lshl_add_u32 v10, v11, 23, v10
	v_or3_b32 v5, v5, v10, v4
.LBB47_980:
	s_or_b64 exec, exec, s[58:59]
	v_bfe_u32 v4, v5, 16, 1
	s_movk_i32 s0, 0x7fff
	v_add3_u32 v4, v5, v4, s0
	v_lshrrev_b32_e32 v4, 16, v4
	v_mov_b32_e32 v10, 0x7fc0
	v_cmp_o_f32_e32 vcc, v5, v5
	v_cndmask_b32_e32 v4, v10, v4, vcc
.LBB47_981:
	s_mov_b64 s[0:1], -1
.LBB47_982:
	s_mov_b64 s[58:59], 0
.LBB47_983:
	s_and_b64 vcc, exec, s[58:59]
	s_cbranch_vccz .LBB47_1018
; %bb.984:
	s_waitcnt vmcnt(0)
	v_mov_b32_e32 v4, 22
	v_cmp_gt_i16_sdwa s[58:59], v7, v4 src0_sel:BYTE_0 src1_sel:DWORD
	s_and_b64 vcc, exec, s[58:59]
	s_cbranch_vccz .LBB47_994
; %bb.985:
	v_mov_b32_e32 v4, 24
	v_cmp_lt_i16_sdwa s[0:1], v7, v4 src0_sel:BYTE_0 src1_sel:DWORD
	s_and_b64 vcc, exec, s[0:1]
	s_cbranch_vccnz .LBB47_997
; %bb.986:
	v_cmp_gt_i16_sdwa s[0:1], v7, v4 src0_sel:BYTE_0 src1_sel:DWORD
	s_and_b64 vcc, exec, s[0:1]
	s_cbranch_vccz .LBB47_998
; %bb.987:
	global_load_ubyte v4, v[2:3], off
	s_movk_i32 s0, 0x7f
                                        ; implicit-def: $sgpr62
	s_waitcnt vmcnt(0)
	v_cmp_lt_i16_e32 vcc, s0, v4
	s_mov_b64 s[0:1], 0
	s_and_saveexec_b64 s[58:59], vcc
	s_xor_b64 s[58:59], exec, s[58:59]
	s_cbranch_execz .LBB47_1010
; %bb.988:
	s_movk_i32 s0, 0x80
	v_cmp_eq_u16_e32 vcc, s0, v4
	s_mov_b64 s[0:1], -1
                                        ; implicit-def: $sgpr62
	s_and_saveexec_b64 s[60:61], vcc
; %bb.989:
	s_mov_b32 s62, 0x7f800001
	s_xor_b64 s[0:1], exec, -1
; %bb.990:
	s_or_b64 exec, exec, s[60:61]
	s_and_b64 s[0:1], s[0:1], exec
	s_or_saveexec_b64 s[58:59], s[58:59]
	v_mov_b32_e32 v5, s62
	s_xor_b64 exec, exec, s[58:59]
	s_cbranch_execnz .LBB47_1011
.LBB47_991:
	s_or_b64 exec, exec, s[58:59]
	s_and_saveexec_b64 s[58:59], s[0:1]
	s_cbranch_execz .LBB47_993
.LBB47_992:
	v_lshlrev_b32_e32 v5, 24, v4
	v_and_b32_e32 v4, 0xffff, v4
	v_and_b32_e32 v10, 3, v4
	v_ffbh_u32_e32 v12, v10
	v_min_u32_e32 v12, 32, v12
	v_subrev_u32_e32 v13, 29, v12
	v_bfe_u32 v11, v4, 2, 5
	v_lshlrev_b32_e32 v4, v13, v4
	v_sub_u32_e32 v12, 30, v12
	v_and_b32_e32 v4, 3, v4
	v_cmp_eq_u32_e32 vcc, 0, v11
	v_cndmask_b32_e32 v11, v11, v12, vcc
	v_cndmask_b32_e32 v4, v10, v4, vcc
	v_mov_b32_e32 v10, 0x37800000
	v_lshlrev_b32_e32 v4, 21, v4
	v_and_b32_e32 v5, 0x80000000, v5
	v_lshl_add_u32 v10, v11, 23, v10
	v_or3_b32 v5, v5, v10, v4
.LBB47_993:
	s_or_b64 exec, exec, s[58:59]
	v_bfe_u32 v4, v5, 16, 1
	s_movk_i32 s0, 0x7fff
	v_add3_u32 v4, v5, v4, s0
	v_lshrrev_b32_e32 v4, 16, v4
	v_mov_b32_e32 v10, 0x7fc0
	v_cmp_o_f32_e32 vcc, v5, v5
	v_cndmask_b32_e32 v4, v10, v4, vcc
	s_mov_b64 s[0:1], 0
	s_branch .LBB47_999
.LBB47_994:
	s_mov_b64 s[58:59], -1
                                        ; implicit-def: $vgpr4
	s_branch .LBB47_1005
.LBB47_995:
	s_or_saveexec_b64 s[58:59], s[58:59]
	v_mov_b32_e32 v5, s62
	s_xor_b64 exec, exec, s[58:59]
	s_cbranch_execz .LBB47_978
.LBB47_996:
	v_cmp_ne_u16_e32 vcc, 0, v4
	s_andn2_b64 s[0:1], s[0:1], exec
	s_and_b64 s[60:61], vcc, exec
	v_mov_b32_e32 v5, 0
	s_or_b64 s[0:1], s[0:1], s[60:61]
	s_or_b64 exec, exec, s[58:59]
	s_and_saveexec_b64 s[58:59], s[0:1]
	s_cbranch_execnz .LBB47_979
	s_branch .LBB47_980
.LBB47_997:
	s_mov_b64 s[0:1], -1
                                        ; implicit-def: $vgpr4
	s_branch .LBB47_1002
.LBB47_998:
	s_mov_b64 s[0:1], -1
                                        ; implicit-def: $vgpr4
.LBB47_999:
	s_and_b64 vcc, exec, s[0:1]
	s_cbranch_vccz .LBB47_1001
; %bb.1000:
	global_load_ubyte v4, v[2:3], off
	s_mov_b32 s0, 0x7f800000
	s_brev_b32 s1, 1
	s_movk_i32 s58, 0x7fff
	v_mov_b32_e32 v5, 0x7fc0
	s_waitcnt vmcnt(0)
	v_lshlrev_b32_e32 v4, 24, v4
	v_and_b32_e32 v10, 0x7f000000, v4
	v_ffbh_u32_e32 v11, v10
	v_min_u32_e32 v11, 32, v11
	v_sub_u32_e64 v11, v11, 4 clamp
	v_lshlrev_b32_e32 v13, v11, v10
	v_lshlrev_b32_e32 v11, 23, v11
	v_lshrrev_b32_e32 v13, 4, v13
	v_add_u32_e32 v12, 0x1000000, v10
	v_sub_u32_e32 v11, v13, v11
	v_ashrrev_i32_e32 v12, 8, v12
	v_add_u32_e32 v11, 0x3c000000, v11
	v_and_or_b32 v11, v12, s0, v11
	v_cmp_ne_u32_e32 vcc, 0, v10
	v_cndmask_b32_e32 v10, 0, v11, vcc
	v_and_or_b32 v4, v4, s1, v10
	v_bfe_u32 v10, v10, 16, 1
	v_add3_u32 v10, v4, v10, s58
	v_lshrrev_b32_e32 v10, 16, v10
	v_cmp_o_f32_e32 vcc, v4, v4
	v_cndmask_b32_e32 v4, v5, v10, vcc
.LBB47_1001:
	s_mov_b64 s[0:1], 0
.LBB47_1002:
	s_andn2_b64 vcc, exec, s[0:1]
	s_cbranch_vccnz .LBB47_1004
; %bb.1003:
	global_load_ubyte v4, v[2:3], off
	s_movk_i32 s0, 0x7f00
	s_brev_b32 s1, 16
	s_brev_b32 s58, 1
	s_movk_i32 s59, 0x7fff
	v_mov_b32_e32 v5, 0x7fc0
	s_waitcnt vmcnt(0)
	v_lshlrev_b16_e32 v10, 8, v4
	v_lshlrev_b32_e32 v4, 25, v4
	v_lshrrev_b32_e32 v11, 4, v4
	v_and_or_b32 v12, v10, s0, 0.5
	v_or_b32_e32 v11, 0x70000000, v11
	v_add_f32_e32 v12, -0.5, v12
	v_mul_f32_e32 v11, 0x7800000, v11
	v_cmp_gt_u32_e32 vcc, s1, v4
	v_bfe_i32 v10, v10, 0, 16
	v_cndmask_b32_e32 v4, v11, v12, vcc
	v_and_or_b32 v10, v10, s58, v4
	v_bfe_u32 v4, v4, 16, 1
	v_add3_u32 v4, v10, v4, s59
	v_lshrrev_b32_e32 v4, 16, v4
	v_cmp_o_f32_e32 vcc, v10, v10
	v_cndmask_b32_e32 v4, v5, v4, vcc
.LBB47_1004:
	s_mov_b64 s[58:59], 0
	s_mov_b64 s[0:1], -1
.LBB47_1005:
	s_andn2_b64 vcc, exec, s[58:59]
	s_cbranch_vccnz .LBB47_1018
; %bb.1006:
	v_mov_b32_e32 v4, 14
	v_cmp_gt_i16_sdwa s[58:59], v7, v4 src0_sel:BYTE_0 src1_sel:DWORD
	s_and_b64 vcc, exec, s[58:59]
	s_cbranch_vccz .LBB47_1009
; %bb.1007:
	v_mov_b32_e32 v4, 15
	v_cmp_eq_u16_sdwa s[56:57], v7, v4 src0_sel:BYTE_0 src1_sel:DWORD
	s_and_b64 vcc, exec, s[56:57]
	s_cbranch_vccz .LBB47_1012
; %bb.1008:
	global_load_ushort v4, v[2:3], off
	s_mov_b64 s[0:1], -1
	s_mov_b64 s[56:57], 0
	s_branch .LBB47_1013
.LBB47_1009:
	s_mov_b64 s[58:59], -1
                                        ; implicit-def: $vgpr4
	s_branch .LBB47_1014
.LBB47_1010:
	s_or_saveexec_b64 s[58:59], s[58:59]
	v_mov_b32_e32 v5, s62
	s_xor_b64 exec, exec, s[58:59]
	s_cbranch_execz .LBB47_991
.LBB47_1011:
	v_cmp_ne_u16_e32 vcc, 0, v4
	s_andn2_b64 s[0:1], s[0:1], exec
	s_and_b64 s[60:61], vcc, exec
	v_mov_b32_e32 v5, 0
	s_or_b64 s[0:1], s[0:1], s[60:61]
	s_or_b64 exec, exec, s[58:59]
	s_and_saveexec_b64 s[58:59], s[0:1]
	s_cbranch_execnz .LBB47_992
	s_branch .LBB47_993
.LBB47_1012:
	s_mov_b64 s[56:57], -1
                                        ; implicit-def: $vgpr4
.LBB47_1013:
	s_mov_b64 s[58:59], 0
.LBB47_1014:
	s_and_b64 vcc, exec, s[58:59]
	s_cbranch_vccz .LBB47_1018
; %bb.1015:
	s_waitcnt vmcnt(0)
	v_mov_b32_e32 v4, 11
	v_cmp_eq_u16_sdwa s[56:57], v7, v4 src0_sel:BYTE_0 src1_sel:DWORD
	s_and_b64 vcc, exec, s[56:57]
	s_cbranch_vccz .LBB47_1017
; %bb.1016:
	global_load_ubyte v4, v[2:3], off
	s_mov_b64 s[0:1], -1
	s_mov_b64 s[56:57], 0
	s_waitcnt vmcnt(0)
	v_cmp_ne_u16_e32 vcc, 0, v4
	v_cndmask_b32_e64 v4, 0, 1.0, vcc
	v_lshrrev_b32_e32 v4, 16, v4
	s_branch .LBB47_1018
.LBB47_1017:
	s_mov_b64 s[56:57], -1
                                        ; implicit-def: $vgpr4
.LBB47_1018:
	s_mov_b64 s[58:59], 0
.LBB47_1019:
	s_and_b64 vcc, exec, s[58:59]
	s_cbranch_vccz .LBB47_1068
; %bb.1020:
	s_waitcnt vmcnt(0)
	v_mov_b32_e32 v4, 5
	v_cmp_lt_i16_sdwa s[0:1], v7, v4 src0_sel:BYTE_0 src1_sel:DWORD
	s_and_b64 vcc, exec, s[0:1]
	s_cbranch_vccnz .LBB47_1025
; %bb.1021:
	v_mov_b32_e32 v4, 8
	v_cmp_lt_i16_sdwa s[0:1], v7, v4 src0_sel:BYTE_0 src1_sel:DWORD
	s_and_b64 vcc, exec, s[0:1]
	s_cbranch_vccnz .LBB47_1026
; %bb.1022:
	;; [unrolled: 5-line block ×3, first 2 shown]
	v_cmp_gt_i16_sdwa s[0:1], v7, v4 src0_sel:BYTE_0 src1_sel:DWORD
	s_and_b64 vcc, exec, s[0:1]
	s_cbranch_vccz .LBB47_1028
; %bb.1024:
	global_load_dwordx2 v[4:5], v[2:3], off
	s_movk_i32 s0, 0x7fff
	v_mov_b32_e32 v10, 0x7fc0
	s_waitcnt vmcnt(0)
	v_cvt_f32_f64_e32 v4, v[4:5]
	v_bfe_u32 v5, v4, 16, 1
	v_add3_u32 v5, v4, v5, s0
	v_lshrrev_b32_e32 v5, 16, v5
	v_cmp_o_f32_e32 vcc, v4, v4
	v_cndmask_b32_e32 v4, v10, v5, vcc
	s_mov_b64 s[0:1], 0
	s_branch .LBB47_1029
.LBB47_1025:
	s_mov_b64 s[0:1], -1
                                        ; implicit-def: $vgpr4
	s_branch .LBB47_1047
.LBB47_1026:
	s_mov_b64 s[0:1], -1
                                        ; implicit-def: $vgpr4
	s_branch .LBB47_1035
.LBB47_1027:
	s_mov_b64 s[0:1], -1
                                        ; implicit-def: $vgpr4
	s_branch .LBB47_1032
.LBB47_1028:
	s_mov_b64 s[0:1], -1
                                        ; implicit-def: $vgpr4
.LBB47_1029:
	s_andn2_b64 vcc, exec, s[0:1]
	s_cbranch_vccnz .LBB47_1031
; %bb.1030:
	global_load_dword v4, v[2:3], off
	s_movk_i32 s0, 0x7fff
	v_mov_b32_e32 v5, 0x7fc0
	s_waitcnt vmcnt(0)
	v_bfe_u32 v10, v4, 16, 1
	v_add3_u32 v10, v4, v10, s0
	v_lshrrev_b32_e32 v10, 16, v10
	v_cmp_o_f32_e32 vcc, v4, v4
	v_cndmask_b32_e32 v4, v5, v10, vcc
.LBB47_1031:
	s_mov_b64 s[0:1], 0
.LBB47_1032:
	s_andn2_b64 vcc, exec, s[0:1]
	s_cbranch_vccnz .LBB47_1034
; %bb.1033:
	global_load_dword v4, v[2:3], off
	s_movk_i32 s0, 0x7fff
	v_mov_b32_e32 v10, 0x7fc0
	s_waitcnt vmcnt(0)
	v_cvt_f32_f16_e32 v5, v4
	v_cmp_o_f16_e32 vcc, v4, v4
	v_bfe_u32 v11, v5, 16, 1
	v_add3_u32 v5, v5, v11, s0
	v_lshrrev_b32_e32 v5, 16, v5
	v_cndmask_b32_e32 v4, v10, v5, vcc
.LBB47_1034:
	s_mov_b64 s[0:1], 0
.LBB47_1035:
	s_andn2_b64 vcc, exec, s[0:1]
	s_cbranch_vccnz .LBB47_1046
; %bb.1036:
	v_mov_b32_e32 v4, 6
	v_cmp_lt_i16_sdwa s[0:1], v7, v4 src0_sel:BYTE_0 src1_sel:DWORD
	s_and_b64 vcc, exec, s[0:1]
	s_cbranch_vccnz .LBB47_1039
; %bb.1037:
	v_cmp_gt_i16_sdwa s[0:1], v7, v4 src0_sel:BYTE_0 src1_sel:DWORD
	s_and_b64 vcc, exec, s[0:1]
	s_cbranch_vccz .LBB47_1040
; %bb.1038:
	global_load_dwordx2 v[4:5], v[2:3], off
	s_movk_i32 s0, 0x7fff
	v_mov_b32_e32 v10, 0x7fc0
	s_waitcnt vmcnt(0)
	v_cvt_f32_f64_e32 v4, v[4:5]
	v_bfe_u32 v5, v4, 16, 1
	v_add3_u32 v5, v4, v5, s0
	v_lshrrev_b32_e32 v5, 16, v5
	v_cmp_o_f32_e32 vcc, v4, v4
	v_cndmask_b32_e32 v4, v10, v5, vcc
	s_mov_b64 s[0:1], 0
	s_branch .LBB47_1041
.LBB47_1039:
	s_mov_b64 s[0:1], -1
                                        ; implicit-def: $vgpr4
	s_branch .LBB47_1044
.LBB47_1040:
	s_mov_b64 s[0:1], -1
                                        ; implicit-def: $vgpr4
.LBB47_1041:
	s_andn2_b64 vcc, exec, s[0:1]
	s_cbranch_vccnz .LBB47_1043
; %bb.1042:
	global_load_dword v4, v[2:3], off
	s_movk_i32 s0, 0x7fff
	v_mov_b32_e32 v5, 0x7fc0
	s_waitcnt vmcnt(0)
	v_bfe_u32 v10, v4, 16, 1
	v_add3_u32 v10, v4, v10, s0
	v_lshrrev_b32_e32 v10, 16, v10
	v_cmp_o_f32_e32 vcc, v4, v4
	v_cndmask_b32_e32 v4, v5, v10, vcc
.LBB47_1043:
	s_mov_b64 s[0:1], 0
.LBB47_1044:
	s_andn2_b64 vcc, exec, s[0:1]
	s_cbranch_vccnz .LBB47_1046
; %bb.1045:
	global_load_ushort v4, v[2:3], off
	s_movk_i32 s0, 0x7fff
	v_mov_b32_e32 v10, 0x7fc0
	s_waitcnt vmcnt(0)
	v_cvt_f32_f16_e32 v5, v4
	v_cmp_o_f16_e32 vcc, v4, v4
	v_bfe_u32 v11, v5, 16, 1
	v_add3_u32 v5, v5, v11, s0
	v_lshrrev_b32_e32 v5, 16, v5
	v_cndmask_b32_e32 v4, v10, v5, vcc
.LBB47_1046:
	s_mov_b64 s[0:1], 0
.LBB47_1047:
	s_andn2_b64 vcc, exec, s[0:1]
	s_cbranch_vccnz .LBB47_1067
; %bb.1048:
	v_mov_b32_e32 v4, 2
	v_cmp_lt_i16_sdwa s[0:1], v7, v4 src0_sel:BYTE_0 src1_sel:DWORD
	s_and_b64 vcc, exec, s[0:1]
	s_cbranch_vccnz .LBB47_1052
; %bb.1049:
	v_mov_b32_e32 v4, 3
	v_cmp_lt_i16_sdwa s[0:1], v7, v4 src0_sel:BYTE_0 src1_sel:DWORD
	s_and_b64 vcc, exec, s[0:1]
	s_cbranch_vccnz .LBB47_1053
; %bb.1050:
	v_cmp_gt_i16_sdwa s[0:1], v7, v4 src0_sel:BYTE_0 src1_sel:DWORD
	s_and_b64 vcc, exec, s[0:1]
	s_cbranch_vccz .LBB47_1054
; %bb.1051:
	global_load_dwordx2 v[4:5], v[2:3], off
	s_movk_i32 s0, 0x7fff
	s_waitcnt vmcnt(0)
	v_xor_b32_e32 v11, v4, v5
	v_ffbh_i32_e32 v10, v5
	v_ashrrev_i32_e32 v11, 31, v11
	v_add_u32_e32 v10, -1, v10
	v_add_u32_e32 v11, 32, v11
	v_min_u32_e32 v10, v10, v11
	v_lshlrev_b64 v[4:5], v10, v[4:5]
	v_min_u32_e32 v4, 1, v4
	v_or_b32_e32 v4, v5, v4
	v_cvt_f32_i32_e32 v4, v4
	v_sub_u32_e32 v5, 32, v10
	v_ldexp_f32 v4, v4, v5
	v_bfe_u32 v5, v4, 16, 1
	v_add3_u32 v4, v4, v5, s0
	v_lshrrev_b32_e32 v4, 16, v4
	s_mov_b64 s[0:1], 0
	s_branch .LBB47_1055
.LBB47_1052:
	s_mov_b64 s[0:1], -1
                                        ; implicit-def: $vgpr4
	s_branch .LBB47_1061
.LBB47_1053:
	s_mov_b64 s[0:1], -1
                                        ; implicit-def: $vgpr4
	s_branch .LBB47_1058
.LBB47_1054:
	s_mov_b64 s[0:1], -1
                                        ; implicit-def: $vgpr4
.LBB47_1055:
	s_andn2_b64 vcc, exec, s[0:1]
	s_cbranch_vccnz .LBB47_1057
; %bb.1056:
	global_load_dword v4, v[2:3], off
	s_movk_i32 s0, 0x7fff
	s_waitcnt vmcnt(0)
	v_cvt_f32_i32_e32 v4, v4
	v_bfe_u32 v5, v4, 16, 1
	v_add3_u32 v4, v4, v5, s0
	v_lshrrev_b32_e32 v4, 16, v4
.LBB47_1057:
	s_mov_b64 s[0:1], 0
.LBB47_1058:
	s_andn2_b64 vcc, exec, s[0:1]
	s_cbranch_vccnz .LBB47_1060
; %bb.1059:
	global_load_sshort v4, v[2:3], off
	s_movk_i32 s0, 0x7fff
	s_waitcnt vmcnt(0)
	v_cvt_f32_i32_e32 v4, v4
	v_bfe_u32 v5, v4, 16, 1
	v_add3_u32 v4, v4, v5, s0
	v_lshrrev_b32_e32 v4, 16, v4
.LBB47_1060:
	s_mov_b64 s[0:1], 0
.LBB47_1061:
	s_andn2_b64 vcc, exec, s[0:1]
	s_cbranch_vccnz .LBB47_1067
; %bb.1062:
	v_mov_b32_e32 v4, 0
	v_cmp_gt_i16_sdwa s[0:1], v7, v4 src0_sel:BYTE_0 src1_sel:DWORD
	s_and_b64 vcc, exec, s[0:1]
	s_cbranch_vccz .LBB47_1064
; %bb.1063:
	global_load_sbyte v4, v[2:3], off
	s_movk_i32 s0, 0x7fff
	s_waitcnt vmcnt(0)
	v_cvt_f32_i32_e32 v4, v4
	v_bfe_u32 v5, v4, 16, 1
	v_add3_u32 v4, v4, v5, s0
	v_lshrrev_b32_e32 v4, 16, v4
	s_mov_b64 s[0:1], 0
	s_branch .LBB47_1065
.LBB47_1064:
	s_mov_b64 s[0:1], -1
                                        ; implicit-def: $vgpr4
.LBB47_1065:
	s_andn2_b64 vcc, exec, s[0:1]
	s_cbranch_vccnz .LBB47_1067
; %bb.1066:
	global_load_ubyte v2, v[2:3], off
	s_movk_i32 s0, 0x7fff
	s_waitcnt vmcnt(0)
	v_cvt_f32_ubyte0_e32 v2, v2
	v_bfe_u32 v3, v2, 16, 1
	v_add3_u32 v2, v2, v3, s0
	v_lshrrev_b32_e32 v4, 16, v2
.LBB47_1067:
	s_mov_b64 s[0:1], -1
.LBB47_1068:
	s_andn2_b64 vcc, exec, s[0:1]
	s_cbranch_vccnz .LBB47_1076
; %bb.1069:
	s_waitcnt vmcnt(0)
	v_and_b32_e32 v3, 0x7fff, v1
	v_and_b32_e32 v1, 0xffff8000, v4
	v_or_b32_e32 v2, v1, v3
	v_mov_b32_e32 v1, s9
	v_add_co_u32_e32 v0, vcc, s8, v0
	v_mov_b32_e32 v4, 11
	v_addc_co_u32_e32 v1, vcc, 0, v1, vcc
	v_cmp_lt_i16_sdwa s[0:1], v6, v4 src0_sel:BYTE_0 src1_sel:DWORD
	s_and_b64 vcc, exec, s[0:1]
	s_cbranch_vccnz .LBB47_1077
; %bb.1070:
	v_mov_b32_e32 v4, 25
	v_cmp_gt_i16_sdwa s[0:1], v6, v4 src0_sel:BYTE_0 src1_sel:DWORD
	s_and_b64 vcc, exec, s[0:1]
	s_cbranch_vccz .LBB47_1078
; %bb.1071:
	v_mov_b32_e32 v4, 28
	v_cmp_gt_i16_sdwa s[0:1], v6, v4 src0_sel:BYTE_0 src1_sel:DWORD
	s_and_b64 vcc, exec, s[0:1]
	s_cbranch_vccz .LBB47_1079
	;; [unrolled: 5-line block ×4, first 2 shown]
; %bb.1074:
	v_mov_b32_e32 v4, 46
	v_cmp_eq_u16_sdwa s[58:59], v6, v4 src0_sel:BYTE_0 src1_sel:DWORD
	s_mov_b64 s[60:61], 0
	s_mov_b64 s[0:1], -1
	s_and_b64 vcc, exec, s[58:59]
	s_mov_b64 s[58:59], 0
	s_cbranch_vccz .LBB47_1082
; %bb.1075:
	v_and_b32_e32 v4, 0xffff, v2
	global_store_dword v[0:1], v4, off
	s_mov_b64 s[58:59], -1
	s_mov_b64 s[0:1], 0
	s_branch .LBB47_1082
.LBB47_1076:
	s_mov_b64 s[60:61], 0
                                        ; implicit-def: $vgpr8
	s_mov_b64 s[0:1], s[48:49]
	s_branch .LBB47_1192
.LBB47_1077:
	s_mov_b64 s[60:61], -1
	s_mov_b64 s[58:59], 0
	s_mov_b64 s[0:1], s[48:49]
	s_branch .LBB47_1151
.LBB47_1078:
	s_mov_b64 s[60:61], -1
	s_mov_b64 s[58:59], 0
	s_mov_b64 s[0:1], s[48:49]
	s_branch .LBB47_1109
.LBB47_1079:
	s_mov_b64 s[60:61], -1
	s_mov_b64 s[58:59], 0
	s_mov_b64 s[0:1], s[48:49]
	s_branch .LBB47_1092
.LBB47_1080:
	s_mov_b64 s[60:61], -1
	s_mov_b64 s[58:59], 0
	s_mov_b64 s[0:1], s[48:49]
	s_branch .LBB47_1088
.LBB47_1081:
	s_mov_b64 s[60:61], -1
	s_mov_b64 s[58:59], 0
	s_mov_b64 s[0:1], s[48:49]
.LBB47_1082:
	s_and_b64 vcc, exec, s[60:61]
	s_cbranch_vccz .LBB47_1087
; %bb.1083:
	v_mov_b32_e32 v4, 44
	v_cmp_eq_u16_sdwa s[60:61], v6, v4 src0_sel:BYTE_0 src1_sel:DWORD
	s_mov_b64 s[0:1], -1
	s_and_b64 vcc, exec, s[60:61]
	s_cbranch_vccz .LBB47_1087
; %bb.1084:
	v_and_b32_e32 v5, 0xffff, v2
	v_bfe_u32 v4, v5, 7, 8
	s_movk_i32 s0, 0xff
	v_cmp_ne_u32_e32 vcc, s0, v4
	v_mov_b32_e32 v10, 0xff
	s_and_saveexec_b64 s[58:59], vcc
; %bb.1085:
	v_lshlrev_b32_e32 v11, 16, v5
	s_mov_b32 s0, 0x3f0000
	v_lshrrev_b32_e32 v10, 7, v5
	v_and_b32_e32 v5, 64, v5
	v_and_or_b32 v4, v11, s0, v4
	v_cmp_ne_u32_e32 vcc, 0, v5
	v_cmp_ne_u32_e64 s[0:1], 0, v4
	s_and_b64 s[0:1], vcc, s[0:1]
	v_cndmask_b32_e64 v4, 0, 1, s[0:1]
	v_add_u32_e32 v10, v10, v4
; %bb.1086:
	s_or_b64 exec, exec, s[58:59]
	s_mov_b64 s[58:59], -1
	s_mov_b64 s[0:1], 0
	global_store_byte v[0:1], v10, off
.LBB47_1087:
	s_mov_b64 s[60:61], 0
.LBB47_1088:
	s_and_b64 vcc, exec, s[60:61]
	s_cbranch_vccz .LBB47_1091
; %bb.1089:
	v_mov_b32_e32 v4, 29
	v_cmp_eq_u16_sdwa s[60:61], v6, v4 src0_sel:BYTE_0 src1_sel:DWORD
	s_mov_b64 s[0:1], -1
	s_and_b64 vcc, exec, s[60:61]
	s_cbranch_vccz .LBB47_1091
; %bb.1090:
	v_lshlrev_b32_e32 v4, 16, v2
	v_trunc_f32_e32 v4, v4
	v_mul_f32_e32 v5, 0x2f800000, v4
	v_floor_f32_e32 v10, v5
	v_fmac_f32_e32 v4, 0xcf800000, v10
	v_cvt_u32_f32_e32 v5, v10
	v_cvt_u32_f32_e32 v4, v4
	s_mov_b64 s[58:59], -1
	s_mov_b64 s[0:1], 0
	s_mov_b64 s[60:61], 0
	global_store_dwordx2 v[0:1], v[4:5], off
	s_branch .LBB47_1092
.LBB47_1091:
	s_mov_b64 s[60:61], 0
.LBB47_1092:
	s_and_b64 vcc, exec, s[60:61]
	s_cbranch_vccz .LBB47_1108
; %bb.1093:
	v_mov_b32_e32 v4, 27
	v_cmp_lt_i16_sdwa s[60:61], v6, v4 src0_sel:BYTE_0 src1_sel:DWORD
	s_mov_b64 s[58:59], -1
	s_and_b64 vcc, exec, s[60:61]
	s_cbranch_vccnz .LBB47_1099
; %bb.1094:
	v_cmp_gt_i16_sdwa s[60:61], v6, v4 src0_sel:BYTE_0 src1_sel:DWORD
	s_and_b64 vcc, exec, s[60:61]
	s_cbranch_vccz .LBB47_1096
; %bb.1095:
	v_lshlrev_b32_e32 v4, 16, v2
	v_cvt_u32_f32_e32 v4, v4
	s_mov_b64 s[58:59], 0
	global_store_dword v[0:1], v4, off
.LBB47_1096:
	s_andn2_b64 vcc, exec, s[58:59]
	s_cbranch_vccnz .LBB47_1098
; %bb.1097:
	v_lshlrev_b32_e32 v4, 16, v2
	v_cvt_u32_f32_e32 v4, v4
	global_store_short v[0:1], v4, off
.LBB47_1098:
	s_mov_b64 s[58:59], 0
.LBB47_1099:
	s_andn2_b64 vcc, exec, s[58:59]
	s_cbranch_vccnz .LBB47_1107
; %bb.1100:
	v_lshlrev_b32_e32 v10, 16, v2
	v_and_b32_e32 v5, 0x7fffffff, v10
	s_mov_b32 s58, 0x43800000
	v_cmp_gt_u32_e32 vcc, s58, v5
	v_mov_b32_e32 v11, 0x80
	s_and_saveexec_b64 s[58:59], vcc
	s_cbranch_execz .LBB47_1106
; %bb.1101:
	s_mov_b32 s60, 0x3bffffff
	v_and_b32_e32 v4, 0xffff, v2
	v_cmp_lt_u32_e32 vcc, s60, v5
	s_mov_b64 s[60:61], 0
                                        ; implicit-def: $vgpr5
	s_and_saveexec_b64 s[62:63], vcc
	s_xor_b64 s[62:63], exec, s[62:63]
	s_cbranch_execz .LBB47_1219
; %bb.1102:
	v_bfe_u32 v5, v4, 4, 1
	s_mov_b32 s64, 0x487ffff
	v_add3_u32 v5, v10, v5, s64
	s_mov_b64 s[60:61], exec
	v_lshrrev_b32_e32 v5, 20, v5
                                        ; implicit-def: $vgpr10
	s_or_saveexec_b64 s[62:63], s[62:63]
                                        ; implicit-def: $sgpr64
	s_xor_b64 exec, exec, s[62:63]
	s_cbranch_execnz .LBB47_1220
.LBB47_1103:
	s_or_b64 exec, exec, s[62:63]
	v_mov_b32_e32 v11, s64
	s_and_saveexec_b64 s[62:63], s[60:61]
.LBB47_1104:
	v_lshrrev_b32_e32 v4, 8, v4
	s_movk_i32 s60, 0x80
	v_and_or_b32 v11, v4, s60, v5
.LBB47_1105:
	s_or_b64 exec, exec, s[62:63]
.LBB47_1106:
	s_or_b64 exec, exec, s[58:59]
	global_store_byte v[0:1], v11, off
.LBB47_1107:
	s_mov_b64 s[58:59], -1
.LBB47_1108:
	s_mov_b64 s[60:61], 0
.LBB47_1109:
	s_and_b64 vcc, exec, s[60:61]
	s_cbranch_vccz .LBB47_1150
; %bb.1110:
	v_mov_b32_e32 v4, 22
	v_cmp_gt_i16_sdwa s[62:63], v6, v4 src0_sel:BYTE_0 src1_sel:DWORD
	s_mov_b64 s[60:61], -1
	s_and_b64 vcc, exec, s[62:63]
	s_cbranch_vccz .LBB47_1142
; %bb.1111:
	v_mov_b32_e32 v4, 24
	v_cmp_lt_i16_sdwa s[60:61], v6, v4 src0_sel:BYTE_0 src1_sel:DWORD
	s_mov_b64 s[58:59], -1
	s_and_b64 vcc, exec, s[60:61]
	s_cbranch_vccnz .LBB47_1131
; %bb.1112:
	v_cmp_gt_i16_sdwa s[60:61], v6, v4 src0_sel:BYTE_0 src1_sel:DWORD
	s_and_b64 vcc, exec, s[60:61]
	s_cbranch_vccz .LBB47_1120
; %bb.1113:
	v_lshlrev_b32_e32 v10, 16, v2
	v_and_b32_e32 v5, 0x7fffffff, v10
	s_mov_b32 s58, 0x47800000
	v_cmp_gt_u32_e32 vcc, s58, v5
	v_mov_b32_e32 v11, 0x80
	s_and_saveexec_b64 s[58:59], vcc
	s_cbranch_execz .LBB47_1119
; %bb.1114:
	s_mov_b32 s60, 0x37ffffff
	v_and_b32_e32 v4, 0xffff, v2
	v_cmp_lt_u32_e32 vcc, s60, v5
	s_mov_b64 s[60:61], 0
                                        ; implicit-def: $vgpr5
	s_and_saveexec_b64 s[62:63], vcc
	s_xor_b64 s[62:63], exec, s[62:63]
	s_cbranch_execz .LBB47_2280
; %bb.1115:
	v_bfe_u32 v5, v4, 5, 1
	s_mov_b32 s64, 0x88fffff
	v_add3_u32 v5, v10, v5, s64
	s_mov_b64 s[60:61], exec
	v_lshrrev_b32_e32 v5, 21, v5
                                        ; implicit-def: $vgpr10
	s_or_saveexec_b64 s[62:63], s[62:63]
                                        ; implicit-def: $sgpr64
	s_xor_b64 exec, exec, s[62:63]
	s_cbranch_execnz .LBB47_2281
.LBB47_1116:
	s_or_b64 exec, exec, s[62:63]
	v_mov_b32_e32 v11, s64
	s_and_saveexec_b64 s[62:63], s[60:61]
.LBB47_1117:
	v_lshrrev_b32_e32 v4, 8, v4
	s_movk_i32 s60, 0x80
	v_and_or_b32 v11, v4, s60, v5
.LBB47_1118:
	s_or_b64 exec, exec, s[62:63]
.LBB47_1119:
	s_or_b64 exec, exec, s[58:59]
	s_mov_b64 s[58:59], 0
	global_store_byte v[0:1], v11, off
.LBB47_1120:
	s_and_b64 vcc, exec, s[58:59]
	s_cbranch_vccz .LBB47_1130
; %bb.1121:
	v_lshlrev_b32_e32 v10, 16, v2
	v_and_b32_e32 v11, 0x7fffffff, v10
	s_mov_b32 s58, 0x43f00000
	v_and_b32_e32 v4, 0xffff, v2
	v_cmp_gt_u32_e32 vcc, s58, v11
                                        ; implicit-def: $vgpr5
	s_and_saveexec_b64 s[58:59], vcc
	s_xor_b64 s[58:59], exec, s[58:59]
	s_cbranch_execz .LBB47_1127
; %bb.1122:
	s_mov_b32 s60, 0x3c7fffff
	v_cmp_lt_u32_e32 vcc, s60, v11
                                        ; implicit-def: $vgpr5
	s_and_saveexec_b64 s[60:61], vcc
	s_xor_b64 s[60:61], exec, s[60:61]
; %bb.1123:
	v_bfe_u32 v5, v4, 4, 1
	s_mov_b32 s62, 0x407ffff
	v_add3_u32 v5, v10, v5, s62
	v_lshrrev_b32_e32 v10, 20, v5
	v_and_b32_e32 v5, 0xff00000, v5
	s_mov_b32 s62, 0x7f00000
	v_mov_b32_e32 v11, 0x7e
	v_cmp_ne_u32_e32 vcc, s62, v5
	v_cndmask_b32_e32 v5, v11, v10, vcc
                                        ; implicit-def: $vgpr10
; %bb.1124:
	s_andn2_saveexec_b64 s[60:61], s[60:61]
; %bb.1125:
	s_mov_b32 s62, 0x46800000
	v_add_f32_e64 v5, |v10|, s62
; %bb.1126:
	s_or_b64 exec, exec, s[60:61]
                                        ; implicit-def: $vgpr11
.LBB47_1127:
	s_andn2_saveexec_b64 s[58:59], s[58:59]
; %bb.1128:
	s_mov_b32 s60, 0x7f800000
	v_mov_b32_e32 v5, 0x7e
	v_mov_b32_e32 v10, 0x7f
	v_cmp_lt_u32_e32 vcc, s60, v11
	v_cndmask_b32_e32 v5, v5, v10, vcc
; %bb.1129:
	s_or_b64 exec, exec, s[58:59]
	v_lshrrev_b32_e32 v4, 8, v4
	s_movk_i32 s58, 0x80
	v_and_or_b32 v4, v4, s58, v5
	global_store_byte v[0:1], v4, off
.LBB47_1130:
	s_mov_b64 s[58:59], 0
.LBB47_1131:
	s_andn2_b64 vcc, exec, s[58:59]
	s_cbranch_vccnz .LBB47_1141
; %bb.1132:
	v_lshlrev_b32_e32 v10, 16, v2
	v_and_b32_e32 v11, 0x7fffffff, v10
	s_mov_b32 s58, 0x47800000
	v_and_b32_e32 v4, 0xffff, v2
	v_cmp_gt_u32_e32 vcc, s58, v11
                                        ; implicit-def: $vgpr5
	s_and_saveexec_b64 s[58:59], vcc
	s_xor_b64 s[58:59], exec, s[58:59]
	s_cbranch_execz .LBB47_1138
; %bb.1133:
	s_mov_b32 s60, 0x387fffff
	v_cmp_lt_u32_e32 vcc, s60, v11
                                        ; implicit-def: $vgpr5
	s_and_saveexec_b64 s[60:61], vcc
	s_xor_b64 s[60:61], exec, s[60:61]
; %bb.1134:
	v_bfe_u32 v5, v4, 5, 1
	s_mov_b32 s62, 0x80fffff
	v_add3_u32 v5, v10, v5, s62
	v_lshrrev_b32_e32 v5, 21, v5
                                        ; implicit-def: $vgpr10
; %bb.1135:
	s_andn2_saveexec_b64 s[60:61], s[60:61]
; %bb.1136:
	s_mov_b32 s62, 0x43000000
	v_add_f32_e64 v5, |v10|, s62
; %bb.1137:
	s_or_b64 exec, exec, s[60:61]
                                        ; implicit-def: $vgpr11
.LBB47_1138:
	s_andn2_saveexec_b64 s[58:59], s[58:59]
; %bb.1139:
	s_mov_b32 s60, 0x7f800000
	v_mov_b32_e32 v5, 0x7c
	v_mov_b32_e32 v10, 0x7f
	v_cmp_lt_u32_e32 vcc, s60, v11
	v_cndmask_b32_e32 v5, v5, v10, vcc
; %bb.1140:
	s_or_b64 exec, exec, s[58:59]
	v_lshrrev_b32_e32 v4, 8, v4
	s_movk_i32 s58, 0x80
	v_and_or_b32 v4, v4, s58, v5
	global_store_byte v[0:1], v4, off
.LBB47_1141:
	s_mov_b64 s[60:61], 0
	s_mov_b64 s[58:59], -1
.LBB47_1142:
	s_andn2_b64 vcc, exec, s[60:61]
	s_cbranch_vccnz .LBB47_1150
; %bb.1143:
	v_mov_b32_e32 v4, 14
	v_cmp_gt_i16_sdwa s[62:63], v6, v4 src0_sel:BYTE_0 src1_sel:DWORD
	s_mov_b64 s[60:61], -1
	s_and_b64 vcc, exec, s[62:63]
	s_cbranch_vccz .LBB47_1147
; %bb.1144:
	v_mov_b32_e32 v4, 15
	v_cmp_eq_u16_sdwa s[60:61], v6, v4 src0_sel:BYTE_0 src1_sel:DWORD
	s_mov_b64 s[0:1], -1
	s_and_b64 vcc, exec, s[60:61]
	s_cbranch_vccz .LBB47_1146
; %bb.1145:
	global_store_short v[0:1], v2, off
	s_mov_b64 s[58:59], -1
	s_mov_b64 s[0:1], 0
.LBB47_1146:
	s_mov_b64 s[60:61], 0
.LBB47_1147:
	s_and_b64 vcc, exec, s[60:61]
	s_cbranch_vccz .LBB47_1150
; %bb.1148:
	v_mov_b32_e32 v4, 11
	v_cmp_eq_u16_sdwa s[60:61], v6, v4 src0_sel:BYTE_0 src1_sel:DWORD
	s_mov_b64 s[0:1], -1
	s_and_b64 vcc, exec, s[60:61]
	s_cbranch_vccz .LBB47_1150
; %bb.1149:
	v_cmp_ne_u16_e32 vcc, 0, v3
	v_cndmask_b32_e64 v3, 0, 1, vcc
	s_mov_b64 s[58:59], -1
	s_mov_b64 s[0:1], 0
	global_store_byte v[0:1], v3, off
.LBB47_1150:
	s_mov_b64 s[60:61], 0
.LBB47_1151:
	s_and_b64 vcc, exec, s[60:61]
	s_cbranch_vccz .LBB47_1190
; %bb.1152:
	v_mov_b32_e32 v3, 5
	v_cmp_lt_i16_sdwa s[60:61], v6, v3 src0_sel:BYTE_0 src1_sel:DWORD
	s_mov_b64 s[58:59], -1
	s_and_b64 vcc, exec, s[60:61]
	s_cbranch_vccnz .LBB47_1173
; %bb.1153:
	v_mov_b32_e32 v3, 8
	v_cmp_lt_i16_sdwa s[60:61], v6, v3 src0_sel:BYTE_0 src1_sel:DWORD
	s_and_b64 vcc, exec, s[60:61]
	s_cbranch_vccnz .LBB47_1163
; %bb.1154:
	v_mov_b32_e32 v3, 9
	v_cmp_lt_i16_sdwa s[60:61], v6, v3 src0_sel:BYTE_0 src1_sel:DWORD
	s_and_b64 vcc, exec, s[60:61]
	s_cbranch_vccnz .LBB47_1160
; %bb.1155:
	v_cmp_gt_i16_sdwa s[60:61], v6, v3 src0_sel:BYTE_0 src1_sel:DWORD
	s_and_b64 vcc, exec, s[60:61]
	s_cbranch_vccz .LBB47_1157
; %bb.1156:
	v_lshlrev_b32_e32 v3, 16, v2
	v_mov_b32_e32 v12, 0
	v_cvt_f64_f32_e32 v[10:11], v3
	v_mov_b32_e32 v13, v12
	s_mov_b64 s[58:59], 0
	global_store_dwordx4 v[0:1], v[10:13], off
.LBB47_1157:
	s_andn2_b64 vcc, exec, s[58:59]
	s_cbranch_vccnz .LBB47_1159
; %bb.1158:
	v_lshlrev_b32_e32 v4, 16, v2
	v_mov_b32_e32 v5, 0
	global_store_dwordx2 v[0:1], v[4:5], off
.LBB47_1159:
	s_mov_b64 s[58:59], 0
.LBB47_1160:
	s_andn2_b64 vcc, exec, s[58:59]
	s_cbranch_vccnz .LBB47_1162
; %bb.1161:
	v_lshlrev_b32_e32 v3, 16, v2
	v_cvt_f16_f32_e32 v3, v3
	global_store_dword v[0:1], v3, off
.LBB47_1162:
	s_mov_b64 s[58:59], 0
.LBB47_1163:
	s_andn2_b64 vcc, exec, s[58:59]
	s_cbranch_vccnz .LBB47_1172
; %bb.1164:
	v_mov_b32_e32 v3, 6
	v_cmp_lt_i16_sdwa s[60:61], v6, v3 src0_sel:BYTE_0 src1_sel:DWORD
	s_mov_b64 s[58:59], -1
	s_and_b64 vcc, exec, s[60:61]
	s_cbranch_vccnz .LBB47_1170
; %bb.1165:
	v_cmp_gt_i16_sdwa s[60:61], v6, v3 src0_sel:BYTE_0 src1_sel:DWORD
	s_and_b64 vcc, exec, s[60:61]
	s_cbranch_vccz .LBB47_1167
; %bb.1166:
	v_lshlrev_b32_e32 v3, 16, v2
	v_cvt_f64_f32_e32 v[4:5], v3
	s_mov_b64 s[58:59], 0
	global_store_dwordx2 v[0:1], v[4:5], off
.LBB47_1167:
	s_andn2_b64 vcc, exec, s[58:59]
	s_cbranch_vccnz .LBB47_1169
; %bb.1168:
	v_lshlrev_b32_e32 v3, 16, v2
	global_store_dword v[0:1], v3, off
.LBB47_1169:
	s_mov_b64 s[58:59], 0
.LBB47_1170:
	s_andn2_b64 vcc, exec, s[58:59]
	s_cbranch_vccnz .LBB47_1172
; %bb.1171:
	v_lshlrev_b32_e32 v3, 16, v2
	v_cvt_f16_f32_e32 v3, v3
	global_store_short v[0:1], v3, off
.LBB47_1172:
	s_mov_b64 s[58:59], 0
.LBB47_1173:
	s_andn2_b64 vcc, exec, s[58:59]
	s_cbranch_vccnz .LBB47_1189
; %bb.1174:
	v_mov_b32_e32 v3, 2
	v_cmp_lt_i16_sdwa s[60:61], v6, v3 src0_sel:BYTE_0 src1_sel:DWORD
	s_mov_b64 s[58:59], -1
	s_and_b64 vcc, exec, s[60:61]
	s_cbranch_vccnz .LBB47_1184
; %bb.1175:
	v_mov_b32_e32 v3, 3
	v_cmp_lt_i16_sdwa s[60:61], v6, v3 src0_sel:BYTE_0 src1_sel:DWORD
	s_and_b64 vcc, exec, s[60:61]
	s_cbranch_vccnz .LBB47_1181
; %bb.1176:
	v_cmp_gt_i16_sdwa s[60:61], v6, v3 src0_sel:BYTE_0 src1_sel:DWORD
	s_and_b64 vcc, exec, s[60:61]
	s_cbranch_vccz .LBB47_1178
; %bb.1177:
	v_lshlrev_b32_e32 v3, 16, v2
	v_trunc_f32_e32 v3, v3
	s_mov_b32 s58, 0x2f800000
	v_mul_f32_e64 v4, |v3|, s58
	v_floor_f32_e32 v4, v4
	s_mov_b32 s58, 0xcf800000
	v_cvt_u32_f32_e32 v5, v4
	v_fma_f32 v4, v4, s58, |v3|
	v_cvt_u32_f32_e32 v4, v4
	v_ashrrev_i32_e32 v3, 31, v3
	v_xor_b32_e32 v5, v5, v3
	s_mov_b64 s[58:59], 0
	v_xor_b32_e32 v4, v4, v3
	v_sub_co_u32_e32 v4, vcc, v4, v3
	v_subb_co_u32_e32 v5, vcc, v5, v3, vcc
	global_store_dwordx2 v[0:1], v[4:5], off
.LBB47_1178:
	s_andn2_b64 vcc, exec, s[58:59]
	s_cbranch_vccnz .LBB47_1180
; %bb.1179:
	v_lshlrev_b32_e32 v3, 16, v2
	v_cvt_i32_f32_e32 v3, v3
	global_store_dword v[0:1], v3, off
.LBB47_1180:
	s_mov_b64 s[58:59], 0
.LBB47_1181:
	s_andn2_b64 vcc, exec, s[58:59]
	s_cbranch_vccnz .LBB47_1183
; %bb.1182:
	v_lshlrev_b32_e32 v3, 16, v2
	v_cvt_i32_f32_e32 v3, v3
	global_store_short v[0:1], v3, off
.LBB47_1183:
	s_mov_b64 s[58:59], 0
.LBB47_1184:
	s_andn2_b64 vcc, exec, s[58:59]
	s_cbranch_vccnz .LBB47_1189
; %bb.1185:
	v_mov_b32_e32 v3, 0
	v_cmp_gt_i16_sdwa s[60:61], v6, v3 src0_sel:BYTE_0 src1_sel:DWORD
	s_mov_b64 s[58:59], -1
	s_and_b64 vcc, exec, s[60:61]
	v_lshlrev_b32_e32 v2, 16, v2
	s_cbranch_vccz .LBB47_1187
; %bb.1186:
	v_cvt_i32_f32_e32 v3, v2
	s_mov_b64 s[58:59], 0
	global_store_byte v[0:1], v3, off
.LBB47_1187:
	s_andn2_b64 vcc, exec, s[58:59]
	s_cbranch_vccnz .LBB47_1189
; %bb.1188:
	v_trunc_f32_e32 v2, v2
	s_mov_b32 s58, 0x2f800000
	v_mul_f32_e64 v3, |v2|, s58
	v_floor_f32_e32 v3, v3
	s_mov_b32 s58, 0xcf800000
	v_fma_f32 v3, v3, s58, |v2|
	v_cvt_u32_f32_e32 v3, v3
	v_ashrrev_i32_e32 v2, 31, v2
	v_xor_b32_e32 v3, v3, v2
	v_sub_u32_e32 v2, v3, v2
	global_store_byte v[0:1], v2, off
.LBB47_1189:
	s_mov_b64 s[58:59], -1
.LBB47_1190:
	s_andn2_b64 vcc, exec, s[58:59]
	s_cbranch_vccnz .LBB47_1214
; %bb.1191:
	v_add_u32_e32 v8, 0x80, v8
	s_mov_b64 s[60:61], -1
.LBB47_1192:
	s_andn2_b64 s[58:59], s[48:49], exec
	s_and_b64 s[0:1], s[0:1], exec
	s_or_b64 s[58:59], s[58:59], s[0:1]
	s_andn2_b64 s[0:1], s[46:47], exec
	s_and_b64 s[56:57], s[56:57], exec
	s_or_b64 s[56:57], s[0:1], s[56:57]
	;; [unrolled: 3-line block ×3, first 2 shown]
	s_orn2_b64 s[64:65], s[60:61], exec
.LBB47_1193:
	s_or_b64 exec, exec, s[52:53]
	s_mov_b64 s[60:61], 0
	s_mov_b64 s[54:55], 0
	;; [unrolled: 1-line block ×3, first 2 shown]
                                        ; implicit-def: $vgpr3
                                        ; implicit-def: $vgpr4_vgpr5
                                        ; implicit-def: $vgpr2
                                        ; implicit-def: $vgpr0
                                        ; implicit-def: $vgpr1
	s_and_saveexec_b64 s[52:53], s[64:65]
	s_cbranch_execz .LBB47_1287
; %bb.1194:
	v_cmp_gt_i32_e32 vcc, s66, v8
	s_mov_b64 s[64:65], s[0:1]
	s_mov_b64 s[66:67], 0
                                        ; implicit-def: $vgpr3
                                        ; implicit-def: $vgpr4_vgpr5
                                        ; implicit-def: $vgpr2
                                        ; implicit-def: $vgpr0
                                        ; implicit-def: $vgpr1
	s_and_saveexec_b64 s[54:55], vcc
	s_cbranch_execz .LBB47_1286
; %bb.1195:
	s_andn2_b64 vcc, exec, s[20:21]
	s_cbranch_vccnz .LBB47_1202
; %bb.1196:
	s_andn2_b64 vcc, exec, s[34:35]
	v_mov_b32_e32 v2, 0
	s_waitcnt vmcnt(0)
	v_mov_b32_e32 v4, 0
	v_mov_b32_e32 v0, 0
	s_cbranch_vccnz .LBB47_1201
; %bb.1197:
	s_add_i32 s34, s69, 1
	s_and_b32 s60, s34, 30
	s_add_u32 s34, s2, 0xffffffec
	s_addc_u32 s35, s3, -1
	v_mov_b32_e32 v0, 0
	v_mov_b32_e32 v1, v8
	;; [unrolled: 1-line block ×4, first 2 shown]
.LBB47_1198:                            ; =>This Inner Loop Header: Depth=1
	s_mov_b64 s[62:63], s[34:35]
	s_load_dwordx4 s[64:67], s[62:63], 0x18
	s_load_dwordx2 s[70:71], s[62:63], 0x28
	s_load_dwordx2 s[76:77], s[62:63], 0xe8
	s_load_dwordx4 s[72:75], s[62:63], 0xd8
	s_add_u32 s34, s62, 24
	s_waitcnt lgkmcnt(0)
	v_mul_hi_u32 v3, s65, v1
	v_add_u32_e32 v3, v1, v3
	v_lshrrev_b32_e32 v3, s66, v3
	v_mul_lo_u32 v5, v3, s64
	v_mul_hi_u32 v10, s70, v3
	v_sub_u32_e32 v1, v1, v5
	v_add_u32_e32 v5, v3, v10
	v_mul_lo_u32 v10, v1, s72
	v_mul_lo_u32 v11, v1, s73
	;; [unrolled: 1-line block ×3, first 2 shown]
	v_lshrrev_b32_e32 v1, s71, v5
	v_mul_lo_u32 v5, v1, s67
	v_sub_u32_e32 v3, v3, v5
	s_addc_u32 s35, s63, 0
	s_add_i32 s60, s60, -2
	v_mul_lo_u32 v5, v3, s75
	v_mul_lo_u32 v13, v3, s76
	;; [unrolled: 1-line block ×3, first 2 shown]
	s_cmp_eq_u32 s60, 0
	v_add3_u32 v0, v10, v0, v5
	v_add3_u32 v2, v12, v2, v3
	;; [unrolled: 1-line block ×3, first 2 shown]
	s_cbranch_scc0 .LBB47_1198
; %bb.1199:
	s_bitcmp1_b32 s69, 0
	s_cselect_b64 s[60:61], -1, 0
	s_and_b64 vcc, exec, s[60:61]
	s_cbranch_vccnz .LBB47_1201
; %bb.1200:
	s_load_dwordx2 s[60:61], s[34:35], 0x18
	s_load_dword s62, s[34:35], 0x20
	s_load_dword s63, s[34:35], 0xe0
	s_nop 0
	s_load_dwordx2 s[34:35], s[34:35], 0xd8
	s_waitcnt lgkmcnt(0)
	v_mul_hi_u32 v3, s61, v1
	v_add_u32_e32 v3, v1, v3
	v_lshrrev_b32_e32 v3, s62, v3
	v_mul_lo_u32 v3, v3, s60
	v_sub_u32_e32 v3, v1, v3
	v_mad_u64_u32 v[0:1], s[60:61], v3, s34, v[0:1]
	v_mad_u64_u32 v[4:5], s[34:35], v3, s35, v[4:5]
	;; [unrolled: 1-line block ×3, first 2 shown]
.LBB47_1201:
	s_mov_b64 s[34:35], 0
	s_branch .LBB47_1203
.LBB47_1202:
	s_mov_b64 s[34:35], -1
                                        ; implicit-def: $vgpr2
                                        ; implicit-def: $vgpr4
                                        ; implicit-def: $vgpr0
.LBB47_1203:
	s_andn2_b64 vcc, exec, s[34:35]
	s_cbranch_vccnz .LBB47_1206
; %bb.1204:
	s_waitcnt lgkmcnt(0)
	v_mul_hi_u32 v0, s17, v8
	v_add_u32_e32 v0, v8, v0
	s_waitcnt vmcnt(0)
	v_lshrrev_b32_e32 v1, s18, v0
	v_mul_lo_u32 v0, v1, s16
	v_sub_u32_e32 v3, v8, v0
	v_mul_lo_u32 v0, v3, s12
	v_mul_lo_u32 v2, v3, s14
	s_andn2_b64 vcc, exec, s[30:31]
	v_mul_lo_u32 v4, v3, s13
	s_cbranch_vccnz .LBB47_1206
; %bb.1205:
	v_mul_hi_u32 v3, s28, v1
	v_add_u32_e32 v3, v1, v3
	v_lshrrev_b32_e32 v3, s29, v3
	v_mul_lo_u32 v3, v3, s19
	v_sub_u32_e32 v3, v1, v3
	v_mad_u64_u32 v[0:1], s[12:13], v3, s15, v[0:1]
	v_mad_u64_u32 v[4:5], s[12:13], v3, s26, v[4:5]
	v_mad_u64_u32 v[2:3], s[12:13], v3, s27, v[2:3]
.LBB47_1206:
	s_waitcnt vmcnt(0) lgkmcnt(0)
	v_mov_b32_e32 v1, s11
	v_add_co_u32_e32 v4, vcc, s10, v4
	v_addc_co_u32_e32 v5, vcc, 0, v1, vcc
	v_and_b32_e32 v3, 0xff, v9
	v_cmp_gt_i16_e32 vcc, 11, v3
	s_cbranch_vccnz .LBB47_1213
; %bb.1207:
	v_cmp_lt_i16_e32 vcc, 25, v3
	s_mov_b64 s[12:13], 0
	s_cbranch_vccz .LBB47_1215
; %bb.1208:
	v_cmp_lt_i16_e32 vcc, 28, v3
	s_cbranch_vccz .LBB47_1216
; %bb.1209:
	v_cmp_lt_i16_e32 vcc, 43, v3
	;; [unrolled: 3-line block ×3, first 2 shown]
	s_cbranch_vccz .LBB47_1218
; %bb.1211:
	v_cmp_eq_u16_e32 vcc, 46, v3
	s_mov_b64 s[16:17], 0
	s_cbranch_vccz .LBB47_1221
; %bb.1212:
	global_load_dword v1, v[4:5], off
	s_mov_b64 s[10:11], 0
	s_mov_b64 s[14:15], -1
	s_branch .LBB47_1222
.LBB47_1213:
	s_mov_b64 s[16:17], -1
	s_mov_b64 s[14:15], 0
	s_mov_b64 s[12:13], 0
	;; [unrolled: 1-line block ×3, first 2 shown]
                                        ; implicit-def: $vgpr1
	s_branch .LBB47_1285
.LBB47_1214:
	s_mov_b64 s[60:61], 0
	s_branch .LBB47_945
.LBB47_1215:
	s_mov_b64 s[16:17], -1
	s_mov_b64 s[14:15], 0
	s_mov_b64 s[10:11], s[0:1]
                                        ; implicit-def: $vgpr1
	s_branch .LBB47_1251
.LBB47_1216:
	s_mov_b64 s[16:17], -1
	s_mov_b64 s[14:15], 0
	s_mov_b64 s[10:11], s[0:1]
                                        ; implicit-def: $vgpr1
	s_branch .LBB47_1232
.LBB47_1217:
	s_mov_b64 s[16:17], -1
	s_mov_b64 s[14:15], 0
	s_mov_b64 s[10:11], s[0:1]
                                        ; implicit-def: $vgpr1
	s_branch .LBB47_1227
.LBB47_1218:
	s_mov_b64 s[16:17], -1
	s_mov_b64 s[14:15], 0
	s_mov_b64 s[10:11], s[0:1]
                                        ; implicit-def: $vgpr1
	s_branch .LBB47_1222
.LBB47_1219:
	s_or_saveexec_b64 s[62:63], s[62:63]
                                        ; implicit-def: $sgpr64
	s_xor_b64 exec, exec, s[62:63]
	s_cbranch_execz .LBB47_1103
.LBB47_1220:
	s_mov_b32 s64, 0x46000000
	v_add_f32_e64 v5, |v10|, s64
	v_and_b32_e32 v5, 0xff, v5
	v_cmp_ne_u32_e32 vcc, 0, v5
	s_andn2_b64 s[60:61], s[60:61], exec
	s_and_b64 s[70:71], vcc, exec
	s_mov_b32 s64, 0
	s_or_b64 s[60:61], s[60:61], s[70:71]
	s_or_b64 exec, exec, s[62:63]
	v_mov_b32_e32 v11, s64
	s_and_saveexec_b64 s[62:63], s[60:61]
	s_cbranch_execnz .LBB47_1104
	s_branch .LBB47_1105
.LBB47_1221:
	s_mov_b64 s[10:11], -1
                                        ; implicit-def: $vgpr1
	s_mov_b64 s[14:15], 0
.LBB47_1222:
	s_and_b64 vcc, exec, s[16:17]
	s_cbranch_vccz .LBB47_1226
; %bb.1223:
	v_cmp_eq_u16_e32 vcc, 44, v3
	s_cbranch_vccz .LBB47_1225
; %bb.1224:
	global_load_ubyte v1, v[4:5], off
	s_movk_i32 s14, 0xff
	v_mov_b32_e32 v8, 0x7f800001
	v_mov_b32_e32 v9, 0x400000
	;; [unrolled: 1-line block ×3, first 2 shown]
	s_mov_b64 s[10:11], 0
	s_waitcnt vmcnt(0)
	v_lshlrev_b32_e32 v11, 23, v1
	v_cmp_ne_u32_e32 vcc, s14, v1
	v_cndmask_b32_e32 v8, v8, v11, vcc
	v_cmp_ne_u32_e32 vcc, 0, v1
	v_cndmask_b32_e32 v1, v9, v8, vcc
	v_add_u32_e32 v8, 0x7fff, v1
	v_lshrrev_b32_e32 v8, 16, v8
	v_cmp_o_f32_e32 vcc, v1, v1
	v_cndmask_b32_e32 v1, v10, v8, vcc
	s_mov_b64 s[14:15], -1
	s_branch .LBB47_1226
.LBB47_1225:
	s_mov_b64 s[10:11], -1
                                        ; implicit-def: $vgpr1
.LBB47_1226:
	s_mov_b64 s[16:17], 0
.LBB47_1227:
	s_and_b64 vcc, exec, s[16:17]
	s_cbranch_vccz .LBB47_1231
; %bb.1228:
	v_cmp_eq_u16_e32 vcc, 29, v3
	s_cbranch_vccz .LBB47_1230
; %bb.1229:
	global_load_dwordx2 v[8:9], v[4:5], off
	s_movk_i32 s14, 0x7fff
	s_mov_b64 s[10:11], 0
	s_mov_b64 s[16:17], 0
	s_waitcnt vmcnt(0)
	v_ffbh_u32_e32 v1, v9
	v_min_u32_e32 v1, 32, v1
	v_lshlrev_b64 v[8:9], v1, v[8:9]
	v_min_u32_e32 v8, 1, v8
	v_or_b32_e32 v8, v9, v8
	v_cvt_f32_u32_e32 v8, v8
	v_sub_u32_e32 v1, 32, v1
	v_ldexp_f32 v1, v8, v1
	v_bfe_u32 v8, v1, 16, 1
	v_add3_u32 v1, v1, v8, s14
	v_lshrrev_b32_e32 v1, 16, v1
	s_mov_b64 s[14:15], -1
	s_branch .LBB47_1232
.LBB47_1230:
	s_mov_b64 s[10:11], -1
                                        ; implicit-def: $vgpr1
.LBB47_1231:
	s_mov_b64 s[16:17], 0
.LBB47_1232:
	s_and_b64 vcc, exec, s[16:17]
	s_cbranch_vccz .LBB47_1250
; %bb.1233:
	v_cmp_gt_i16_e32 vcc, 27, v3
	s_cbranch_vccnz .LBB47_1236
; %bb.1234:
	v_cmp_lt_i16_e32 vcc, 27, v3
	s_cbranch_vccz .LBB47_1237
; %bb.1235:
	global_load_dword v1, v[4:5], off
	s_movk_i32 s14, 0x7fff
	s_waitcnt vmcnt(0)
	v_cvt_f32_u32_e32 v1, v1
	v_bfe_u32 v8, v1, 16, 1
	v_add3_u32 v1, v1, v8, s14
	v_lshrrev_b32_e32 v1, 16, v1
	s_mov_b64 s[14:15], 0
	s_branch .LBB47_1238
.LBB47_1236:
	s_mov_b64 s[14:15], -1
                                        ; implicit-def: $vgpr1
	s_branch .LBB47_1241
.LBB47_1237:
	s_mov_b64 s[14:15], -1
                                        ; implicit-def: $vgpr1
.LBB47_1238:
	s_andn2_b64 vcc, exec, s[14:15]
	s_cbranch_vccnz .LBB47_1240
; %bb.1239:
	global_load_ushort v1, v[4:5], off
	s_movk_i32 s14, 0x7fff
	s_waitcnt vmcnt(0)
	v_cvt_f32_u32_e32 v1, v1
	v_bfe_u32 v8, v1, 16, 1
	v_add3_u32 v1, v1, v8, s14
	v_lshrrev_b32_e32 v1, 16, v1
.LBB47_1240:
	s_mov_b64 s[14:15], 0
.LBB47_1241:
	s_andn2_b64 vcc, exec, s[14:15]
	s_cbranch_vccnz .LBB47_1249
; %bb.1242:
	global_load_ubyte v1, v[4:5], off
	s_movk_i32 s14, 0x7f
                                        ; implicit-def: $sgpr26
	s_waitcnt vmcnt(0)
	v_cmp_lt_i16_e32 vcc, s14, v1
	s_mov_b64 s[14:15], 0
	s_and_saveexec_b64 s[16:17], vcc
	s_xor_b64 s[16:17], exec, s[16:17]
	s_cbranch_execz .LBB47_1263
; %bb.1243:
	s_movk_i32 s14, 0x80
	v_cmp_eq_u16_e32 vcc, s14, v1
	s_mov_b64 s[14:15], -1
                                        ; implicit-def: $sgpr26
	s_and_saveexec_b64 s[18:19], vcc
; %bb.1244:
	s_mov_b32 s26, 0x7f800001
	s_xor_b64 s[14:15], exec, -1
; %bb.1245:
	s_or_b64 exec, exec, s[18:19]
	s_and_b64 s[14:15], s[14:15], exec
	s_or_saveexec_b64 s[16:17], s[16:17]
	v_mov_b32_e32 v8, s26
	s_xor_b64 exec, exec, s[16:17]
	s_cbranch_execnz .LBB47_1264
.LBB47_1246:
	s_or_b64 exec, exec, s[16:17]
	s_and_saveexec_b64 s[16:17], s[14:15]
	s_cbranch_execz .LBB47_1248
.LBB47_1247:
	v_lshlrev_b32_e32 v8, 24, v1
	v_and_b32_e32 v1, 0xffff, v1
	v_and_b32_e32 v9, 7, v1
	v_ffbh_u32_e32 v11, v9
	v_min_u32_e32 v11, 32, v11
	v_subrev_u32_e32 v12, 28, v11
	v_bfe_u32 v10, v1, 3, 4
	v_lshlrev_b32_e32 v1, v12, v1
	v_sub_u32_e32 v11, 29, v11
	v_and_b32_e32 v1, 7, v1
	v_cmp_eq_u32_e32 vcc, 0, v10
	v_cndmask_b32_e32 v10, v10, v11, vcc
	v_cndmask_b32_e32 v1, v9, v1, vcc
	v_mov_b32_e32 v9, 0x3b800000
	v_lshlrev_b32_e32 v1, 20, v1
	v_and_b32_e32 v8, 0x80000000, v8
	v_lshl_add_u32 v9, v10, 23, v9
	v_or3_b32 v8, v8, v9, v1
.LBB47_1248:
	s_or_b64 exec, exec, s[16:17]
	v_bfe_u32 v1, v8, 16, 1
	s_movk_i32 s14, 0x7fff
	v_add3_u32 v1, v8, v1, s14
	v_lshrrev_b32_e32 v1, 16, v1
	v_mov_b32_e32 v9, 0x7fc0
	v_cmp_o_f32_e32 vcc, v8, v8
	v_cndmask_b32_e32 v1, v9, v1, vcc
.LBB47_1249:
	s_mov_b64 s[14:15], -1
.LBB47_1250:
	s_mov_b64 s[16:17], 0
.LBB47_1251:
	s_and_b64 vcc, exec, s[16:17]
	s_cbranch_vccz .LBB47_1284
; %bb.1252:
	v_cmp_lt_i16_e32 vcc, 22, v3
	s_cbranch_vccz .LBB47_1262
; %bb.1253:
	v_cmp_gt_i16_e32 vcc, 24, v3
	s_cbranch_vccnz .LBB47_1265
; %bb.1254:
	v_cmp_lt_i16_e32 vcc, 24, v3
	s_cbranch_vccz .LBB47_1266
; %bb.1255:
	global_load_ubyte v1, v[4:5], off
	s_movk_i32 s12, 0x7f
                                        ; implicit-def: $sgpr18
	s_waitcnt vmcnt(0)
	v_cmp_lt_i16_e32 vcc, s12, v1
	s_mov_b64 s[12:13], 0
	s_and_saveexec_b64 s[14:15], vcc
	s_xor_b64 s[14:15], exec, s[14:15]
	s_cbranch_execz .LBB47_1278
; %bb.1256:
	s_movk_i32 s12, 0x80
	v_cmp_eq_u16_e32 vcc, s12, v1
	s_mov_b64 s[12:13], -1
                                        ; implicit-def: $sgpr18
	s_and_saveexec_b64 s[16:17], vcc
; %bb.1257:
	s_mov_b32 s18, 0x7f800001
	s_xor_b64 s[12:13], exec, -1
; %bb.1258:
	s_or_b64 exec, exec, s[16:17]
	s_and_b64 s[12:13], s[12:13], exec
	s_or_saveexec_b64 s[14:15], s[14:15]
	v_mov_b32_e32 v8, s18
	s_xor_b64 exec, exec, s[14:15]
	s_cbranch_execnz .LBB47_1279
.LBB47_1259:
	s_or_b64 exec, exec, s[14:15]
	s_and_saveexec_b64 s[14:15], s[12:13]
	s_cbranch_execz .LBB47_1261
.LBB47_1260:
	v_lshlrev_b32_e32 v8, 24, v1
	v_and_b32_e32 v1, 0xffff, v1
	v_and_b32_e32 v9, 3, v1
	v_ffbh_u32_e32 v11, v9
	v_min_u32_e32 v11, 32, v11
	v_subrev_u32_e32 v12, 29, v11
	v_bfe_u32 v10, v1, 2, 5
	v_lshlrev_b32_e32 v1, v12, v1
	v_sub_u32_e32 v11, 30, v11
	v_and_b32_e32 v1, 3, v1
	v_cmp_eq_u32_e32 vcc, 0, v10
	v_cndmask_b32_e32 v10, v10, v11, vcc
	v_cndmask_b32_e32 v1, v9, v1, vcc
	v_mov_b32_e32 v9, 0x37800000
	v_lshlrev_b32_e32 v1, 21, v1
	v_and_b32_e32 v8, 0x80000000, v8
	v_lshl_add_u32 v9, v10, 23, v9
	v_or3_b32 v8, v8, v9, v1
.LBB47_1261:
	s_or_b64 exec, exec, s[14:15]
	v_bfe_u32 v1, v8, 16, 1
	s_movk_i32 s12, 0x7fff
	v_add3_u32 v1, v8, v1, s12
	v_lshrrev_b32_e32 v1, 16, v1
	v_mov_b32_e32 v9, 0x7fc0
	v_cmp_o_f32_e32 vcc, v8, v8
	v_cndmask_b32_e32 v1, v9, v1, vcc
	s_mov_b64 s[12:13], 0
	s_branch .LBB47_1267
.LBB47_1262:
	s_mov_b64 s[12:13], -1
                                        ; implicit-def: $vgpr1
	s_branch .LBB47_1273
.LBB47_1263:
	s_or_saveexec_b64 s[16:17], s[16:17]
	v_mov_b32_e32 v8, s26
	s_xor_b64 exec, exec, s[16:17]
	s_cbranch_execz .LBB47_1246
.LBB47_1264:
	v_cmp_ne_u16_e32 vcc, 0, v1
	s_andn2_b64 s[14:15], s[14:15], exec
	s_and_b64 s[18:19], vcc, exec
	v_mov_b32_e32 v8, 0
	s_or_b64 s[14:15], s[14:15], s[18:19]
	s_or_b64 exec, exec, s[16:17]
	s_and_saveexec_b64 s[16:17], s[14:15]
	s_cbranch_execnz .LBB47_1247
	s_branch .LBB47_1248
.LBB47_1265:
	s_mov_b64 s[12:13], -1
                                        ; implicit-def: $vgpr1
	s_branch .LBB47_1270
.LBB47_1266:
	s_mov_b64 s[12:13], -1
                                        ; implicit-def: $vgpr1
.LBB47_1267:
	s_and_b64 vcc, exec, s[12:13]
	s_cbranch_vccz .LBB47_1269
; %bb.1268:
	global_load_ubyte v1, v[4:5], off
	s_mov_b32 s12, 0x7f800000
	s_brev_b32 s13, 1
	s_movk_i32 s14, 0x7fff
	v_mov_b32_e32 v8, 0x7fc0
	s_waitcnt vmcnt(0)
	v_lshlrev_b32_e32 v1, 24, v1
	v_and_b32_e32 v9, 0x7f000000, v1
	v_ffbh_u32_e32 v10, v9
	v_min_u32_e32 v10, 32, v10
	v_sub_u32_e64 v10, v10, 4 clamp
	v_lshlrev_b32_e32 v12, v10, v9
	v_lshlrev_b32_e32 v10, 23, v10
	v_lshrrev_b32_e32 v12, 4, v12
	v_add_u32_e32 v11, 0x1000000, v9
	v_sub_u32_e32 v10, v12, v10
	v_ashrrev_i32_e32 v11, 8, v11
	v_add_u32_e32 v10, 0x3c000000, v10
	v_and_or_b32 v10, v11, s12, v10
	v_cmp_ne_u32_e32 vcc, 0, v9
	v_cndmask_b32_e32 v9, 0, v10, vcc
	v_and_or_b32 v1, v1, s13, v9
	v_bfe_u32 v9, v9, 16, 1
	v_add3_u32 v9, v1, v9, s14
	v_lshrrev_b32_e32 v9, 16, v9
	v_cmp_o_f32_e32 vcc, v1, v1
	v_cndmask_b32_e32 v1, v8, v9, vcc
.LBB47_1269:
	s_mov_b64 s[12:13], 0
.LBB47_1270:
	s_andn2_b64 vcc, exec, s[12:13]
	s_cbranch_vccnz .LBB47_1272
; %bb.1271:
	global_load_ubyte v1, v[4:5], off
	s_movk_i32 s12, 0x7f00
	s_brev_b32 s13, 16
	s_brev_b32 s14, 1
	s_movk_i32 s15, 0x7fff
	v_mov_b32_e32 v8, 0x7fc0
	s_waitcnt vmcnt(0)
	v_lshlrev_b16_e32 v9, 8, v1
	v_lshlrev_b32_e32 v1, 25, v1
	v_lshrrev_b32_e32 v10, 4, v1
	v_and_or_b32 v11, v9, s12, 0.5
	v_or_b32_e32 v10, 0x70000000, v10
	v_add_f32_e32 v11, -0.5, v11
	v_mul_f32_e32 v10, 0x7800000, v10
	v_cmp_gt_u32_e32 vcc, s13, v1
	v_bfe_i32 v9, v9, 0, 16
	v_cndmask_b32_e32 v1, v10, v11, vcc
	v_and_or_b32 v9, v9, s14, v1
	v_bfe_u32 v1, v1, 16, 1
	v_add3_u32 v1, v9, v1, s15
	v_lshrrev_b32_e32 v1, 16, v1
	v_cmp_o_f32_e32 vcc, v9, v9
	v_cndmask_b32_e32 v1, v8, v1, vcc
.LBB47_1272:
	s_mov_b64 s[12:13], 0
	s_mov_b64 s[14:15], -1
.LBB47_1273:
	s_andn2_b64 vcc, exec, s[12:13]
	s_mov_b64 s[12:13], 0
	s_cbranch_vccnz .LBB47_1284
; %bb.1274:
	v_cmp_lt_i16_e32 vcc, 14, v3
	s_cbranch_vccz .LBB47_1277
; %bb.1275:
	v_cmp_eq_u16_e32 vcc, 15, v3
	s_cbranch_vccz .LBB47_1280
; %bb.1276:
	global_load_ushort v1, v[4:5], off
	s_mov_b64 s[10:11], 0
	s_mov_b64 s[14:15], -1
	s_branch .LBB47_1281
.LBB47_1277:
	s_mov_b64 s[16:17], -1
                                        ; implicit-def: $vgpr1
	s_branch .LBB47_1282
.LBB47_1278:
	s_or_saveexec_b64 s[14:15], s[14:15]
	v_mov_b32_e32 v8, s18
	s_xor_b64 exec, exec, s[14:15]
	s_cbranch_execz .LBB47_1259
.LBB47_1279:
	v_cmp_ne_u16_e32 vcc, 0, v1
	s_andn2_b64 s[12:13], s[12:13], exec
	s_and_b64 s[16:17], vcc, exec
	v_mov_b32_e32 v8, 0
	s_or_b64 s[12:13], s[12:13], s[16:17]
	s_or_b64 exec, exec, s[14:15]
	s_and_saveexec_b64 s[14:15], s[12:13]
	s_cbranch_execnz .LBB47_1260
	s_branch .LBB47_1261
.LBB47_1280:
	s_mov_b64 s[10:11], -1
                                        ; implicit-def: $vgpr1
.LBB47_1281:
	s_mov_b64 s[16:17], 0
.LBB47_1282:
	s_and_b64 vcc, exec, s[16:17]
	s_cbranch_vccz .LBB47_1284
; %bb.1283:
	v_cmp_ne_u16_e32 vcc, 11, v3
	s_andn2_b64 s[10:11], s[10:11], exec
	s_and_b64 s[16:17], vcc, exec
	s_mov_b64 s[12:13], -1
	s_or_b64 s[10:11], s[10:11], s[16:17]
                                        ; implicit-def: $vgpr1
.LBB47_1284:
	s_mov_b64 s[16:17], 0
.LBB47_1285:
	s_and_b64 s[60:61], s[12:13], exec
	s_andn2_b64 s[12:13], s[0:1], exec
	s_and_b64 s[10:11], s[10:11], exec
	s_and_b64 s[62:63], s[14:15], exec
	;; [unrolled: 1-line block ×3, first 2 shown]
	s_or_b64 s[64:65], s[12:13], s[10:11]
.LBB47_1286:
	s_or_b64 exec, exec, s[54:55]
	s_andn2_b64 s[0:1], s[0:1], exec
	s_waitcnt lgkmcnt(0)
	s_and_b64 s[10:11], s[64:65], exec
	s_and_b64 s[62:63], s[62:63], exec
	s_and_b64 s[54:55], s[66:67], exec
	s_and_b64 s[60:61], s[60:61], exec
	s_or_b64 s[0:1], s[0:1], s[10:11]
.LBB47_1287:
	s_or_b64 exec, exec, s[52:53]
	s_waitcnt lgkmcnt(0)
	s_andn2_b64 s[10:11], s[48:49], exec
	s_and_b64 s[12:13], s[58:59], exec
	s_or_b64 s[48:49], s[10:11], s[12:13]
	s_andn2_b64 s[10:11], s[46:47], exec
	s_and_b64 s[12:13], s[56:57], exec
	s_or_b64 s[46:47], s[10:11], s[12:13]
	s_andn2_b64 s[10:11], s[44:45], exec
	s_and_b64 s[0:1], s[0:1], exec
	s_and_b64 s[56:57], s[62:63], exec
	;; [unrolled: 1-line block ×4, first 2 shown]
	s_or_b64 s[44:45], s[10:11], s[0:1]
.LBB47_1288:
	s_or_b64 exec, exec, s[50:51]
	s_andn2_b64 s[0:1], s[36:37], exec
	s_waitcnt lgkmcnt(0)
	s_and_b64 s[10:11], s[48:49], exec
	s_or_b64 s[36:37], s[0:1], s[10:11]
	s_andn2_b64 s[0:1], s[38:39], exec
	s_and_b64 s[10:11], s[46:47], exec
	s_or_b64 s[38:39], s[0:1], s[10:11]
	s_andn2_b64 s[0:1], s[40:41], exec
	s_and_b64 s[10:11], s[44:45], exec
	s_and_b64 s[48:49], s[56:57], exec
	;; [unrolled: 1-line block ×4, first 2 shown]
	s_or_b64 s[40:41], s[0:1], s[10:11]
	s_or_b64 exec, exec, s[42:43]
	s_mov_b64 s[10:11], 0
	s_and_saveexec_b64 s[0:1], s[40:41]
	s_cbranch_execz .LBB47_403
.LBB47_1289:
	s_mov_b64 s[10:11], exec
	s_andn2_b64 s[46:47], s[46:47], exec
	s_trap 2
                                        ; implicit-def: $vgpr1
	s_or_b64 exec, exec, s[0:1]
	s_and_saveexec_b64 s[0:1], s[46:47]
	s_xor_b64 s[0:1], exec, s[0:1]
	s_cbranch_execnz .LBB47_404
.LBB47_1290:
	s_or_b64 exec, exec, s[0:1]
	s_and_saveexec_b64 s[0:1], s[50:51]
	s_cbranch_execz .LBB47_1336
.LBB47_1291:
	v_cmp_gt_i16_e32 vcc, 5, v3
	s_cbranch_vccnz .LBB47_1296
; %bb.1292:
	v_cmp_gt_i16_e32 vcc, 8, v3
	s_cbranch_vccnz .LBB47_1297
; %bb.1293:
	;; [unrolled: 3-line block ×3, first 2 shown]
	v_cmp_lt_i16_e32 vcc, 9, v3
	s_cbranch_vccz .LBB47_1299
; %bb.1295:
	s_waitcnt vmcnt(0)
	global_load_dwordx2 v[8:9], v[4:5], off
	s_movk_i32 s12, 0x7fff
	v_mov_b32_e32 v1, 0x7fc0
	s_waitcnt vmcnt(0)
	v_cvt_f32_f64_e32 v8, v[8:9]
	v_bfe_u32 v9, v8, 16, 1
	v_add3_u32 v9, v8, v9, s12
	v_lshrrev_b32_e32 v9, 16, v9
	v_cmp_o_f32_e32 vcc, v8, v8
	v_cndmask_b32_e32 v1, v1, v9, vcc
	s_mov_b64 s[12:13], 0
	s_branch .LBB47_1300
.LBB47_1296:
                                        ; implicit-def: $vgpr1
	s_branch .LBB47_1317
.LBB47_1297:
                                        ; implicit-def: $vgpr1
	s_branch .LBB47_1306
.LBB47_1298:
	s_mov_b64 s[12:13], -1
                                        ; implicit-def: $vgpr1
	s_branch .LBB47_1303
.LBB47_1299:
	s_mov_b64 s[12:13], -1
                                        ; implicit-def: $vgpr1
.LBB47_1300:
	s_andn2_b64 vcc, exec, s[12:13]
	s_cbranch_vccnz .LBB47_1302
; %bb.1301:
	s_waitcnt vmcnt(0)
	global_load_dword v1, v[4:5], off
	s_movk_i32 s12, 0x7fff
	v_mov_b32_e32 v8, 0x7fc0
	s_waitcnt vmcnt(0)
	v_bfe_u32 v9, v1, 16, 1
	v_add3_u32 v9, v1, v9, s12
	v_lshrrev_b32_e32 v9, 16, v9
	v_cmp_o_f32_e32 vcc, v1, v1
	v_cndmask_b32_e32 v1, v8, v9, vcc
.LBB47_1302:
	s_mov_b64 s[12:13], 0
.LBB47_1303:
	s_andn2_b64 vcc, exec, s[12:13]
	s_cbranch_vccnz .LBB47_1305
; %bb.1304:
	s_waitcnt vmcnt(0)
	global_load_dword v1, v[4:5], off
	s_movk_i32 s12, 0x7fff
	v_mov_b32_e32 v9, 0x7fc0
	s_waitcnt vmcnt(0)
	v_cvt_f32_f16_e32 v8, v1
	v_cmp_o_f16_e32 vcc, v1, v1
	v_bfe_u32 v10, v8, 16, 1
	v_add3_u32 v8, v8, v10, s12
	v_lshrrev_b32_e32 v8, 16, v8
	v_cndmask_b32_e32 v1, v9, v8, vcc
.LBB47_1305:
	s_cbranch_execnz .LBB47_1316
.LBB47_1306:
	v_cmp_gt_i16_e32 vcc, 6, v3
	s_cbranch_vccnz .LBB47_1309
; %bb.1307:
	v_cmp_lt_i16_e32 vcc, 6, v3
	s_cbranch_vccz .LBB47_1310
; %bb.1308:
	s_waitcnt vmcnt(0)
	global_load_dwordx2 v[8:9], v[4:5], off
	s_movk_i32 s12, 0x7fff
	v_mov_b32_e32 v1, 0x7fc0
	s_waitcnt vmcnt(0)
	v_cvt_f32_f64_e32 v8, v[8:9]
	v_bfe_u32 v9, v8, 16, 1
	v_add3_u32 v9, v8, v9, s12
	v_lshrrev_b32_e32 v9, 16, v9
	v_cmp_o_f32_e32 vcc, v8, v8
	v_cndmask_b32_e32 v1, v1, v9, vcc
	s_mov_b64 s[12:13], 0
	s_branch .LBB47_1311
.LBB47_1309:
	s_mov_b64 s[12:13], -1
                                        ; implicit-def: $vgpr1
	s_branch .LBB47_1314
.LBB47_1310:
	s_mov_b64 s[12:13], -1
                                        ; implicit-def: $vgpr1
.LBB47_1311:
	s_andn2_b64 vcc, exec, s[12:13]
	s_cbranch_vccnz .LBB47_1313
; %bb.1312:
	s_waitcnt vmcnt(0)
	global_load_dword v1, v[4:5], off
	s_movk_i32 s12, 0x7fff
	v_mov_b32_e32 v8, 0x7fc0
	s_waitcnt vmcnt(0)
	v_bfe_u32 v9, v1, 16, 1
	v_add3_u32 v9, v1, v9, s12
	v_lshrrev_b32_e32 v9, 16, v9
	v_cmp_o_f32_e32 vcc, v1, v1
	v_cndmask_b32_e32 v1, v8, v9, vcc
.LBB47_1313:
	s_mov_b64 s[12:13], 0
.LBB47_1314:
	s_andn2_b64 vcc, exec, s[12:13]
	s_cbranch_vccnz .LBB47_1316
; %bb.1315:
	s_waitcnt vmcnt(0)
	global_load_ushort v1, v[4:5], off
	s_movk_i32 s12, 0x7fff
	v_mov_b32_e32 v9, 0x7fc0
	s_waitcnt vmcnt(0)
	v_cvt_f32_f16_e32 v8, v1
	v_cmp_o_f16_e32 vcc, v1, v1
	v_bfe_u32 v10, v8, 16, 1
	v_add3_u32 v8, v8, v10, s12
	v_lshrrev_b32_e32 v8, 16, v8
	v_cndmask_b32_e32 v1, v9, v8, vcc
.LBB47_1316:
	s_cbranch_execnz .LBB47_1335
.LBB47_1317:
	v_cmp_gt_i16_e32 vcc, 2, v3
	s_cbranch_vccnz .LBB47_1321
; %bb.1318:
	v_cmp_gt_i16_e32 vcc, 3, v3
	s_cbranch_vccnz .LBB47_1322
; %bb.1319:
	v_cmp_lt_i16_e32 vcc, 3, v3
	s_cbranch_vccz .LBB47_1323
; %bb.1320:
	s_waitcnt vmcnt(0)
	global_load_dwordx2 v[8:9], v[4:5], off
	s_movk_i32 s12, 0x7fff
	s_waitcnt vmcnt(0)
	v_xor_b32_e32 v10, v8, v9
	v_ffbh_i32_e32 v1, v9
	v_ashrrev_i32_e32 v10, 31, v10
	v_add_u32_e32 v1, -1, v1
	v_add_u32_e32 v10, 32, v10
	v_min_u32_e32 v1, v1, v10
	v_lshlrev_b64 v[8:9], v1, v[8:9]
	v_min_u32_e32 v8, 1, v8
	v_or_b32_e32 v8, v9, v8
	v_cvt_f32_i32_e32 v8, v8
	v_sub_u32_e32 v1, 32, v1
	v_ldexp_f32 v1, v8, v1
	v_bfe_u32 v8, v1, 16, 1
	v_add3_u32 v1, v1, v8, s12
	v_lshrrev_b32_e32 v1, 16, v1
	s_mov_b64 s[12:13], 0
	s_branch .LBB47_1324
.LBB47_1321:
                                        ; implicit-def: $vgpr1
	s_branch .LBB47_1330
.LBB47_1322:
	s_mov_b64 s[12:13], -1
                                        ; implicit-def: $vgpr1
	s_branch .LBB47_1327
.LBB47_1323:
	s_mov_b64 s[12:13], -1
                                        ; implicit-def: $vgpr1
.LBB47_1324:
	s_andn2_b64 vcc, exec, s[12:13]
	s_cbranch_vccnz .LBB47_1326
; %bb.1325:
	s_waitcnt vmcnt(0)
	global_load_dword v1, v[4:5], off
	s_movk_i32 s12, 0x7fff
	s_waitcnt vmcnt(0)
	v_cvt_f32_i32_e32 v1, v1
	v_bfe_u32 v8, v1, 16, 1
	v_add3_u32 v1, v1, v8, s12
	v_lshrrev_b32_e32 v1, 16, v1
.LBB47_1326:
	s_mov_b64 s[12:13], 0
.LBB47_1327:
	s_andn2_b64 vcc, exec, s[12:13]
	s_cbranch_vccnz .LBB47_1329
; %bb.1328:
	s_waitcnt vmcnt(0)
	global_load_sshort v1, v[4:5], off
	s_movk_i32 s12, 0x7fff
	s_waitcnt vmcnt(0)
	v_cvt_f32_i32_e32 v1, v1
	v_bfe_u32 v8, v1, 16, 1
	v_add3_u32 v1, v1, v8, s12
	v_lshrrev_b32_e32 v1, 16, v1
.LBB47_1329:
	s_cbranch_execnz .LBB47_1335
.LBB47_1330:
	v_cmp_lt_i16_e32 vcc, 0, v3
	s_cbranch_vccz .LBB47_1332
; %bb.1331:
	s_waitcnt vmcnt(0)
	global_load_sbyte v1, v[4:5], off
	s_movk_i32 s12, 0x7fff
	s_waitcnt vmcnt(0)
	v_cvt_f32_i32_e32 v1, v1
	v_bfe_u32 v3, v1, 16, 1
	v_add3_u32 v1, v1, v3, s12
	v_lshrrev_b32_e32 v1, 16, v1
	s_mov_b64 s[12:13], 0
	s_branch .LBB47_1333
.LBB47_1332:
	s_mov_b64 s[12:13], -1
                                        ; implicit-def: $vgpr1
.LBB47_1333:
	s_andn2_b64 vcc, exec, s[12:13]
	s_cbranch_vccnz .LBB47_1335
; %bb.1334:
	s_waitcnt vmcnt(0)
	global_load_ubyte v1, v[4:5], off
	s_movk_i32 s12, 0x7fff
	s_waitcnt vmcnt(0)
	v_cvt_f32_ubyte0_e32 v1, v1
	v_bfe_u32 v3, v1, 16, 1
	v_add3_u32 v1, v1, v3, s12
	v_lshrrev_b32_e32 v1, 16, v1
.LBB47_1335:
	s_or_b64 s[48:49], s[48:49], exec
.LBB47_1336:
	s_or_b64 exec, exec, s[0:1]
	s_mov_b64 s[16:17], 0
	s_mov_b64 s[18:19], 0
	;; [unrolled: 1-line block ×3, first 2 shown]
                                        ; implicit-def: $vgpr3
                                        ; implicit-def: $vgpr4_vgpr5
                                        ; implicit-def: $vgpr8
	s_and_saveexec_b64 s[0:1], s[48:49]
	s_cbranch_execz .LBB47_1344
; %bb.1337:
	v_mov_b32_e32 v3, s25
	s_waitcnt vmcnt(0)
	v_add_co_u32_e32 v4, vcc, s24, v2
	v_addc_co_u32_e32 v5, vcc, 0, v3, vcc
	v_and_b32_e32 v3, 0xff, v7
	v_cmp_gt_i16_e32 vcc, 11, v3
	s_cbranch_vccnz .LBB47_1347
; %bb.1338:
	v_cmp_lt_i16_e32 vcc, 25, v3
	s_cbranch_vccz .LBB47_1348
; %bb.1339:
	v_cmp_lt_i16_e32 vcc, 28, v3
	s_cbranch_vccz .LBB47_1349
	;; [unrolled: 3-line block ×4, first 2 shown]
; %bb.1342:
	v_cmp_eq_u16_e32 vcc, 46, v3
	s_cbranch_vccz .LBB47_1352
; %bb.1343:
	global_load_dword v8, v[4:5], off
	s_mov_b64 s[12:13], 0
	s_mov_b64 s[14:15], -1
	s_branch .LBB47_1354
.LBB47_1344:
	s_or_b64 exec, exec, s[0:1]
	s_and_saveexec_b64 s[0:1], s[38:39]
	s_cbranch_execnz .LBB47_1417
.LBB47_1345:
	s_or_b64 exec, exec, s[0:1]
	s_and_saveexec_b64 s[0:1], s[16:17]
	s_xor_b64 s[0:1], exec, s[0:1]
	s_cbranch_execz .LBB47_1418
.LBB47_1346:
	s_waitcnt vmcnt(0)
	global_load_ubyte v2, v[4:5], off
	s_or_b64 s[14:15], s[14:15], exec
	s_waitcnt vmcnt(0)
	v_cmp_ne_u16_e32 vcc, 0, v2
	v_cndmask_b32_e64 v2, 0, 1.0, vcc
	v_lshrrev_b32_e32 v8, 16, v2
	s_or_b64 exec, exec, s[0:1]
	s_and_saveexec_b64 s[0:1], s[18:19]
	s_cbranch_execz .LBB47_1464
	s_branch .LBB47_1419
.LBB47_1347:
	s_mov_b64 s[18:19], -1
                                        ; implicit-def: $vgpr8
	s_mov_b64 s[12:13], s[38:39]
	s_branch .LBB47_1416
.LBB47_1348:
	s_mov_b64 s[12:13], s[38:39]
                                        ; implicit-def: $vgpr8
	s_cbranch_execnz .LBB47_1383
	s_branch .LBB47_1415
.LBB47_1349:
	s_mov_b64 s[18:19], -1
	s_mov_b64 s[12:13], s[38:39]
                                        ; implicit-def: $vgpr8
	s_branch .LBB47_1364
.LBB47_1350:
	s_mov_b64 s[18:19], -1
	s_mov_b64 s[12:13], s[38:39]
                                        ; implicit-def: $vgpr8
	s_branch .LBB47_1359
.LBB47_1351:
	s_mov_b64 s[18:19], -1
	s_mov_b64 s[12:13], s[38:39]
	s_branch .LBB47_1353
.LBB47_1352:
	s_mov_b64 s[12:13], -1
.LBB47_1353:
                                        ; implicit-def: $vgpr8
.LBB47_1354:
	s_and_b64 vcc, exec, s[18:19]
	s_cbranch_vccz .LBB47_1358
; %bb.1355:
	v_cmp_eq_u16_e32 vcc, 44, v3
	s_cbranch_vccz .LBB47_1357
; %bb.1356:
	global_load_ubyte v2, v[4:5], off
	s_movk_i32 s14, 0xff
	v_mov_b32_e32 v7, 0x7f800001
	s_waitcnt vmcnt(1)
	v_mov_b32_e32 v8, 0x400000
	v_mov_b32_e32 v9, 0x7fc0
	s_mov_b64 s[12:13], 0
	s_waitcnt vmcnt(0)
	v_lshlrev_b32_e32 v10, 23, v2
	v_cmp_ne_u32_e32 vcc, s14, v2
	v_cndmask_b32_e32 v7, v7, v10, vcc
	v_cmp_ne_u32_e32 vcc, 0, v2
	v_cndmask_b32_e32 v2, v8, v7, vcc
	v_add_u32_e32 v7, 0x7fff, v2
	v_lshrrev_b32_e32 v7, 16, v7
	v_cmp_o_f32_e32 vcc, v2, v2
	v_cndmask_b32_e32 v8, v9, v7, vcc
	s_mov_b64 s[14:15], -1
	s_branch .LBB47_1358
.LBB47_1357:
	s_mov_b64 s[12:13], -1
                                        ; implicit-def: $vgpr8
.LBB47_1358:
	s_mov_b64 s[18:19], 0
.LBB47_1359:
	s_and_b64 vcc, exec, s[18:19]
	s_cbranch_vccz .LBB47_1363
; %bb.1360:
	v_cmp_eq_u16_e32 vcc, 29, v3
	s_cbranch_vccz .LBB47_1362
; %bb.1361:
	global_load_dwordx2 v[8:9], v[4:5], off
	s_movk_i32 s14, 0x7fff
	s_mov_b64 s[12:13], 0
	s_mov_b64 s[18:19], 0
	s_waitcnt vmcnt(0)
	v_ffbh_u32_e32 v2, v9
	v_min_u32_e32 v2, 32, v2
	v_lshlrev_b64 v[8:9], v2, v[8:9]
	v_min_u32_e32 v7, 1, v8
	v_or_b32_e32 v7, v9, v7
	v_cvt_f32_u32_e32 v7, v7
	v_sub_u32_e32 v2, 32, v2
	v_ldexp_f32 v2, v7, v2
	v_bfe_u32 v7, v2, 16, 1
	v_add3_u32 v2, v2, v7, s14
	v_lshrrev_b32_e32 v8, 16, v2
	s_mov_b64 s[14:15], -1
	s_branch .LBB47_1364
.LBB47_1362:
	s_mov_b64 s[12:13], -1
                                        ; implicit-def: $vgpr8
.LBB47_1363:
	s_mov_b64 s[18:19], 0
.LBB47_1364:
	s_and_b64 vcc, exec, s[18:19]
	s_cbranch_vccz .LBB47_1382
; %bb.1365:
	v_cmp_gt_i16_e32 vcc, 27, v3
	s_cbranch_vccnz .LBB47_1368
; %bb.1366:
	v_cmp_lt_i16_e32 vcc, 27, v3
	s_cbranch_vccz .LBB47_1369
; %bb.1367:
	global_load_dword v2, v[4:5], off
	s_movk_i32 s14, 0x7fff
	s_waitcnt vmcnt(0)
	v_cvt_f32_u32_e32 v2, v2
	v_bfe_u32 v7, v2, 16, 1
	v_add3_u32 v2, v2, v7, s14
	v_lshrrev_b32_e32 v8, 16, v2
	s_mov_b64 s[14:15], 0
	s_branch .LBB47_1370
.LBB47_1368:
	s_mov_b64 s[14:15], -1
                                        ; implicit-def: $vgpr8
	s_branch .LBB47_1373
.LBB47_1369:
	s_mov_b64 s[14:15], -1
                                        ; implicit-def: $vgpr8
.LBB47_1370:
	s_andn2_b64 vcc, exec, s[14:15]
	s_cbranch_vccnz .LBB47_1372
; %bb.1371:
	global_load_ushort v2, v[4:5], off
	s_movk_i32 s14, 0x7fff
	s_waitcnt vmcnt(0)
	v_cvt_f32_u32_e32 v2, v2
	v_bfe_u32 v7, v2, 16, 1
	v_add3_u32 v2, v2, v7, s14
	v_lshrrev_b32_e32 v8, 16, v2
.LBB47_1372:
	s_mov_b64 s[14:15], 0
.LBB47_1373:
	s_andn2_b64 vcc, exec, s[14:15]
	s_cbranch_vccnz .LBB47_1381
; %bb.1374:
	global_load_ubyte v2, v[4:5], off
	s_movk_i32 s14, 0x7f
                                        ; implicit-def: $sgpr26
	s_waitcnt vmcnt(0)
	v_cmp_lt_i16_e32 vcc, s14, v2
	s_mov_b64 s[14:15], 0
	s_and_saveexec_b64 s[18:19], vcc
	s_xor_b64 s[18:19], exec, s[18:19]
	s_cbranch_execz .LBB47_1394
; %bb.1375:
	s_movk_i32 s14, 0x80
	v_cmp_eq_u16_e32 vcc, s14, v2
	s_mov_b64 s[14:15], -1
                                        ; implicit-def: $sgpr26
	s_and_saveexec_b64 s[24:25], vcc
; %bb.1376:
	s_mov_b32 s26, 0x7f800001
	s_xor_b64 s[14:15], exec, -1
; %bb.1377:
	s_or_b64 exec, exec, s[24:25]
	s_and_b64 s[14:15], s[14:15], exec
	s_or_saveexec_b64 s[18:19], s[18:19]
	v_mov_b32_e32 v7, s26
	s_xor_b64 exec, exec, s[18:19]
	s_cbranch_execnz .LBB47_1395
.LBB47_1378:
	s_or_b64 exec, exec, s[18:19]
	s_and_saveexec_b64 s[18:19], s[14:15]
	s_cbranch_execz .LBB47_1380
.LBB47_1379:
	v_lshlrev_b32_e32 v7, 24, v2
	v_and_b32_e32 v2, 0xffff, v2
	v_and_b32_e32 v8, 7, v2
	v_ffbh_u32_e32 v10, v8
	v_min_u32_e32 v10, 32, v10
	v_subrev_u32_e32 v11, 28, v10
	v_bfe_u32 v9, v2, 3, 4
	v_lshlrev_b32_e32 v2, v11, v2
	v_sub_u32_e32 v10, 29, v10
	v_and_b32_e32 v2, 7, v2
	v_cmp_eq_u32_e32 vcc, 0, v9
	v_cndmask_b32_e32 v9, v9, v10, vcc
	v_cndmask_b32_e32 v2, v8, v2, vcc
	v_mov_b32_e32 v8, 0x3b800000
	v_lshlrev_b32_e32 v2, 20, v2
	v_and_b32_e32 v7, 0x80000000, v7
	v_lshl_add_u32 v8, v9, 23, v8
	v_or3_b32 v7, v7, v8, v2
.LBB47_1380:
	s_or_b64 exec, exec, s[18:19]
	v_bfe_u32 v2, v7, 16, 1
	s_movk_i32 s14, 0x7fff
	v_add3_u32 v2, v7, v2, s14
	v_lshrrev_b32_e32 v2, 16, v2
	v_mov_b32_e32 v8, 0x7fc0
	v_cmp_o_f32_e32 vcc, v7, v7
	v_cndmask_b32_e32 v8, v8, v2, vcc
.LBB47_1381:
	s_mov_b64 s[14:15], -1
.LBB47_1382:
	s_branch .LBB47_1415
.LBB47_1383:
	v_cmp_lt_i16_e32 vcc, 22, v3
	s_cbranch_vccz .LBB47_1393
; %bb.1384:
	v_cmp_gt_i16_e32 vcc, 24, v3
	s_cbranch_vccnz .LBB47_1396
; %bb.1385:
	v_cmp_lt_i16_e32 vcc, 24, v3
	s_cbranch_vccz .LBB47_1397
; %bb.1386:
	global_load_ubyte v2, v[4:5], off
	s_movk_i32 s14, 0x7f
                                        ; implicit-def: $sgpr24
	s_waitcnt vmcnt(0)
	v_cmp_lt_i16_e32 vcc, s14, v2
	s_mov_b64 s[14:15], 0
	s_and_saveexec_b64 s[16:17], vcc
	s_xor_b64 s[16:17], exec, s[16:17]
	s_cbranch_execz .LBB47_1409
; %bb.1387:
	s_movk_i32 s14, 0x80
	v_cmp_eq_u16_e32 vcc, s14, v2
	s_mov_b64 s[14:15], -1
                                        ; implicit-def: $sgpr24
	s_and_saveexec_b64 s[18:19], vcc
; %bb.1388:
	s_mov_b32 s24, 0x7f800001
	s_xor_b64 s[14:15], exec, -1
; %bb.1389:
	s_or_b64 exec, exec, s[18:19]
	s_and_b64 s[14:15], s[14:15], exec
	s_or_saveexec_b64 s[16:17], s[16:17]
	v_mov_b32_e32 v7, s24
	s_xor_b64 exec, exec, s[16:17]
	s_cbranch_execnz .LBB47_1410
.LBB47_1390:
	s_or_b64 exec, exec, s[16:17]
	s_and_saveexec_b64 s[16:17], s[14:15]
	s_cbranch_execz .LBB47_1392
.LBB47_1391:
	v_lshlrev_b32_e32 v7, 24, v2
	v_and_b32_e32 v2, 0xffff, v2
	v_and_b32_e32 v8, 3, v2
	v_ffbh_u32_e32 v10, v8
	v_min_u32_e32 v10, 32, v10
	v_subrev_u32_e32 v11, 29, v10
	v_bfe_u32 v9, v2, 2, 5
	v_lshlrev_b32_e32 v2, v11, v2
	v_sub_u32_e32 v10, 30, v10
	v_and_b32_e32 v2, 3, v2
	v_cmp_eq_u32_e32 vcc, 0, v9
	v_cndmask_b32_e32 v9, v9, v10, vcc
	v_cndmask_b32_e32 v2, v8, v2, vcc
	v_mov_b32_e32 v8, 0x37800000
	v_lshlrev_b32_e32 v2, 21, v2
	v_and_b32_e32 v7, 0x80000000, v7
	v_lshl_add_u32 v8, v9, 23, v8
	v_or3_b32 v7, v7, v8, v2
.LBB47_1392:
	s_or_b64 exec, exec, s[16:17]
	v_bfe_u32 v2, v7, 16, 1
	s_movk_i32 s14, 0x7fff
	v_add3_u32 v2, v7, v2, s14
	v_lshrrev_b32_e32 v2, 16, v2
	v_mov_b32_e32 v8, 0x7fc0
	v_cmp_o_f32_e32 vcc, v7, v7
	v_cndmask_b32_e32 v8, v8, v2, vcc
	s_mov_b64 s[14:15], 0
	s_branch .LBB47_1398
.LBB47_1393:
	s_mov_b64 s[16:17], -1
                                        ; implicit-def: $vgpr8
	s_branch .LBB47_1404
.LBB47_1394:
	s_or_saveexec_b64 s[18:19], s[18:19]
	v_mov_b32_e32 v7, s26
	s_xor_b64 exec, exec, s[18:19]
	s_cbranch_execz .LBB47_1378
.LBB47_1395:
	v_cmp_ne_u16_e32 vcc, 0, v2
	s_andn2_b64 s[14:15], s[14:15], exec
	s_and_b64 s[24:25], vcc, exec
	v_mov_b32_e32 v7, 0
	s_or_b64 s[14:15], s[14:15], s[24:25]
	s_or_b64 exec, exec, s[18:19]
	s_and_saveexec_b64 s[18:19], s[14:15]
	s_cbranch_execnz .LBB47_1379
	s_branch .LBB47_1380
.LBB47_1396:
	s_mov_b64 s[14:15], -1
                                        ; implicit-def: $vgpr8
	s_branch .LBB47_1401
.LBB47_1397:
	s_mov_b64 s[14:15], -1
                                        ; implicit-def: $vgpr8
.LBB47_1398:
	s_and_b64 vcc, exec, s[14:15]
	s_cbranch_vccz .LBB47_1400
; %bb.1399:
	global_load_ubyte v2, v[4:5], off
	s_mov_b32 s14, 0x7f800000
	s_brev_b32 s15, 1
	s_movk_i32 s16, 0x7fff
	v_mov_b32_e32 v7, 0x7fc0
	s_waitcnt vmcnt(0)
	v_lshlrev_b32_e32 v2, 24, v2
	v_and_b32_e32 v8, 0x7f000000, v2
	v_ffbh_u32_e32 v9, v8
	v_min_u32_e32 v9, 32, v9
	v_sub_u32_e64 v9, v9, 4 clamp
	v_lshlrev_b32_e32 v11, v9, v8
	v_lshlrev_b32_e32 v9, 23, v9
	v_lshrrev_b32_e32 v11, 4, v11
	v_add_u32_e32 v10, 0x1000000, v8
	v_sub_u32_e32 v9, v11, v9
	v_ashrrev_i32_e32 v10, 8, v10
	v_add_u32_e32 v9, 0x3c000000, v9
	v_and_or_b32 v9, v10, s14, v9
	v_cmp_ne_u32_e32 vcc, 0, v8
	v_cndmask_b32_e32 v8, 0, v9, vcc
	v_and_or_b32 v2, v2, s15, v8
	v_bfe_u32 v8, v8, 16, 1
	v_add3_u32 v8, v2, v8, s16
	v_lshrrev_b32_e32 v8, 16, v8
	v_cmp_o_f32_e32 vcc, v2, v2
	v_cndmask_b32_e32 v8, v7, v8, vcc
.LBB47_1400:
	s_mov_b64 s[14:15], 0
.LBB47_1401:
	s_andn2_b64 vcc, exec, s[14:15]
	s_cbranch_vccnz .LBB47_1403
; %bb.1402:
	global_load_ubyte v2, v[4:5], off
	s_movk_i32 s14, 0x7f00
	s_brev_b32 s15, 16
	s_brev_b32 s16, 1
	s_movk_i32 s17, 0x7fff
	v_mov_b32_e32 v7, 0x7fc0
	s_waitcnt vmcnt(0)
	v_lshlrev_b16_e32 v8, 8, v2
	v_lshlrev_b32_e32 v2, 25, v2
	v_lshrrev_b32_e32 v9, 4, v2
	v_and_or_b32 v10, v8, s14, 0.5
	v_or_b32_e32 v9, 0x70000000, v9
	v_add_f32_e32 v10, -0.5, v10
	v_mul_f32_e32 v9, 0x7800000, v9
	v_cmp_gt_u32_e32 vcc, s15, v2
	v_bfe_i32 v8, v8, 0, 16
	v_cndmask_b32_e32 v2, v9, v10, vcc
	v_and_or_b32 v8, v8, s16, v2
	v_bfe_u32 v2, v2, 16, 1
	v_add3_u32 v2, v8, v2, s17
	v_lshrrev_b32_e32 v2, 16, v2
	v_cmp_o_f32_e32 vcc, v8, v8
	v_cndmask_b32_e32 v8, v7, v2, vcc
.LBB47_1403:
	s_mov_b64 s[16:17], 0
	s_mov_b64 s[14:15], -1
.LBB47_1404:
	s_andn2_b64 vcc, exec, s[16:17]
	s_mov_b64 s[16:17], 0
	s_cbranch_vccnz .LBB47_1415
; %bb.1405:
	v_cmp_lt_i16_e32 vcc, 14, v3
	s_cbranch_vccz .LBB47_1408
; %bb.1406:
	v_cmp_eq_u16_e32 vcc, 15, v3
	s_cbranch_vccz .LBB47_1411
; %bb.1407:
	global_load_ushort v8, v[4:5], off
	s_mov_b64 s[12:13], 0
	s_mov_b64 s[14:15], -1
	s_branch .LBB47_1412
.LBB47_1408:
	s_mov_b64 s[18:19], -1
                                        ; implicit-def: $vgpr8
	s_branch .LBB47_1413
.LBB47_1409:
	s_or_saveexec_b64 s[16:17], s[16:17]
	v_mov_b32_e32 v7, s24
	s_xor_b64 exec, exec, s[16:17]
	s_cbranch_execz .LBB47_1390
.LBB47_1410:
	v_cmp_ne_u16_e32 vcc, 0, v2
	s_andn2_b64 s[14:15], s[14:15], exec
	s_and_b64 s[18:19], vcc, exec
	v_mov_b32_e32 v7, 0
	s_or_b64 s[14:15], s[14:15], s[18:19]
	s_or_b64 exec, exec, s[16:17]
	s_and_saveexec_b64 s[16:17], s[14:15]
	s_cbranch_execnz .LBB47_1391
	s_branch .LBB47_1392
.LBB47_1411:
	s_mov_b64 s[12:13], -1
                                        ; implicit-def: $vgpr8
.LBB47_1412:
	s_mov_b64 s[18:19], 0
.LBB47_1413:
	s_and_b64 vcc, exec, s[18:19]
	s_cbranch_vccz .LBB47_1415
; %bb.1414:
	v_cmp_ne_u16_e32 vcc, 11, v3
	s_andn2_b64 s[12:13], s[12:13], exec
	s_and_b64 s[18:19], vcc, exec
	s_mov_b64 s[16:17], -1
	s_or_b64 s[12:13], s[12:13], s[18:19]
                                        ; implicit-def: $vgpr8
.LBB47_1415:
	s_mov_b64 s[18:19], 0
.LBB47_1416:
	s_andn2_b64 s[24:25], s[38:39], exec
	s_and_b64 s[12:13], s[12:13], exec
	s_and_b64 s[14:15], s[14:15], exec
	s_and_b64 s[18:19], s[18:19], exec
	s_and_b64 s[16:17], s[16:17], exec
	s_or_b64 s[38:39], s[24:25], s[12:13]
	s_or_b64 exec, exec, s[0:1]
	s_and_saveexec_b64 s[0:1], s[38:39]
	s_cbranch_execz .LBB47_1345
.LBB47_1417:
	s_or_b64 s[10:11], s[10:11], exec
	s_andn2_b64 s[16:17], s[16:17], exec
	s_trap 2
                                        ; implicit-def: $vgpr8
	s_or_b64 exec, exec, s[0:1]
	s_and_saveexec_b64 s[0:1], s[16:17]
	s_xor_b64 s[0:1], exec, s[0:1]
	s_cbranch_execnz .LBB47_1346
.LBB47_1418:
	s_or_b64 exec, exec, s[0:1]
	s_and_saveexec_b64 s[0:1], s[18:19]
	s_cbranch_execz .LBB47_1464
.LBB47_1419:
	v_cmp_gt_i16_e32 vcc, 5, v3
	s_cbranch_vccnz .LBB47_1424
; %bb.1420:
	v_cmp_gt_i16_e32 vcc, 8, v3
	s_cbranch_vccnz .LBB47_1425
; %bb.1421:
	;; [unrolled: 3-line block ×3, first 2 shown]
	v_cmp_lt_i16_e32 vcc, 9, v3
	s_cbranch_vccz .LBB47_1427
; %bb.1423:
	s_waitcnt vmcnt(0)
	global_load_dwordx2 v[8:9], v[4:5], off
	s_movk_i32 s12, 0x7fff
	v_mov_b32_e32 v2, 0x7fc0
	s_waitcnt vmcnt(0)
	v_cvt_f32_f64_e32 v7, v[8:9]
	v_bfe_u32 v8, v7, 16, 1
	v_add3_u32 v8, v7, v8, s12
	v_lshrrev_b32_e32 v8, 16, v8
	v_cmp_o_f32_e32 vcc, v7, v7
	v_cndmask_b32_e32 v8, v2, v8, vcc
	s_mov_b64 s[12:13], 0
	s_branch .LBB47_1428
.LBB47_1424:
                                        ; implicit-def: $vgpr8
	s_branch .LBB47_1445
.LBB47_1425:
                                        ; implicit-def: $vgpr8
	s_branch .LBB47_1434
.LBB47_1426:
	s_mov_b64 s[12:13], -1
                                        ; implicit-def: $vgpr8
	s_branch .LBB47_1431
.LBB47_1427:
	s_mov_b64 s[12:13], -1
                                        ; implicit-def: $vgpr8
.LBB47_1428:
	s_andn2_b64 vcc, exec, s[12:13]
	s_cbranch_vccnz .LBB47_1430
; %bb.1429:
	s_waitcnt vmcnt(0)
	global_load_dword v2, v[4:5], off
	s_movk_i32 s12, 0x7fff
	v_mov_b32_e32 v7, 0x7fc0
	s_waitcnt vmcnt(0)
	v_bfe_u32 v8, v2, 16, 1
	v_add3_u32 v8, v2, v8, s12
	v_lshrrev_b32_e32 v8, 16, v8
	v_cmp_o_f32_e32 vcc, v2, v2
	v_cndmask_b32_e32 v8, v7, v8, vcc
.LBB47_1430:
	s_mov_b64 s[12:13], 0
.LBB47_1431:
	s_andn2_b64 vcc, exec, s[12:13]
	s_cbranch_vccnz .LBB47_1433
; %bb.1432:
	s_waitcnt vmcnt(0)
	global_load_dword v2, v[4:5], off
	s_movk_i32 s12, 0x7fff
	v_mov_b32_e32 v8, 0x7fc0
	s_waitcnt vmcnt(0)
	v_cvt_f32_f16_e32 v7, v2
	v_cmp_o_f16_e32 vcc, v2, v2
	v_bfe_u32 v9, v7, 16, 1
	v_add3_u32 v7, v7, v9, s12
	v_lshrrev_b32_e32 v7, 16, v7
	v_cndmask_b32_e32 v8, v8, v7, vcc
.LBB47_1433:
	s_cbranch_execnz .LBB47_1444
.LBB47_1434:
	v_cmp_gt_i16_e32 vcc, 6, v3
	s_cbranch_vccnz .LBB47_1437
; %bb.1435:
	v_cmp_lt_i16_e32 vcc, 6, v3
	s_cbranch_vccz .LBB47_1438
; %bb.1436:
	s_waitcnt vmcnt(0)
	global_load_dwordx2 v[8:9], v[4:5], off
	s_movk_i32 s12, 0x7fff
	v_mov_b32_e32 v2, 0x7fc0
	s_waitcnt vmcnt(0)
	v_cvt_f32_f64_e32 v7, v[8:9]
	v_bfe_u32 v8, v7, 16, 1
	v_add3_u32 v8, v7, v8, s12
	v_lshrrev_b32_e32 v8, 16, v8
	v_cmp_o_f32_e32 vcc, v7, v7
	v_cndmask_b32_e32 v8, v2, v8, vcc
	s_mov_b64 s[12:13], 0
	s_branch .LBB47_1439
.LBB47_1437:
	s_mov_b64 s[12:13], -1
                                        ; implicit-def: $vgpr8
	s_branch .LBB47_1442
.LBB47_1438:
	s_mov_b64 s[12:13], -1
                                        ; implicit-def: $vgpr8
.LBB47_1439:
	s_andn2_b64 vcc, exec, s[12:13]
	s_cbranch_vccnz .LBB47_1441
; %bb.1440:
	s_waitcnt vmcnt(0)
	global_load_dword v2, v[4:5], off
	s_movk_i32 s12, 0x7fff
	v_mov_b32_e32 v7, 0x7fc0
	s_waitcnt vmcnt(0)
	v_bfe_u32 v8, v2, 16, 1
	v_add3_u32 v8, v2, v8, s12
	v_lshrrev_b32_e32 v8, 16, v8
	v_cmp_o_f32_e32 vcc, v2, v2
	v_cndmask_b32_e32 v8, v7, v8, vcc
.LBB47_1441:
	s_mov_b64 s[12:13], 0
.LBB47_1442:
	s_andn2_b64 vcc, exec, s[12:13]
	s_cbranch_vccnz .LBB47_1444
; %bb.1443:
	s_waitcnt vmcnt(0)
	global_load_ushort v2, v[4:5], off
	s_movk_i32 s12, 0x7fff
	v_mov_b32_e32 v8, 0x7fc0
	s_waitcnt vmcnt(0)
	v_cvt_f32_f16_e32 v7, v2
	v_cmp_o_f16_e32 vcc, v2, v2
	v_bfe_u32 v9, v7, 16, 1
	v_add3_u32 v7, v7, v9, s12
	v_lshrrev_b32_e32 v7, 16, v7
	v_cndmask_b32_e32 v8, v8, v7, vcc
.LBB47_1444:
	s_cbranch_execnz .LBB47_1463
.LBB47_1445:
	v_cmp_gt_i16_e32 vcc, 2, v3
	s_cbranch_vccnz .LBB47_1449
; %bb.1446:
	v_cmp_gt_i16_e32 vcc, 3, v3
	s_cbranch_vccnz .LBB47_1450
; %bb.1447:
	v_cmp_lt_i16_e32 vcc, 3, v3
	s_cbranch_vccz .LBB47_1451
; %bb.1448:
	s_waitcnt vmcnt(0)
	global_load_dwordx2 v[8:9], v[4:5], off
	s_movk_i32 s12, 0x7fff
	s_waitcnt vmcnt(0)
	v_xor_b32_e32 v7, v8, v9
	v_ffbh_i32_e32 v2, v9
	v_ashrrev_i32_e32 v7, 31, v7
	v_add_u32_e32 v2, -1, v2
	v_add_u32_e32 v7, 32, v7
	v_min_u32_e32 v2, v2, v7
	v_lshlrev_b64 v[8:9], v2, v[8:9]
	v_min_u32_e32 v7, 1, v8
	v_or_b32_e32 v7, v9, v7
	v_cvt_f32_i32_e32 v7, v7
	v_sub_u32_e32 v2, 32, v2
	v_ldexp_f32 v2, v7, v2
	v_bfe_u32 v7, v2, 16, 1
	v_add3_u32 v2, v2, v7, s12
	v_lshrrev_b32_e32 v8, 16, v2
	s_mov_b64 s[12:13], 0
	s_branch .LBB47_1452
.LBB47_1449:
                                        ; implicit-def: $vgpr8
	s_branch .LBB47_1458
.LBB47_1450:
	s_mov_b64 s[12:13], -1
                                        ; implicit-def: $vgpr8
	s_branch .LBB47_1455
.LBB47_1451:
	s_mov_b64 s[12:13], -1
                                        ; implicit-def: $vgpr8
.LBB47_1452:
	s_andn2_b64 vcc, exec, s[12:13]
	s_cbranch_vccnz .LBB47_1454
; %bb.1453:
	s_waitcnt vmcnt(0)
	global_load_dword v2, v[4:5], off
	s_movk_i32 s12, 0x7fff
	s_waitcnt vmcnt(0)
	v_cvt_f32_i32_e32 v2, v2
	v_bfe_u32 v7, v2, 16, 1
	v_add3_u32 v2, v2, v7, s12
	v_lshrrev_b32_e32 v8, 16, v2
.LBB47_1454:
	s_mov_b64 s[12:13], 0
.LBB47_1455:
	s_andn2_b64 vcc, exec, s[12:13]
	s_cbranch_vccnz .LBB47_1457
; %bb.1456:
	s_waitcnt vmcnt(0)
	global_load_sshort v2, v[4:5], off
	s_movk_i32 s12, 0x7fff
	s_waitcnt vmcnt(0)
	v_cvt_f32_i32_e32 v2, v2
	v_bfe_u32 v7, v2, 16, 1
	v_add3_u32 v2, v2, v7, s12
	v_lshrrev_b32_e32 v8, 16, v2
.LBB47_1457:
	s_cbranch_execnz .LBB47_1463
.LBB47_1458:
	v_cmp_lt_i16_e32 vcc, 0, v3
	s_cbranch_vccz .LBB47_1460
; %bb.1459:
	s_waitcnt vmcnt(0)
	global_load_sbyte v2, v[4:5], off
	s_movk_i32 s12, 0x7fff
	s_waitcnt vmcnt(0)
	v_cvt_f32_i32_e32 v2, v2
	v_bfe_u32 v3, v2, 16, 1
	v_add3_u32 v2, v2, v3, s12
	v_lshrrev_b32_e32 v8, 16, v2
	s_mov_b64 s[12:13], 0
	s_branch .LBB47_1461
.LBB47_1460:
	s_mov_b64 s[12:13], -1
                                        ; implicit-def: $vgpr8
.LBB47_1461:
	s_andn2_b64 vcc, exec, s[12:13]
	s_cbranch_vccnz .LBB47_1463
; %bb.1462:
	s_waitcnt vmcnt(0)
	global_load_ubyte v2, v[4:5], off
	s_movk_i32 s12, 0x7fff
	s_waitcnt vmcnt(0)
	v_cvt_f32_ubyte0_e32 v2, v2
	v_bfe_u32 v3, v2, 16, 1
	v_add3_u32 v2, v2, v3, s12
	v_lshrrev_b32_e32 v8, 16, v2
.LBB47_1463:
	s_or_b64 s[14:15], s[14:15], exec
.LBB47_1464:
	s_or_b64 exec, exec, s[0:1]
	s_mov_b64 s[18:19], 0
	s_mov_b64 s[16:17], 0
                                        ; implicit-def: $vgpr5
                                        ; implicit-def: $vgpr2_vgpr3
                                        ; implicit-def: $vgpr4
                                        ; implicit-def: $vgpr7
	s_and_saveexec_b64 s[12:13], s[14:15]
	s_cbranch_execz .LBB47_1482
; %bb.1465:
	s_waitcnt vmcnt(0)
	v_and_b32_e32 v7, 0x7fff, v1
	v_and_b32_e32 v1, 0xffff8000, v8
	v_or_b32_e32 v4, v1, v7
	v_mov_b32_e32 v1, s9
	v_add_co_u32_e32 v2, vcc, s8, v0
	v_addc_co_u32_e32 v3, vcc, 0, v1, vcc
	v_and_b32_e32 v5, 0xff, v6
	v_cmp_gt_i16_e32 vcc, 11, v5
	s_cbranch_vccnz .LBB47_1485
; %bb.1466:
	v_cmp_lt_i16_e32 vcc, 25, v5
	s_mov_b64 s[14:15], -1
	s_mov_b64 s[0:1], s[36:37]
	s_cbranch_vccz .LBB47_1503
; %bb.1467:
	v_cmp_lt_i16_e32 vcc, 28, v5
	s_mov_b64 s[8:9], -1
	s_mov_b64 s[0:1], s[36:37]
	s_cbranch_vccz .LBB47_1487
; %bb.1468:
	v_cmp_lt_i16_e32 vcc, 43, v5
	s_mov_b64 s[0:1], s[36:37]
	s_cbranch_vccz .LBB47_1479
; %bb.1469:
	v_cmp_lt_i16_e32 vcc, 45, v5
	s_mov_b64 s[0:1], s[36:37]
	s_cbranch_vccz .LBB47_1473
; %bb.1470:
	v_cmp_eq_u16_e32 vcc, 46, v5
	s_mov_b64 s[0:1], -1
	s_cbranch_vccz .LBB47_1472
; %bb.1471:
	v_and_b32_e32 v0, 0xffff, v4
	global_store_dword v[2:3], v0, off
	s_mov_b64 s[0:1], 0
.LBB47_1472:
	s_mov_b64 s[8:9], 0
.LBB47_1473:
	s_and_b64 vcc, exec, s[8:9]
	s_cbranch_vccz .LBB47_1478
; %bb.1474:
	v_cmp_eq_u16_e32 vcc, 44, v5
	s_mov_b64 s[0:1], -1
	s_cbranch_vccz .LBB47_1478
; %bb.1475:
	v_and_b32_e32 v1, 0xffff, v4
	v_bfe_u32 v0, v1, 7, 8
	s_movk_i32 s0, 0xff
	v_cmp_ne_u32_e32 vcc, s0, v0
	v_mov_b32_e32 v6, 0xff
	s_and_saveexec_b64 s[8:9], vcc
; %bb.1476:
	v_lshlrev_b32_e32 v8, 16, v1
	s_mov_b32 s0, 0x3f0000
	v_lshrrev_b32_e32 v6, 7, v1
	v_and_b32_e32 v1, 64, v1
	v_and_or_b32 v0, v8, s0, v0
	v_cmp_ne_u32_e32 vcc, 0, v1
	v_cmp_ne_u32_e64 s[0:1], 0, v0
	s_and_b64 s[0:1], vcc, s[0:1]
	v_cndmask_b32_e64 v0, 0, 1, s[0:1]
	v_add_u32_e32 v6, v6, v0
; %bb.1477:
	s_or_b64 exec, exec, s[8:9]
	s_mov_b64 s[0:1], 0
	global_store_byte v[2:3], v6, off
.LBB47_1478:
	s_mov_b64 s[8:9], 0
.LBB47_1479:
	s_and_b64 vcc, exec, s[8:9]
	s_cbranch_vccz .LBB47_1486
; %bb.1480:
	v_cmp_eq_u16_e32 vcc, 29, v5
	s_mov_b64 s[0:1], -1
	s_cbranch_vccz .LBB47_1486
; %bb.1481:
	v_lshlrev_b32_e32 v0, 16, v4
	v_trunc_f32_e32 v0, v0
	v_mul_f32_e32 v1, 0x2f800000, v0
	v_floor_f32_e32 v6, v1
	v_fmac_f32_e32 v0, 0xcf800000, v6
	v_cvt_u32_f32_e32 v1, v6
	v_cvt_u32_f32_e32 v0, v0
	s_mov_b64 s[0:1], 0
	s_mov_b64 s[8:9], 0
	global_store_dwordx2 v[2:3], v[0:1], off
	s_branch .LBB47_1487
.LBB47_1482:
	s_or_b64 exec, exec, s[12:13]
	s_and_saveexec_b64 s[0:1], s[36:37]
	s_cbranch_execnz .LBB47_1545
.LBB47_1483:
	s_or_b64 exec, exec, s[0:1]
	s_and_saveexec_b64 s[0:1], s[18:19]
	s_xor_b64 s[0:1], exec, s[0:1]
	s_cbranch_execz .LBB47_1546
.LBB47_1484:
	s_waitcnt vmcnt(0)
	v_cmp_ne_u16_e32 vcc, 0, v7
	v_cndmask_b32_e64 v0, 0, 1, vcc
	global_store_byte v[2:3], v0, off
	s_or_b64 exec, exec, s[0:1]
	s_and_saveexec_b64 s[0:1], s[16:17]
	s_xor_b64 s[0:1], exec, s[0:1]
	s_cbranch_execz .LBB47_1584
	s_branch .LBB47_1547
.LBB47_1485:
	s_mov_b64 s[14:15], 0
	s_mov_b64 s[8:9], -1
	s_mov_b64 s[0:1], s[36:37]
	s_branch .LBB47_1544
.LBB47_1486:
	s_mov_b64 s[8:9], 0
.LBB47_1487:
	s_and_b64 vcc, exec, s[8:9]
	s_cbranch_vccz .LBB47_1502
; %bb.1488:
	v_cmp_gt_i16_e32 vcc, 27, v5
	s_mov_b64 s[8:9], -1
	s_cbranch_vccnz .LBB47_1494
; %bb.1489:
	v_cmp_lt_i16_e32 vcc, 27, v5
	s_cbranch_vccz .LBB47_1491
; %bb.1490:
	v_lshlrev_b32_e32 v0, 16, v4
	v_cvt_u32_f32_e32 v0, v0
	s_mov_b64 s[8:9], 0
	global_store_dword v[2:3], v0, off
.LBB47_1491:
	s_andn2_b64 vcc, exec, s[8:9]
	s_cbranch_vccnz .LBB47_1493
; %bb.1492:
	v_lshlrev_b32_e32 v0, 16, v4
	v_cvt_u32_f32_e32 v0, v0
	global_store_short v[2:3], v0, off
.LBB47_1493:
	s_mov_b64 s[8:9], 0
.LBB47_1494:
	s_andn2_b64 vcc, exec, s[8:9]
	s_cbranch_vccnz .LBB47_1502
; %bb.1495:
	v_lshlrev_b32_e32 v6, 16, v4
	v_and_b32_e32 v1, 0x7fffffff, v6
	s_mov_b32 s8, 0x43800000
	v_cmp_gt_u32_e32 vcc, s8, v1
	v_mov_b32_e32 v8, 0x80
	s_and_saveexec_b64 s[8:9], vcc
	s_cbranch_execz .LBB47_1501
; %bb.1496:
	s_mov_b32 s14, 0x3bffffff
	v_and_b32_e32 v0, 0xffff, v4
	v_cmp_lt_u32_e32 vcc, s14, v1
	s_mov_b64 s[14:15], 0
                                        ; implicit-def: $vgpr1
	s_and_saveexec_b64 s[16:17], vcc
	s_xor_b64 s[16:17], exec, s[16:17]
	s_cbranch_execz .LBB47_1639
; %bb.1497:
	v_bfe_u32 v1, v0, 4, 1
	s_mov_b32 s18, 0x487ffff
	v_add3_u32 v1, v6, v1, s18
	s_mov_b64 s[14:15], exec
	v_lshrrev_b32_e32 v1, 20, v1
                                        ; implicit-def: $vgpr6
	s_or_saveexec_b64 s[16:17], s[16:17]
                                        ; implicit-def: $sgpr18
	s_xor_b64 exec, exec, s[16:17]
	s_cbranch_execnz .LBB47_1640
.LBB47_1498:
	s_or_b64 exec, exec, s[16:17]
	v_mov_b32_e32 v8, s18
	s_and_saveexec_b64 s[16:17], s[14:15]
.LBB47_1499:
	v_lshrrev_b32_e32 v0, 8, v0
	s_movk_i32 s14, 0x80
	v_and_or_b32 v8, v0, s14, v1
.LBB47_1500:
	s_or_b64 exec, exec, s[16:17]
.LBB47_1501:
	s_or_b64 exec, exec, s[8:9]
	global_store_byte v[2:3], v8, off
.LBB47_1502:
	s_mov_b64 s[14:15], 0
.LBB47_1503:
	s_mov_b64 s[8:9], 0
	s_and_b64 vcc, exec, s[14:15]
	s_cbranch_vccz .LBB47_1543
; %bb.1504:
	v_cmp_lt_i16_e32 vcc, 22, v5
	s_mov_b64 s[14:15], -1
	s_cbranch_vccz .LBB47_1536
; %bb.1505:
	v_cmp_gt_i16_e32 vcc, 24, v5
	s_cbranch_vccnz .LBB47_1525
; %bb.1506:
	v_cmp_lt_i16_e32 vcc, 24, v5
	s_cbranch_vccz .LBB47_1514
; %bb.1507:
	v_lshlrev_b32_e32 v6, 16, v4
	v_and_b32_e32 v1, 0x7fffffff, v6
	s_mov_b32 s14, 0x47800000
	v_cmp_gt_u32_e32 vcc, s14, v1
	v_mov_b32_e32 v8, 0x80
	s_and_saveexec_b64 s[14:15], vcc
	s_cbranch_execz .LBB47_1513
; %bb.1508:
	s_mov_b32 s16, 0x37ffffff
	v_and_b32_e32 v0, 0xffff, v4
	v_cmp_lt_u32_e32 vcc, s16, v1
	s_mov_b64 s[16:17], 0
                                        ; implicit-def: $vgpr1
	s_and_saveexec_b64 s[18:19], vcc
	s_xor_b64 s[18:19], exec, s[18:19]
	s_cbranch_execz .LBB47_1763
; %bb.1509:
	v_bfe_u32 v1, v0, 5, 1
	s_mov_b32 s24, 0x88fffff
	v_add3_u32 v1, v6, v1, s24
	s_mov_b64 s[16:17], exec
	v_lshrrev_b32_e32 v1, 21, v1
                                        ; implicit-def: $vgpr6
	s_or_saveexec_b64 s[18:19], s[18:19]
                                        ; implicit-def: $sgpr24
	s_xor_b64 exec, exec, s[18:19]
	s_cbranch_execnz .LBB47_1764
.LBB47_1510:
	s_or_b64 exec, exec, s[18:19]
	v_mov_b32_e32 v8, s24
	s_and_saveexec_b64 s[18:19], s[16:17]
.LBB47_1511:
	v_lshrrev_b32_e32 v0, 8, v0
	s_movk_i32 s16, 0x80
	v_and_or_b32 v8, v0, s16, v1
.LBB47_1512:
	s_or_b64 exec, exec, s[18:19]
.LBB47_1513:
	s_or_b64 exec, exec, s[14:15]
	s_mov_b64 s[14:15], 0
	global_store_byte v[2:3], v8, off
.LBB47_1514:
	s_and_b64 vcc, exec, s[14:15]
	s_cbranch_vccz .LBB47_1524
; %bb.1515:
	v_lshlrev_b32_e32 v6, 16, v4
	v_and_b32_e32 v8, 0x7fffffff, v6
	s_mov_b32 s14, 0x43f00000
	v_and_b32_e32 v0, 0xffff, v4
	v_cmp_gt_u32_e32 vcc, s14, v8
                                        ; implicit-def: $vgpr1
	s_and_saveexec_b64 s[14:15], vcc
	s_xor_b64 s[14:15], exec, s[14:15]
	s_cbranch_execz .LBB47_1521
; %bb.1516:
	s_mov_b32 s16, 0x3c7fffff
	v_cmp_lt_u32_e32 vcc, s16, v8
                                        ; implicit-def: $vgpr1
	s_and_saveexec_b64 s[16:17], vcc
	s_xor_b64 s[16:17], exec, s[16:17]
; %bb.1517:
	v_bfe_u32 v1, v0, 4, 1
	s_mov_b32 s18, 0x407ffff
	v_add3_u32 v1, v6, v1, s18
	v_lshrrev_b32_e32 v6, 20, v1
	v_and_b32_e32 v1, 0xff00000, v1
	s_mov_b32 s18, 0x7f00000
	v_mov_b32_e32 v8, 0x7e
	v_cmp_ne_u32_e32 vcc, s18, v1
	v_cndmask_b32_e32 v1, v8, v6, vcc
                                        ; implicit-def: $vgpr6
; %bb.1518:
	s_andn2_saveexec_b64 s[16:17], s[16:17]
; %bb.1519:
	s_mov_b32 s18, 0x46800000
	v_add_f32_e64 v1, |v6|, s18
; %bb.1520:
	s_or_b64 exec, exec, s[16:17]
                                        ; implicit-def: $vgpr8
.LBB47_1521:
	s_andn2_saveexec_b64 s[14:15], s[14:15]
; %bb.1522:
	s_mov_b32 s16, 0x7f800000
	v_mov_b32_e32 v1, 0x7e
	v_mov_b32_e32 v6, 0x7f
	v_cmp_lt_u32_e32 vcc, s16, v8
	v_cndmask_b32_e32 v1, v1, v6, vcc
; %bb.1523:
	s_or_b64 exec, exec, s[14:15]
	v_lshrrev_b32_e32 v0, 8, v0
	s_movk_i32 s14, 0x80
	v_and_or_b32 v0, v0, s14, v1
	global_store_byte v[2:3], v0, off
.LBB47_1524:
	s_mov_b64 s[14:15], 0
.LBB47_1525:
	s_andn2_b64 vcc, exec, s[14:15]
	s_cbranch_vccnz .LBB47_1535
; %bb.1526:
	v_lshlrev_b32_e32 v6, 16, v4
	v_and_b32_e32 v8, 0x7fffffff, v6
	s_mov_b32 s14, 0x47800000
	v_and_b32_e32 v0, 0xffff, v4
	v_cmp_gt_u32_e32 vcc, s14, v8
                                        ; implicit-def: $vgpr1
	s_and_saveexec_b64 s[14:15], vcc
	s_xor_b64 s[14:15], exec, s[14:15]
	s_cbranch_execz .LBB47_1532
; %bb.1527:
	s_mov_b32 s16, 0x387fffff
	v_cmp_lt_u32_e32 vcc, s16, v8
                                        ; implicit-def: $vgpr1
	s_and_saveexec_b64 s[16:17], vcc
	s_xor_b64 s[16:17], exec, s[16:17]
; %bb.1528:
	v_bfe_u32 v1, v0, 5, 1
	s_mov_b32 s18, 0x80fffff
	v_add3_u32 v1, v6, v1, s18
	v_lshrrev_b32_e32 v1, 21, v1
                                        ; implicit-def: $vgpr6
; %bb.1529:
	s_andn2_saveexec_b64 s[16:17], s[16:17]
; %bb.1530:
	s_mov_b32 s18, 0x43000000
	v_add_f32_e64 v1, |v6|, s18
; %bb.1531:
	s_or_b64 exec, exec, s[16:17]
                                        ; implicit-def: $vgpr8
.LBB47_1532:
	s_andn2_saveexec_b64 s[14:15], s[14:15]
; %bb.1533:
	s_mov_b32 s16, 0x7f800000
	v_mov_b32_e32 v1, 0x7c
	v_mov_b32_e32 v6, 0x7f
	v_cmp_lt_u32_e32 vcc, s16, v8
	v_cndmask_b32_e32 v1, v1, v6, vcc
; %bb.1534:
	s_or_b64 exec, exec, s[14:15]
	v_lshrrev_b32_e32 v0, 8, v0
	s_movk_i32 s14, 0x80
	v_and_or_b32 v0, v0, s14, v1
	global_store_byte v[2:3], v0, off
.LBB47_1535:
	s_mov_b64 s[14:15], 0
.LBB47_1536:
	s_andn2_b64 vcc, exec, s[14:15]
	s_mov_b64 s[14:15], 0
	s_cbranch_vccnz .LBB47_1544
; %bb.1537:
	v_cmp_lt_i16_e32 vcc, 14, v5
	s_mov_b64 s[16:17], -1
	s_cbranch_vccz .LBB47_1541
; %bb.1538:
	v_cmp_eq_u16_e32 vcc, 15, v5
	s_mov_b64 s[0:1], -1
	s_cbranch_vccz .LBB47_1540
; %bb.1539:
	global_store_short v[2:3], v4, off
	s_mov_b64 s[0:1], 0
.LBB47_1540:
	s_mov_b64 s[16:17], 0
.LBB47_1541:
	s_and_b64 vcc, exec, s[16:17]
	s_cbranch_vccz .LBB47_1544
; %bb.1542:
	v_cmp_ne_u16_e32 vcc, 11, v5
	s_andn2_b64 s[0:1], s[0:1], exec
	s_and_b64 s[16:17], vcc, exec
	s_mov_b64 s[14:15], -1
	s_or_b64 s[0:1], s[0:1], s[16:17]
	s_branch .LBB47_1544
.LBB47_1543:
	s_mov_b64 s[14:15], 0
.LBB47_1544:
	s_and_b64 s[16:17], s[8:9], exec
	s_andn2_b64 s[8:9], s[36:37], exec
	s_and_b64 s[0:1], s[0:1], exec
	s_and_b64 s[18:19], s[14:15], exec
	s_or_b64 s[36:37], s[8:9], s[0:1]
	s_or_b64 exec, exec, s[12:13]
	s_and_saveexec_b64 s[0:1], s[36:37]
	s_cbranch_execz .LBB47_1483
.LBB47_1545:
	s_or_b64 s[10:11], s[10:11], exec
	s_andn2_b64 s[18:19], s[18:19], exec
	s_trap 2
	s_or_b64 exec, exec, s[0:1]
	s_and_saveexec_b64 s[0:1], s[18:19]
	s_xor_b64 s[0:1], exec, s[0:1]
	s_cbranch_execnz .LBB47_1484
.LBB47_1546:
	s_or_b64 exec, exec, s[0:1]
	s_and_saveexec_b64 s[0:1], s[16:17]
	s_xor_b64 s[0:1], exec, s[0:1]
	s_cbranch_execz .LBB47_1584
.LBB47_1547:
	v_cmp_gt_i16_e32 vcc, 5, v5
	s_mov_b64 s[8:9], -1
	s_cbranch_vccnz .LBB47_1568
; %bb.1548:
	v_cmp_gt_i16_e32 vcc, 8, v5
	s_cbranch_vccnz .LBB47_1558
; %bb.1549:
	v_cmp_gt_i16_e32 vcc, 9, v5
	s_cbranch_vccnz .LBB47_1555
; %bb.1550:
	v_cmp_lt_i16_e32 vcc, 9, v5
	s_cbranch_vccz .LBB47_1552
; %bb.1551:
	s_waitcnt vmcnt(0)
	v_lshlrev_b32_e32 v0, 16, v4
	v_mov_b32_e32 v8, 0
	v_cvt_f64_f32_e32 v[6:7], v0
	v_mov_b32_e32 v9, v8
	s_mov_b64 s[8:9], 0
	global_store_dwordx4 v[2:3], v[6:9], off
.LBB47_1552:
	s_andn2_b64 vcc, exec, s[8:9]
	s_cbranch_vccnz .LBB47_1554
; %bb.1553:
	s_waitcnt vmcnt(0)
	v_lshlrev_b32_e32 v0, 16, v4
	v_mov_b32_e32 v1, 0
	global_store_dwordx2 v[2:3], v[0:1], off
.LBB47_1554:
	s_mov_b64 s[8:9], 0
.LBB47_1555:
	s_andn2_b64 vcc, exec, s[8:9]
	s_cbranch_vccnz .LBB47_1557
; %bb.1556:
	s_waitcnt vmcnt(0)
	v_lshlrev_b32_e32 v0, 16, v4
	v_cvt_f16_f32_e32 v0, v0
	global_store_dword v[2:3], v0, off
.LBB47_1557:
	s_mov_b64 s[8:9], 0
.LBB47_1558:
	s_andn2_b64 vcc, exec, s[8:9]
	s_cbranch_vccnz .LBB47_1567
; %bb.1559:
	v_cmp_gt_i16_e32 vcc, 6, v5
	s_mov_b64 s[8:9], -1
	s_cbranch_vccnz .LBB47_1565
; %bb.1560:
	v_cmp_lt_i16_e32 vcc, 6, v5
	s_cbranch_vccz .LBB47_1562
; %bb.1561:
	s_waitcnt vmcnt(0)
	v_lshlrev_b32_e32 v0, 16, v4
	v_cvt_f64_f32_e32 v[0:1], v0
	s_mov_b64 s[8:9], 0
	global_store_dwordx2 v[2:3], v[0:1], off
.LBB47_1562:
	s_andn2_b64 vcc, exec, s[8:9]
	s_cbranch_vccnz .LBB47_1564
; %bb.1563:
	s_waitcnt vmcnt(0)
	v_lshlrev_b32_e32 v0, 16, v4
	global_store_dword v[2:3], v0, off
.LBB47_1564:
	s_mov_b64 s[8:9], 0
.LBB47_1565:
	s_andn2_b64 vcc, exec, s[8:9]
	s_cbranch_vccnz .LBB47_1567
; %bb.1566:
	s_waitcnt vmcnt(0)
	v_lshlrev_b32_e32 v0, 16, v4
	v_cvt_f16_f32_e32 v0, v0
	global_store_short v[2:3], v0, off
.LBB47_1567:
	s_mov_b64 s[8:9], 0
.LBB47_1568:
	s_andn2_b64 vcc, exec, s[8:9]
	s_cbranch_vccnz .LBB47_1584
; %bb.1569:
	v_cmp_gt_i16_e32 vcc, 2, v5
	s_mov_b64 s[8:9], -1
	s_cbranch_vccnz .LBB47_1579
; %bb.1570:
	v_cmp_gt_i16_e32 vcc, 3, v5
	s_cbranch_vccnz .LBB47_1576
; %bb.1571:
	v_cmp_lt_i16_e32 vcc, 3, v5
	s_cbranch_vccz .LBB47_1573
; %bb.1572:
	s_waitcnt vmcnt(0)
	v_lshlrev_b32_e32 v0, 16, v4
	v_trunc_f32_e32 v0, v0
	s_mov_b32 s8, 0x2f800000
	v_mul_f32_e64 v1, |v0|, s8
	v_floor_f32_e32 v1, v1
	s_mov_b32 s8, 0xcf800000
	v_cvt_u32_f32_e32 v6, v1
	v_fma_f32 v1, v1, s8, |v0|
	v_cvt_u32_f32_e32 v1, v1
	v_ashrrev_i32_e32 v7, 31, v0
	v_xor_b32_e32 v6, v6, v7
	s_mov_b64 s[8:9], 0
	v_xor_b32_e32 v0, v1, v7
	v_sub_co_u32_e32 v0, vcc, v0, v7
	v_subb_co_u32_e32 v1, vcc, v6, v7, vcc
	global_store_dwordx2 v[2:3], v[0:1], off
.LBB47_1573:
	s_andn2_b64 vcc, exec, s[8:9]
	s_cbranch_vccnz .LBB47_1575
; %bb.1574:
	s_waitcnt vmcnt(0)
	v_lshlrev_b32_e32 v0, 16, v4
	v_cvt_i32_f32_e32 v0, v0
	global_store_dword v[2:3], v0, off
.LBB47_1575:
	s_mov_b64 s[8:9], 0
.LBB47_1576:
	s_andn2_b64 vcc, exec, s[8:9]
	s_cbranch_vccnz .LBB47_1578
; %bb.1577:
	s_waitcnt vmcnt(0)
	v_lshlrev_b32_e32 v0, 16, v4
	v_cvt_i32_f32_e32 v0, v0
	global_store_short v[2:3], v0, off
.LBB47_1578:
	s_mov_b64 s[8:9], 0
.LBB47_1579:
	s_andn2_b64 vcc, exec, s[8:9]
	s_cbranch_vccnz .LBB47_1584
; %bb.1580:
	v_cmp_lt_i16_e32 vcc, 0, v5
	s_mov_b64 s[8:9], -1
	s_waitcnt vmcnt(0)
	v_lshlrev_b32_e32 v0, 16, v4
	s_cbranch_vccz .LBB47_1582
; %bb.1581:
	v_cvt_i32_f32_e32 v1, v0
	s_mov_b64 s[8:9], 0
	global_store_byte v[2:3], v1, off
.LBB47_1582:
	s_andn2_b64 vcc, exec, s[8:9]
	s_cbranch_vccnz .LBB47_1584
; %bb.1583:
	v_trunc_f32_e32 v0, v0
	s_mov_b32 s8, 0x2f800000
	v_mul_f32_e64 v1, |v0|, s8
	v_floor_f32_e32 v1, v1
	s_mov_b32 s8, 0xcf800000
	v_fma_f32 v1, v1, s8, |v0|
	v_cvt_u32_f32_e32 v1, v1
	v_ashrrev_i32_e32 v0, 31, v0
	v_xor_b32_e32 v1, v1, v0
	v_sub_u32_e32 v0, v1, v0
	global_store_byte v[2:3], v0, off
.LBB47_1584:
	s_or_b64 exec, exec, s[0:1]
	s_and_b64 s[12:13], s[10:11], exec
                                        ; implicit-def: $vgpr24
                                        ; implicit-def: $vgpr8
.LBB47_1585:
	s_or_saveexec_b64 s[14:15], s[22:23]
	s_mov_b64 s[0:1], 0
                                        ; implicit-def: $vgpr0_vgpr1
                                        ; implicit-def: $vgpr3
                                        ; implicit-def: $vgpr2
                                        ; implicit-def: $vgpr4
	s_xor_b64 exec, exec, s[14:15]
	s_cbranch_execz .LBB47_3114
; %bb.1586:
	v_cndmask_b32_e64 v0, 0, 1, s[20:21]
	v_cmp_ne_u32_e64 s[0:1], 1, v0
	s_andn2_b64 vcc, exec, s[20:21]
	s_cbranch_vccnz .LBB47_1592
; %bb.1587:
	s_cmp_lg_u32 s33, 0
	v_mov_b32_e32 v20, 0
	v_mov_b32_e32 v22, 0
	;; [unrolled: 1-line block ×3, first 2 shown]
	s_cbranch_scc0 .LBB47_1593
; %bb.1588:
	s_min_u32 s8, s68, 15
	s_add_i32 s6, s8, 1
	s_and_b32 s9, s6, 30
	s_add_u32 s6, s2, 0xffffffec
	s_addc_u32 s7, s3, -1
	v_mov_b32_e32 v6, 0
	s_waitcnt vmcnt(0)
	v_mov_b32_e32 v0, v8
	v_mov_b32_e32 v22, 0
	;; [unrolled: 1-line block ×3, first 2 shown]
.LBB47_1589:                            ; =>This Inner Loop Header: Depth=1
	s_mov_b64 s[10:11], s[6:7]
	s_load_dwordx4 s[16:19], s[10:11], 0x18
	s_load_dwordx2 s[24:25], s[10:11], 0x28
	s_load_dwordx2 s[26:27], s[10:11], 0xe8
	s_load_dwordx4 s[20:23], s[10:11], 0xd8
	s_add_u32 s6, s10, 24
	s_waitcnt lgkmcnt(0)
	v_mul_hi_u32 v1, s17, v0
	v_add_u32_e32 v1, v0, v1
	v_lshrrev_b32_e32 v1, s18, v1
	v_mul_lo_u32 v2, v1, s16
	v_mul_hi_u32 v3, s24, v1
	v_sub_u32_e32 v0, v0, v2
	v_add_u32_e32 v2, v1, v3
	v_mul_lo_u32 v3, v0, s20
	v_mul_lo_u32 v4, v0, s21
	;; [unrolled: 1-line block ×3, first 2 shown]
	v_lshrrev_b32_e32 v0, s25, v2
	v_mul_lo_u32 v2, v0, s19
	v_sub_u32_e32 v1, v1, v2
	s_addc_u32 s7, s11, 0
	s_add_i32 s9, s9, -2
	v_mul_lo_u32 v2, v1, s23
	v_mul_lo_u32 v7, v1, s26
	;; [unrolled: 1-line block ×3, first 2 shown]
	s_cmp_lg_u32 s9, 0
	v_add3_u32 v6, v3, v6, v2
	v_add3_u32 v20, v5, v20, v1
	;; [unrolled: 1-line block ×3, first 2 shown]
	s_cbranch_scc1 .LBB47_1589
; %bb.1590:
	s_bitcmp1_b32 s8, 0
	s_cselect_b64 s[8:9], -1, 0
	s_and_b64 vcc, exec, s[8:9]
	s_cbranch_vccnz .LBB47_1593
; %bb.1591:
	s_load_dwordx2 s[8:9], s[6:7], 0x18
	s_load_dword s16, s[6:7], 0x20
	s_load_dword s17, s[6:7], 0xe0
	s_load_dwordx2 s[10:11], s[6:7], 0xd8
	s_waitcnt lgkmcnt(0)
	v_mul_hi_u32 v1, s9, v0
	v_add_u32_e32 v1, v0, v1
	v_lshrrev_b32_e32 v1, s16, v1
	v_mul_lo_u32 v1, v1, s8
	v_sub_u32_e32 v0, v0, v1
	v_mad_u64_u32 v[6:7], s[6:7], v0, s10, v[6:7]
	v_mad_u64_u32 v[22:23], s[6:7], v0, s11, v[22:23]
	v_mad_u64_u32 v[20:21], s[6:7], v0, s17, v[20:21]
	s_cbranch_execz .LBB47_1594
	s_branch .LBB47_1596
.LBB47_1592:
                                        ; implicit-def: $vgpr20
                                        ; implicit-def: $vgpr22
                                        ; implicit-def: $vgpr6
	s_branch .LBB47_1594
.LBB47_1593:
	s_cbranch_execnz .LBB47_1596
.LBB47_1594:
	s_load_dwordx4 s[8:11], s[2:3], 0x4
	s_load_dwordx4 s[16:19], s[2:3], 0xc4
	s_cmp_lt_u32 s33, 2
	s_waitcnt vmcnt(0) lgkmcnt(0)
	v_mul_hi_u32 v0, s9, v8
	v_add_u32_e32 v0, v8, v0
	v_lshrrev_b32_e32 v0, s10, v0
	v_mul_lo_u32 v1, v0, s8
	v_sub_u32_e32 v1, v8, v1
	v_mul_lo_u32 v6, v1, s16
	v_mul_lo_u32 v20, v1, s18
	;; [unrolled: 1-line block ×3, first 2 shown]
	s_cbranch_scc1 .LBB47_1596
; %bb.1595:
	s_load_dwordx4 s[8:11], s[2:3], 0x10
	s_load_dwordx4 s[16:19], s[2:3], 0xd0
	s_waitcnt lgkmcnt(0)
	v_mul_hi_u32 v1, s9, v0
	v_add_u32_e32 v1, v0, v1
	v_lshrrev_b32_e32 v1, s10, v1
	v_mul_lo_u32 v1, v1, s8
	v_sub_u32_e32 v0, v0, v1
	v_mad_u64_u32 v[6:7], s[6:7], v0, s16, v[6:7]
	v_mad_u64_u32 v[22:23], s[6:7], v0, s17, v[22:23]
	;; [unrolled: 1-line block ×3, first 2 shown]
.LBB47_1596:
	s_and_b64 vcc, exec, s[0:1]
	s_waitcnt vmcnt(0)
	v_add_u32_e32 v0, 0x80, v8
	s_cbranch_vccnz .LBB47_1602
; %bb.1597:
	s_cmp_lg_u32 s33, 0
	v_mov_b32_e32 v16, 0
	v_mov_b32_e32 v18, 0
	;; [unrolled: 1-line block ×3, first 2 shown]
	s_cbranch_scc0 .LBB47_1603
; %bb.1598:
	s_min_u32 s8, s68, 15
	s_add_i32 s6, s8, 1
	s_and_b32 s9, s6, 30
	s_add_u32 s6, s2, 0xffffffec
	s_addc_u32 s7, s3, -1
	v_mov_b32_e32 v4, 0
	v_mov_b32_e32 v1, v0
	;; [unrolled: 1-line block ×4, first 2 shown]
.LBB47_1599:                            ; =>This Inner Loop Header: Depth=1
	s_mov_b64 s[10:11], s[6:7]
	s_load_dwordx4 s[16:19], s[10:11], 0x18
	s_load_dwordx2 s[24:25], s[10:11], 0x28
	s_load_dwordx2 s[26:27], s[10:11], 0xe8
	s_load_dwordx4 s[20:23], s[10:11], 0xd8
	s_add_u32 s6, s10, 24
	s_waitcnt lgkmcnt(0)
	v_mul_hi_u32 v2, s17, v1
	v_add_u32_e32 v2, v1, v2
	v_lshrrev_b32_e32 v2, s18, v2
	v_mul_lo_u32 v3, v2, s16
	v_mul_hi_u32 v5, s24, v2
	v_sub_u32_e32 v1, v1, v3
	v_add_u32_e32 v3, v2, v5
	v_mul_lo_u32 v5, v1, s20
	v_mul_lo_u32 v7, v1, s21
	;; [unrolled: 1-line block ×3, first 2 shown]
	v_lshrrev_b32_e32 v1, s25, v3
	v_mul_lo_u32 v3, v1, s19
	v_sub_u32_e32 v2, v2, v3
	s_addc_u32 s7, s11, 0
	s_add_i32 s9, s9, -2
	v_mul_lo_u32 v3, v2, s23
	v_mul_lo_u32 v10, v2, s26
	;; [unrolled: 1-line block ×3, first 2 shown]
	s_cmp_lg_u32 s9, 0
	v_add3_u32 v4, v5, v4, v3
	v_add3_u32 v16, v9, v16, v2
	;; [unrolled: 1-line block ×3, first 2 shown]
	s_cbranch_scc1 .LBB47_1599
; %bb.1600:
	s_bitcmp1_b32 s8, 0
	s_cselect_b64 s[8:9], -1, 0
	s_and_b64 vcc, exec, s[8:9]
	s_cbranch_vccnz .LBB47_1603
; %bb.1601:
	s_load_dwordx2 s[8:9], s[6:7], 0x18
	s_load_dword s16, s[6:7], 0x20
	s_load_dword s17, s[6:7], 0xe0
	s_load_dwordx2 s[10:11], s[6:7], 0xd8
	s_waitcnt lgkmcnt(0)
	v_mul_hi_u32 v2, s9, v1
	v_add_u32_e32 v2, v1, v2
	v_lshrrev_b32_e32 v2, s16, v2
	v_mul_lo_u32 v2, v2, s8
	v_sub_u32_e32 v1, v1, v2
	v_mad_u64_u32 v[4:5], s[6:7], v1, s10, v[4:5]
	v_mad_u64_u32 v[18:19], s[6:7], v1, s11, v[18:19]
	;; [unrolled: 1-line block ×3, first 2 shown]
	s_cbranch_execz .LBB47_1604
	s_branch .LBB47_1606
.LBB47_1602:
                                        ; implicit-def: $vgpr16
                                        ; implicit-def: $vgpr18
                                        ; implicit-def: $vgpr4
	s_branch .LBB47_1604
.LBB47_1603:
	s_cbranch_execnz .LBB47_1606
.LBB47_1604:
	s_load_dwordx4 s[8:11], s[2:3], 0x4
	s_load_dwordx4 s[16:19], s[2:3], 0xc4
	s_cmp_lt_u32 s33, 2
	s_waitcnt lgkmcnt(0)
	v_mul_hi_u32 v1, s9, v0
	v_add_u32_e32 v1, v0, v1
	v_lshrrev_b32_e32 v1, s10, v1
	v_mul_lo_u32 v2, v1, s8
	v_sub_u32_e32 v0, v0, v2
	v_mul_lo_u32 v4, v0, s16
	v_mul_lo_u32 v16, v0, s18
	;; [unrolled: 1-line block ×3, first 2 shown]
	s_cbranch_scc1 .LBB47_1606
; %bb.1605:
	s_load_dwordx4 s[8:11], s[2:3], 0x10
	s_load_dwordx4 s[16:19], s[2:3], 0xd0
	s_waitcnt lgkmcnt(0)
	v_mul_hi_u32 v0, s9, v1
	v_add_u32_e32 v0, v1, v0
	v_lshrrev_b32_e32 v0, s10, v0
	v_mul_lo_u32 v0, v0, s8
	v_sub_u32_e32 v0, v1, v0
	v_mad_u64_u32 v[4:5], s[6:7], v0, s16, v[4:5]
	v_mad_u64_u32 v[18:19], s[6:7], v0, s17, v[18:19]
	;; [unrolled: 1-line block ×3, first 2 shown]
.LBB47_1606:
	s_and_b64 vcc, exec, s[0:1]
	v_add_u32_e32 v0, 0x100, v8
	s_cbranch_vccnz .LBB47_1612
; %bb.1607:
	s_cmp_lg_u32 s33, 0
	v_mov_b32_e32 v12, 0
	v_mov_b32_e32 v14, 0
	;; [unrolled: 1-line block ×3, first 2 shown]
	s_cbranch_scc0 .LBB47_1613
; %bb.1608:
	s_min_u32 s8, s68, 15
	s_add_i32 s6, s8, 1
	s_and_b32 s9, s6, 30
	s_add_u32 s6, s2, 0xffffffec
	s_addc_u32 s7, s3, -1
	v_mov_b32_e32 v2, 0
	v_mov_b32_e32 v1, v0
	;; [unrolled: 1-line block ×4, first 2 shown]
.LBB47_1609:                            ; =>This Inner Loop Header: Depth=1
	s_mov_b64 s[10:11], s[6:7]
	s_load_dwordx4 s[16:19], s[10:11], 0x18
	s_load_dwordx2 s[24:25], s[10:11], 0x28
	s_load_dwordx2 s[26:27], s[10:11], 0xe8
	s_load_dwordx4 s[20:23], s[10:11], 0xd8
	s_add_u32 s6, s10, 24
	s_waitcnt lgkmcnt(0)
	v_mul_hi_u32 v3, s17, v1
	v_add_u32_e32 v3, v1, v3
	v_lshrrev_b32_e32 v3, s18, v3
	v_mul_lo_u32 v5, v3, s16
	v_mul_hi_u32 v7, s24, v3
	v_sub_u32_e32 v1, v1, v5
	v_add_u32_e32 v5, v3, v7
	v_mul_lo_u32 v7, v1, s20
	v_mul_lo_u32 v8, v1, s21
	;; [unrolled: 1-line block ×3, first 2 shown]
	v_lshrrev_b32_e32 v1, s25, v5
	v_mul_lo_u32 v5, v1, s19
	v_sub_u32_e32 v3, v3, v5
	s_addc_u32 s7, s11, 0
	s_add_i32 s9, s9, -2
	v_mul_lo_u32 v5, v3, s23
	v_mul_lo_u32 v10, v3, s26
	;; [unrolled: 1-line block ×3, first 2 shown]
	s_cmp_lg_u32 s9, 0
	v_add3_u32 v2, v7, v2, v5
	v_add3_u32 v12, v9, v12, v3
	;; [unrolled: 1-line block ×3, first 2 shown]
	s_cbranch_scc1 .LBB47_1609
; %bb.1610:
	s_bitcmp1_b32 s8, 0
	s_cselect_b64 s[8:9], -1, 0
	s_and_b64 vcc, exec, s[8:9]
	s_cbranch_vccnz .LBB47_1613
; %bb.1611:
	s_load_dwordx2 s[8:9], s[6:7], 0x18
	s_load_dword s16, s[6:7], 0x20
	s_load_dword s17, s[6:7], 0xe0
	s_load_dwordx2 s[10:11], s[6:7], 0xd8
	s_waitcnt lgkmcnt(0)
	v_mul_hi_u32 v3, s9, v1
	v_add_u32_e32 v3, v1, v3
	v_lshrrev_b32_e32 v3, s16, v3
	v_mul_lo_u32 v3, v3, s8
	v_sub_u32_e32 v1, v1, v3
	v_mad_u64_u32 v[2:3], s[6:7], v1, s10, v[2:3]
	v_mad_u64_u32 v[14:15], s[6:7], v1, s11, v[14:15]
	;; [unrolled: 1-line block ×3, first 2 shown]
	s_cbranch_execz .LBB47_1614
	s_branch .LBB47_1616
.LBB47_1612:
                                        ; implicit-def: $vgpr12
                                        ; implicit-def: $vgpr14
                                        ; implicit-def: $vgpr2
	s_branch .LBB47_1614
.LBB47_1613:
	s_cbranch_execnz .LBB47_1616
.LBB47_1614:
	s_load_dwordx4 s[8:11], s[2:3], 0x4
	s_load_dwordx4 s[16:19], s[2:3], 0xc4
	s_cmp_lt_u32 s33, 2
	s_waitcnt lgkmcnt(0)
	v_mul_hi_u32 v1, s9, v0
	v_add_u32_e32 v1, v0, v1
	v_lshrrev_b32_e32 v1, s10, v1
	v_mul_lo_u32 v2, v1, s8
	v_sub_u32_e32 v0, v0, v2
	v_mul_lo_u32 v2, v0, s16
	v_mul_lo_u32 v12, v0, s18
	;; [unrolled: 1-line block ×3, first 2 shown]
	s_cbranch_scc1 .LBB47_1616
; %bb.1615:
	s_load_dwordx4 s[8:11], s[2:3], 0x10
	s_load_dwordx4 s[16:19], s[2:3], 0xd0
	s_waitcnt lgkmcnt(0)
	v_mul_hi_u32 v0, s9, v1
	v_add_u32_e32 v0, v1, v0
	v_lshrrev_b32_e32 v0, s10, v0
	v_mul_lo_u32 v0, v0, s8
	v_sub_u32_e32 v0, v1, v0
	v_mad_u64_u32 v[2:3], s[6:7], v0, s16, v[2:3]
	v_mad_u64_u32 v[14:15], s[6:7], v0, s17, v[14:15]
	v_mad_u64_u32 v[12:13], s[6:7], v0, s18, v[12:13]
.LBB47_1616:
	s_and_b64 vcc, exec, s[0:1]
	s_cbranch_vccnz .LBB47_1622
; %bb.1617:
	s_cmp_lg_u32 s33, 0
	v_mov_b32_e32 v8, 0
	v_mov_b32_e32 v10, 0
	v_mov_b32_e32 v0, 0
	s_cbranch_scc0 .LBB47_1623
; %bb.1618:
	s_min_u32 s6, s68, 15
	s_add_i32 s0, s6, 1
	s_and_b32 s7, s0, 30
	s_add_u32 s0, s2, 0xffffffec
	s_addc_u32 s1, s3, -1
	v_mov_b32_e32 v0, 0
	v_mov_b32_e32 v1, v24
	;; [unrolled: 1-line block ×4, first 2 shown]
.LBB47_1619:                            ; =>This Inner Loop Header: Depth=1
	s_mov_b64 s[20:21], s[0:1]
	s_load_dwordx4 s[8:11], s[20:21], 0x18
	s_load_dwordx2 s[22:23], s[20:21], 0x28
	s_load_dwordx2 s[24:25], s[20:21], 0xe8
	s_load_dwordx4 s[16:19], s[20:21], 0xd8
	s_add_u32 s0, s20, 24
	s_waitcnt lgkmcnt(0)
	v_mul_hi_u32 v3, s9, v1
	v_add_u32_e32 v3, v1, v3
	v_lshrrev_b32_e32 v3, s10, v3
	v_mul_lo_u32 v5, v3, s8
	v_mul_hi_u32 v7, s22, v3
	v_sub_u32_e32 v1, v1, v5
	v_add_u32_e32 v5, v3, v7
	v_mul_lo_u32 v7, v1, s16
	v_mul_lo_u32 v9, v1, s17
	;; [unrolled: 1-line block ×3, first 2 shown]
	v_lshrrev_b32_e32 v1, s23, v5
	v_mul_lo_u32 v5, v1, s11
	v_sub_u32_e32 v3, v3, v5
	s_addc_u32 s1, s21, 0
	s_add_i32 s7, s7, -2
	v_mul_lo_u32 v5, v3, s19
	v_mul_lo_u32 v13, v3, s24
	;; [unrolled: 1-line block ×3, first 2 shown]
	s_cmp_lg_u32 s7, 0
	v_add3_u32 v0, v7, v0, v5
	v_add3_u32 v8, v11, v8, v3
	;; [unrolled: 1-line block ×3, first 2 shown]
	s_cbranch_scc1 .LBB47_1619
; %bb.1620:
	s_bitcmp1_b32 s6, 0
	s_cselect_b64 s[6:7], -1, 0
	s_and_b64 vcc, exec, s[6:7]
	s_cbranch_vccnz .LBB47_1623
; %bb.1621:
	s_load_dwordx2 s[6:7], s[0:1], 0x18
	s_load_dword s10, s[0:1], 0x20
	s_load_dword s11, s[0:1], 0xe0
	s_load_dwordx2 s[8:9], s[0:1], 0xd8
	s_waitcnt lgkmcnt(0)
	v_mul_hi_u32 v3, s7, v1
	v_add_u32_e32 v3, v1, v3
	v_lshrrev_b32_e32 v3, s10, v3
	v_mul_lo_u32 v3, v3, s6
	v_sub_u32_e32 v3, v1, v3
	v_mad_u64_u32 v[0:1], s[0:1], v3, s8, v[0:1]
	v_mad_u64_u32 v[10:11], s[0:1], v3, s9, v[10:11]
	;; [unrolled: 1-line block ×3, first 2 shown]
	s_cbranch_execz .LBB47_1624
	s_branch .LBB47_1626
.LBB47_1622:
                                        ; implicit-def: $vgpr8
                                        ; implicit-def: $vgpr10
                                        ; implicit-def: $vgpr0
	s_branch .LBB47_1624
.LBB47_1623:
	s_cbranch_execnz .LBB47_1626
.LBB47_1624:
	s_load_dwordx4 s[8:11], s[2:3], 0x4
	s_load_dwordx4 s[16:19], s[2:3], 0xc4
	s_cmp_lt_u32 s33, 2
	s_waitcnt lgkmcnt(0)
	v_mul_hi_u32 v0, s9, v24
	v_add_u32_e32 v0, v24, v0
	v_lshrrev_b32_e32 v1, s10, v0
	v_mul_lo_u32 v0, v1, s8
	v_sub_u32_e32 v3, v24, v0
	v_mul_lo_u32 v0, v3, s16
	v_mul_lo_u32 v8, v3, s18
	v_mul_lo_u32 v10, v3, s17
	s_cbranch_scc1 .LBB47_1626
; %bb.1625:
	s_load_dwordx4 s[8:11], s[2:3], 0x10
	s_load_dwordx4 s[16:19], s[2:3], 0xd0
	s_waitcnt lgkmcnt(0)
	v_mul_hi_u32 v3, s9, v1
	v_add_u32_e32 v3, v1, v3
	v_lshrrev_b32_e32 v3, s10, v3
	v_mul_lo_u32 v3, v3, s8
	v_sub_u32_e32 v3, v1, v3
	v_mad_u64_u32 v[0:1], s[0:1], v3, s16, v[0:1]
	v_mad_u64_u32 v[10:11], s[0:1], v3, s17, v[10:11]
	;; [unrolled: 1-line block ×3, first 2 shown]
.LBB47_1626:
	s_load_dword s24, s[4:5], 0x1a8
	s_load_dwordx4 s[8:11], s[2:3], 0x188
	s_waitcnt lgkmcnt(0)
	s_lshr_b32 s25, s24, 16
	v_mov_b32_e32 v1, s11
	v_add_co_u32_e32 v22, vcc, s10, v22
	v_addc_co_u32_e32 v23, vcc, 0, v1, vcc
	v_mov_b32_e32 v1, 11
	v_cmp_lt_i16_sdwa s[0:1], s25, v1 src0_sel:BYTE_0 src1_sel:DWORD
	s_and_b64 vcc, exec, s[0:1]
	s_cbranch_vccnz .LBB47_1633
; %bb.1627:
	v_mov_b32_e32 v1, 25
	v_cmp_gt_i16_sdwa s[0:1], s25, v1 src0_sel:BYTE_0 src1_sel:DWORD
	s_mov_b64 s[6:7], 0
	s_and_b64 vcc, exec, s[0:1]
	s_cbranch_vccz .LBB47_1635
; %bb.1628:
	v_mov_b32_e32 v1, 28
	v_cmp_gt_i16_sdwa s[0:1], s25, v1 src0_sel:BYTE_0 src1_sel:DWORD
	s_and_b64 vcc, exec, s[0:1]
	s_cbranch_vccz .LBB47_1636
; %bb.1629:
	v_mov_b32_e32 v1, 43
	v_cmp_gt_i16_sdwa s[0:1], s25, v1 src0_sel:BYTE_0 src1_sel:DWORD
	;; [unrolled: 5-line block ×3, first 2 shown]
	s_and_b64 vcc, exec, s[0:1]
	s_cbranch_vccz .LBB47_1638
; %bb.1631:
	v_mov_b32_e32 v1, 46
	v_cmp_eq_u16_sdwa s[0:1], s25, v1 src0_sel:BYTE_0 src1_sel:DWORD
	s_mov_b64 s[4:5], 0
	s_and_b64 vcc, exec, s[0:1]
	s_cbranch_vccz .LBB47_1641
; %bb.1632:
	global_load_dword v1, v[22:23], off
	s_mov_b64 s[0:1], 0
	s_mov_b64 s[16:17], -1
	s_branch .LBB47_1642
.LBB47_1633:
	s_mov_b64 s[16:17], 0
                                        ; implicit-def: $vgpr1
	s_mov_b64 s[4:5], s[12:13]
	s_cbranch_execnz .LBB47_1704
.LBB47_1634:
	s_andn2_b64 vcc, exec, s[16:17]
	s_cbranch_vccz .LBB47_1749
	s_branch .LBB47_3112
.LBB47_1635:
	s_mov_b64 s[16:17], 0
	s_mov_b64 s[0:1], 0
                                        ; implicit-def: $vgpr1
	s_cbranch_execnz .LBB47_1669
	s_branch .LBB47_1700
.LBB47_1636:
	s_mov_b64 s[16:17], 0
	s_mov_b64 s[0:1], 0
                                        ; implicit-def: $vgpr1
	s_cbranch_execz .LBB47_1668
	s_branch .LBB47_1651
.LBB47_1637:
	s_mov_b64 s[16:17], 0
	s_mov_b64 s[0:1], 0
                                        ; implicit-def: $vgpr1
	s_cbranch_execnz .LBB47_1647
	s_branch .LBB47_1650
.LBB47_1638:
	s_mov_b64 s[4:5], -1
	s_mov_b64 s[16:17], 0
	s_mov_b64 s[0:1], 0
                                        ; implicit-def: $vgpr1
	s_branch .LBB47_1642
.LBB47_1639:
	s_or_saveexec_b64 s[16:17], s[16:17]
                                        ; implicit-def: $sgpr18
	s_xor_b64 exec, exec, s[16:17]
	s_cbranch_execz .LBB47_1498
.LBB47_1640:
	s_mov_b32 s18, 0x46000000
	v_add_f32_e64 v1, |v6|, s18
	v_and_b32_e32 v1, 0xff, v1
	v_cmp_ne_u32_e32 vcc, 0, v1
	s_andn2_b64 s[14:15], s[14:15], exec
	s_and_b64 s[24:25], vcc, exec
	s_mov_b32 s18, 0
	s_or_b64 s[14:15], s[14:15], s[24:25]
	s_or_b64 exec, exec, s[16:17]
	v_mov_b32_e32 v8, s18
	s_and_saveexec_b64 s[16:17], s[14:15]
	s_cbranch_execnz .LBB47_1499
	s_branch .LBB47_1500
.LBB47_1641:
	s_mov_b64 s[0:1], -1
                                        ; implicit-def: $vgpr1
	s_mov_b64 s[16:17], 0
.LBB47_1642:
	s_and_b64 vcc, exec, s[4:5]
	s_cbranch_vccz .LBB47_1645
; %bb.1643:
	s_waitcnt vmcnt(0)
	v_mov_b32_e32 v1, 44
	v_cmp_eq_u16_sdwa s[0:1], s25, v1 src0_sel:BYTE_0 src1_sel:DWORD
	s_and_b64 vcc, exec, s[0:1]
	s_cbranch_vccz .LBB47_1646
; %bb.1644:
	global_load_ubyte v1, v[22:23], off
	s_movk_i32 s4, 0xff
	v_mov_b32_e32 v3, 0x7f800001
	v_mov_b32_e32 v5, 0x400000
	;; [unrolled: 1-line block ×3, first 2 shown]
	s_mov_b64 s[0:1], 0
	s_mov_b64 s[16:17], -1
	s_waitcnt vmcnt(0)
	v_lshlrev_b32_e32 v9, 23, v1
	v_cmp_ne_u32_e32 vcc, s4, v1
	v_cndmask_b32_e32 v3, v3, v9, vcc
	v_cmp_ne_u32_e32 vcc, 0, v1
	v_cndmask_b32_e32 v1, v5, v3, vcc
	v_add_u32_e32 v3, 0x7fff, v1
	v_lshrrev_b32_e32 v3, 16, v3
	v_cmp_o_f32_e32 vcc, v1, v1
	v_cndmask_b32_e32 v1, v7, v3, vcc
.LBB47_1645:
	s_branch .LBB47_1650
.LBB47_1646:
	s_mov_b64 s[0:1], -1
                                        ; implicit-def: $vgpr1
	s_branch .LBB47_1650
.LBB47_1647:
	s_waitcnt vmcnt(0)
	v_mov_b32_e32 v1, 29
	v_cmp_eq_u16_sdwa s[0:1], s25, v1 src0_sel:BYTE_0 src1_sel:DWORD
	s_and_b64 vcc, exec, s[0:1]
	s_cbranch_vccz .LBB47_1649
; %bb.1648:
	global_load_dwordx2 v[24:25], v[22:23], off
	s_movk_i32 s4, 0x7fff
	s_mov_b64 s[0:1], 0
	s_mov_b64 s[16:17], -1
	s_waitcnt vmcnt(0)
	v_ffbh_u32_e32 v1, v25
	v_min_u32_e32 v1, 32, v1
	v_lshlrev_b64 v[24:25], v1, v[24:25]
	v_min_u32_e32 v3, 1, v24
	v_or_b32_e32 v3, v25, v3
	v_cvt_f32_u32_e32 v3, v3
	v_sub_u32_e32 v1, 32, v1
	v_ldexp_f32 v1, v3, v1
	v_bfe_u32 v3, v1, 16, 1
	v_add3_u32 v1, v1, v3, s4
	v_lshrrev_b32_e32 v1, 16, v1
	s_branch .LBB47_1650
.LBB47_1649:
	s_mov_b64 s[0:1], -1
                                        ; implicit-def: $vgpr1
.LBB47_1650:
	s_branch .LBB47_1668
.LBB47_1651:
	s_waitcnt vmcnt(0)
	v_mov_b32_e32 v1, 27
	v_cmp_lt_i16_sdwa s[4:5], s25, v1 src0_sel:BYTE_0 src1_sel:DWORD
	s_and_b64 vcc, exec, s[4:5]
	s_cbranch_vccnz .LBB47_1654
; %bb.1652:
	v_cmp_gt_i16_sdwa s[4:5], s25, v1 src0_sel:BYTE_0 src1_sel:DWORD
	s_and_b64 vcc, exec, s[4:5]
	s_cbranch_vccz .LBB47_1655
; %bb.1653:
	global_load_dword v1, v[22:23], off
	s_movk_i32 s4, 0x7fff
	s_waitcnt vmcnt(0)
	v_cvt_f32_u32_e32 v1, v1
	v_bfe_u32 v3, v1, 16, 1
	v_add3_u32 v1, v1, v3, s4
	v_lshrrev_b32_e32 v1, 16, v1
	s_mov_b64 s[4:5], 0
	s_branch .LBB47_1656
.LBB47_1654:
	s_mov_b64 s[4:5], -1
                                        ; implicit-def: $vgpr1
	s_branch .LBB47_1659
.LBB47_1655:
	s_mov_b64 s[4:5], -1
                                        ; implicit-def: $vgpr1
.LBB47_1656:
	s_andn2_b64 vcc, exec, s[4:5]
	s_cbranch_vccnz .LBB47_1658
; %bb.1657:
	global_load_ushort v1, v[22:23], off
	s_movk_i32 s4, 0x7fff
	s_waitcnt vmcnt(0)
	v_cvt_f32_u32_e32 v1, v1
	v_bfe_u32 v3, v1, 16, 1
	v_add3_u32 v1, v1, v3, s4
	v_lshrrev_b32_e32 v1, 16, v1
.LBB47_1658:
	s_mov_b64 s[4:5], 0
.LBB47_1659:
	s_andn2_b64 vcc, exec, s[4:5]
	s_cbranch_vccnz .LBB47_1667
; %bb.1660:
	global_load_ubyte v1, v[22:23], off
	s_movk_i32 s4, 0x7f
                                        ; implicit-def: $sgpr20
	s_waitcnt vmcnt(0)
	v_cmp_lt_i16_e32 vcc, s4, v1
	s_mov_b64 s[4:5], 0
	s_and_saveexec_b64 s[16:17], vcc
	s_xor_b64 s[16:17], exec, s[16:17]
	s_cbranch_execz .LBB47_1680
; %bb.1661:
	s_movk_i32 s4, 0x80
	v_cmp_eq_u16_e32 vcc, s4, v1
	s_mov_b64 s[4:5], -1
                                        ; implicit-def: $sgpr20
	s_and_saveexec_b64 s[18:19], vcc
; %bb.1662:
	s_mov_b32 s20, 0x7f800001
	s_xor_b64 s[4:5], exec, -1
; %bb.1663:
	s_or_b64 exec, exec, s[18:19]
	s_and_b64 s[4:5], s[4:5], exec
	s_or_saveexec_b64 s[16:17], s[16:17]
	v_mov_b32_e32 v3, s20
	s_xor_b64 exec, exec, s[16:17]
	s_cbranch_execnz .LBB47_1681
.LBB47_1664:
	s_or_b64 exec, exec, s[16:17]
	s_and_saveexec_b64 s[16:17], s[4:5]
	s_cbranch_execz .LBB47_1666
.LBB47_1665:
	v_lshlrev_b32_e32 v3, 24, v1
	v_and_b32_e32 v1, 0xffff, v1
	v_and_b32_e32 v5, 7, v1
	v_ffbh_u32_e32 v9, v5
	v_min_u32_e32 v9, 32, v9
	v_subrev_u32_e32 v11, 28, v9
	v_bfe_u32 v7, v1, 3, 4
	v_lshlrev_b32_e32 v1, v11, v1
	v_sub_u32_e32 v9, 29, v9
	v_and_b32_e32 v1, 7, v1
	v_cmp_eq_u32_e32 vcc, 0, v7
	v_cndmask_b32_e32 v7, v7, v9, vcc
	v_cndmask_b32_e32 v1, v5, v1, vcc
	v_mov_b32_e32 v5, 0x3b800000
	v_lshlrev_b32_e32 v1, 20, v1
	v_and_b32_e32 v3, 0x80000000, v3
	v_lshl_add_u32 v5, v7, 23, v5
	v_or3_b32 v3, v3, v5, v1
.LBB47_1666:
	s_or_b64 exec, exec, s[16:17]
	v_bfe_u32 v1, v3, 16, 1
	s_movk_i32 s4, 0x7fff
	v_add3_u32 v1, v3, v1, s4
	v_lshrrev_b32_e32 v1, 16, v1
	v_mov_b32_e32 v5, 0x7fc0
	v_cmp_o_f32_e32 vcc, v3, v3
	v_cndmask_b32_e32 v1, v5, v1, vcc
.LBB47_1667:
	s_mov_b64 s[16:17], -1
.LBB47_1668:
	s_branch .LBB47_1700
.LBB47_1669:
	s_waitcnt vmcnt(0)
	v_mov_b32_e32 v1, 22
	v_cmp_gt_i16_sdwa s[4:5], s25, v1 src0_sel:BYTE_0 src1_sel:DWORD
	s_and_b64 vcc, exec, s[4:5]
	s_cbranch_vccz .LBB47_1679
; %bb.1670:
	v_mov_b32_e32 v1, 24
	v_cmp_lt_i16_sdwa s[4:5], s25, v1 src0_sel:BYTE_0 src1_sel:DWORD
	s_and_b64 vcc, exec, s[4:5]
	s_cbranch_vccnz .LBB47_1682
; %bb.1671:
	v_cmp_gt_i16_sdwa s[4:5], s25, v1 src0_sel:BYTE_0 src1_sel:DWORD
	s_and_b64 vcc, exec, s[4:5]
	s_cbranch_vccz .LBB47_1683
; %bb.1672:
	global_load_ubyte v1, v[22:23], off
	s_movk_i32 s4, 0x7f
                                        ; implicit-def: $sgpr18
	s_waitcnt vmcnt(0)
	v_cmp_lt_i16_e32 vcc, s4, v1
	s_mov_b64 s[4:5], 0
	s_and_saveexec_b64 s[6:7], vcc
	s_xor_b64 s[6:7], exec, s[6:7]
	s_cbranch_execz .LBB47_1694
; %bb.1673:
	s_movk_i32 s4, 0x80
	v_cmp_eq_u16_e32 vcc, s4, v1
	s_mov_b64 s[4:5], -1
                                        ; implicit-def: $sgpr18
	s_and_saveexec_b64 s[16:17], vcc
; %bb.1674:
	s_mov_b32 s18, 0x7f800001
	s_xor_b64 s[4:5], exec, -1
; %bb.1675:
	s_or_b64 exec, exec, s[16:17]
	s_and_b64 s[4:5], s[4:5], exec
	s_or_saveexec_b64 s[6:7], s[6:7]
	v_mov_b32_e32 v3, s18
	s_xor_b64 exec, exec, s[6:7]
	s_cbranch_execnz .LBB47_1695
.LBB47_1676:
	s_or_b64 exec, exec, s[6:7]
	s_and_saveexec_b64 s[6:7], s[4:5]
	s_cbranch_execz .LBB47_1678
.LBB47_1677:
	v_lshlrev_b32_e32 v3, 24, v1
	v_and_b32_e32 v1, 0xffff, v1
	v_and_b32_e32 v5, 3, v1
	v_ffbh_u32_e32 v9, v5
	v_min_u32_e32 v9, 32, v9
	v_subrev_u32_e32 v11, 29, v9
	v_bfe_u32 v7, v1, 2, 5
	v_lshlrev_b32_e32 v1, v11, v1
	v_sub_u32_e32 v9, 30, v9
	v_and_b32_e32 v1, 3, v1
	v_cmp_eq_u32_e32 vcc, 0, v7
	v_cndmask_b32_e32 v7, v7, v9, vcc
	v_cndmask_b32_e32 v1, v5, v1, vcc
	v_mov_b32_e32 v5, 0x37800000
	v_lshlrev_b32_e32 v1, 21, v1
	v_and_b32_e32 v3, 0x80000000, v3
	v_lshl_add_u32 v5, v7, 23, v5
	v_or3_b32 v3, v3, v5, v1
.LBB47_1678:
	s_or_b64 exec, exec, s[6:7]
	v_bfe_u32 v1, v3, 16, 1
	s_movk_i32 s4, 0x7fff
	v_add3_u32 v1, v3, v1, s4
	v_lshrrev_b32_e32 v1, 16, v1
	v_mov_b32_e32 v5, 0x7fc0
	v_cmp_o_f32_e32 vcc, v3, v3
	v_cndmask_b32_e32 v1, v5, v1, vcc
	s_mov_b64 s[4:5], 0
	s_branch .LBB47_1684
.LBB47_1679:
                                        ; implicit-def: $vgpr1
	s_mov_b64 s[6:7], 0
	s_branch .LBB47_1690
.LBB47_1680:
	s_or_saveexec_b64 s[16:17], s[16:17]
	v_mov_b32_e32 v3, s20
	s_xor_b64 exec, exec, s[16:17]
	s_cbranch_execz .LBB47_1664
.LBB47_1681:
	v_cmp_ne_u16_e32 vcc, 0, v1
	s_andn2_b64 s[4:5], s[4:5], exec
	s_and_b64 s[18:19], vcc, exec
	v_mov_b32_e32 v3, 0
	s_or_b64 s[4:5], s[4:5], s[18:19]
	s_or_b64 exec, exec, s[16:17]
	s_and_saveexec_b64 s[16:17], s[4:5]
	s_cbranch_execnz .LBB47_1665
	s_branch .LBB47_1666
.LBB47_1682:
	s_mov_b64 s[4:5], -1
                                        ; implicit-def: $vgpr1
	s_branch .LBB47_1687
.LBB47_1683:
	s_mov_b64 s[4:5], -1
                                        ; implicit-def: $vgpr1
.LBB47_1684:
	s_and_b64 vcc, exec, s[4:5]
	s_cbranch_vccz .LBB47_1686
; %bb.1685:
	global_load_ubyte v1, v[22:23], off
	s_mov_b32 s4, 0x7f800000
	s_brev_b32 s5, 1
	s_movk_i32 s6, 0x7fff
	v_mov_b32_e32 v3, 0x7fc0
	s_waitcnt vmcnt(0)
	v_lshlrev_b32_e32 v1, 24, v1
	v_and_b32_e32 v5, 0x7f000000, v1
	v_ffbh_u32_e32 v7, v5
	v_min_u32_e32 v7, 32, v7
	v_sub_u32_e64 v7, v7, 4 clamp
	v_lshlrev_b32_e32 v11, v7, v5
	v_lshlrev_b32_e32 v7, 23, v7
	v_lshrrev_b32_e32 v11, 4, v11
	v_add_u32_e32 v9, 0x1000000, v5
	v_sub_u32_e32 v7, v11, v7
	v_ashrrev_i32_e32 v9, 8, v9
	v_add_u32_e32 v7, 0x3c000000, v7
	v_and_or_b32 v7, v9, s4, v7
	v_cmp_ne_u32_e32 vcc, 0, v5
	v_cndmask_b32_e32 v5, 0, v7, vcc
	v_and_or_b32 v1, v1, s5, v5
	v_bfe_u32 v5, v5, 16, 1
	v_add3_u32 v5, v1, v5, s6
	v_lshrrev_b32_e32 v5, 16, v5
	v_cmp_o_f32_e32 vcc, v1, v1
	v_cndmask_b32_e32 v1, v3, v5, vcc
.LBB47_1686:
	s_mov_b64 s[4:5], 0
.LBB47_1687:
	s_andn2_b64 vcc, exec, s[4:5]
	s_cbranch_vccnz .LBB47_1689
; %bb.1688:
	global_load_ubyte v1, v[22:23], off
	s_movk_i32 s4, 0x7f00
	s_brev_b32 s5, 16
	s_brev_b32 s6, 1
	s_movk_i32 s7, 0x7fff
	v_mov_b32_e32 v3, 0x7fc0
	s_waitcnt vmcnt(0)
	v_lshlrev_b16_e32 v5, 8, v1
	v_lshlrev_b32_e32 v1, 25, v1
	v_lshrrev_b32_e32 v7, 4, v1
	v_and_or_b32 v9, v5, s4, 0.5
	v_or_b32_e32 v7, 0x70000000, v7
	v_add_f32_e32 v9, -0.5, v9
	v_mul_f32_e32 v7, 0x7800000, v7
	v_cmp_gt_u32_e32 vcc, s5, v1
	v_bfe_i32 v5, v5, 0, 16
	v_cndmask_b32_e32 v1, v7, v9, vcc
	v_and_or_b32 v5, v5, s6, v1
	v_bfe_u32 v1, v1, 16, 1
	v_add3_u32 v1, v5, v1, s7
	v_lshrrev_b32_e32 v1, 16, v1
	v_cmp_o_f32_e32 vcc, v5, v5
	v_cndmask_b32_e32 v1, v3, v1, vcc
.LBB47_1689:
	s_mov_b64 s[16:17], -1
	s_mov_b64 s[6:7], 0
	s_cbranch_execnz .LBB47_1700
.LBB47_1690:
	v_mov_b32_e32 v1, 14
	v_cmp_gt_i16_sdwa s[4:5], s25, v1 src0_sel:BYTE_0 src1_sel:DWORD
	s_and_b64 vcc, exec, s[4:5]
	s_cbranch_vccz .LBB47_1693
; %bb.1691:
	v_mov_b32_e32 v1, 15
	v_cmp_eq_u16_sdwa s[0:1], s25, v1 src0_sel:BYTE_0 src1_sel:DWORD
	s_and_b64 vcc, exec, s[0:1]
	s_cbranch_vccz .LBB47_1696
; %bb.1692:
	global_load_ushort v1, v[22:23], off
	s_mov_b64 s[0:1], 0
	s_mov_b64 s[16:17], -1
	s_branch .LBB47_1697
.LBB47_1693:
	s_mov_b64 s[4:5], -1
                                        ; implicit-def: $vgpr1
	s_branch .LBB47_1698
.LBB47_1694:
	s_or_saveexec_b64 s[6:7], s[6:7]
	v_mov_b32_e32 v3, s18
	s_xor_b64 exec, exec, s[6:7]
	s_cbranch_execz .LBB47_1676
.LBB47_1695:
	v_cmp_ne_u16_e32 vcc, 0, v1
	s_andn2_b64 s[4:5], s[4:5], exec
	s_and_b64 s[16:17], vcc, exec
	v_mov_b32_e32 v3, 0
	s_or_b64 s[4:5], s[4:5], s[16:17]
	s_or_b64 exec, exec, s[6:7]
	s_and_saveexec_b64 s[6:7], s[4:5]
	s_cbranch_execnz .LBB47_1677
	s_branch .LBB47_1678
.LBB47_1696:
	s_mov_b64 s[0:1], -1
                                        ; implicit-def: $vgpr1
.LBB47_1697:
	s_mov_b64 s[4:5], 0
.LBB47_1698:
	s_and_b64 vcc, exec, s[4:5]
	s_cbranch_vccz .LBB47_1700
; %bb.1699:
	s_waitcnt vmcnt(0)
	v_mov_b32_e32 v1, 11
	v_cmp_ne_u16_sdwa s[0:1], s25, v1 src0_sel:BYTE_0 src1_sel:DWORD
	s_mov_b64 s[6:7], -1
                                        ; implicit-def: $vgpr1
.LBB47_1700:
	s_and_b64 vcc, exec, s[0:1]
	s_mov_b64 s[4:5], s[12:13]
	s_cbranch_vccnz .LBB47_1761
; %bb.1701:
	s_andn2_b64 vcc, exec, s[6:7]
	s_cbranch_vccnz .LBB47_1703
.LBB47_1702:
	global_load_ubyte v1, v[22:23], off
	s_mov_b64 s[16:17], -1
	s_waitcnt vmcnt(0)
	v_cmp_ne_u16_e32 vcc, 0, v1
	v_cndmask_b32_e64 v1, 0, 1.0, vcc
	v_lshrrev_b32_e32 v1, 16, v1
.LBB47_1703:
	s_branch .LBB47_1634
.LBB47_1704:
	s_waitcnt vmcnt(0)
	v_mov_b32_e32 v1, 5
	v_cmp_lt_i16_sdwa s[0:1], s25, v1 src0_sel:BYTE_0 src1_sel:DWORD
	s_and_b64 vcc, exec, s[0:1]
	s_cbranch_vccnz .LBB47_1709
; %bb.1705:
	v_mov_b32_e32 v1, 8
	v_cmp_lt_i16_sdwa s[0:1], s25, v1 src0_sel:BYTE_0 src1_sel:DWORD
	s_and_b64 vcc, exec, s[0:1]
	s_cbranch_vccnz .LBB47_1710
; %bb.1706:
	;; [unrolled: 5-line block ×3, first 2 shown]
	v_cmp_gt_i16_sdwa s[0:1], s25, v1 src0_sel:BYTE_0 src1_sel:DWORD
	s_and_b64 vcc, exec, s[0:1]
	s_cbranch_vccz .LBB47_1712
; %bb.1708:
	global_load_dwordx2 v[24:25], v[22:23], off
	s_movk_i32 s0, 0x7fff
	v_mov_b32_e32 v1, 0x7fc0
	s_waitcnt vmcnt(0)
	v_cvt_f32_f64_e32 v3, v[24:25]
	v_bfe_u32 v5, v3, 16, 1
	v_add3_u32 v5, v3, v5, s0
	v_lshrrev_b32_e32 v5, 16, v5
	v_cmp_o_f32_e32 vcc, v3, v3
	v_cndmask_b32_e32 v1, v1, v5, vcc
	s_mov_b64 s[0:1], 0
	s_branch .LBB47_1713
.LBB47_1709:
                                        ; implicit-def: $vgpr1
	s_branch .LBB47_1730
.LBB47_1710:
                                        ; implicit-def: $vgpr1
	s_branch .LBB47_1719
.LBB47_1711:
	s_mov_b64 s[0:1], -1
                                        ; implicit-def: $vgpr1
	s_branch .LBB47_1716
.LBB47_1712:
	s_mov_b64 s[0:1], -1
                                        ; implicit-def: $vgpr1
.LBB47_1713:
	s_andn2_b64 vcc, exec, s[0:1]
	s_cbranch_vccnz .LBB47_1715
; %bb.1714:
	global_load_dword v1, v[22:23], off
	s_movk_i32 s0, 0x7fff
	v_mov_b32_e32 v3, 0x7fc0
	s_waitcnt vmcnt(0)
	v_bfe_u32 v5, v1, 16, 1
	v_add3_u32 v5, v1, v5, s0
	v_lshrrev_b32_e32 v5, 16, v5
	v_cmp_o_f32_e32 vcc, v1, v1
	v_cndmask_b32_e32 v1, v3, v5, vcc
.LBB47_1715:
	s_mov_b64 s[0:1], 0
.LBB47_1716:
	s_andn2_b64 vcc, exec, s[0:1]
	s_cbranch_vccnz .LBB47_1718
; %bb.1717:
	global_load_dword v1, v[22:23], off
	s_movk_i32 s0, 0x7fff
	v_mov_b32_e32 v5, 0x7fc0
	s_waitcnt vmcnt(0)
	v_cvt_f32_f16_e32 v3, v1
	v_cmp_o_f16_e32 vcc, v1, v1
	v_bfe_u32 v7, v3, 16, 1
	v_add3_u32 v3, v3, v7, s0
	v_lshrrev_b32_e32 v3, 16, v3
	v_cndmask_b32_e32 v1, v5, v3, vcc
.LBB47_1718:
	s_cbranch_execnz .LBB47_1729
.LBB47_1719:
	v_mov_b32_e32 v1, 6
	v_cmp_lt_i16_sdwa s[0:1], s25, v1 src0_sel:BYTE_0 src1_sel:DWORD
	s_and_b64 vcc, exec, s[0:1]
	s_cbranch_vccnz .LBB47_1722
; %bb.1720:
	v_cmp_gt_i16_sdwa s[0:1], s25, v1 src0_sel:BYTE_0 src1_sel:DWORD
	s_and_b64 vcc, exec, s[0:1]
	s_cbranch_vccz .LBB47_1723
; %bb.1721:
	global_load_dwordx2 v[24:25], v[22:23], off
	s_movk_i32 s0, 0x7fff
	v_mov_b32_e32 v1, 0x7fc0
	s_waitcnt vmcnt(0)
	v_cvt_f32_f64_e32 v3, v[24:25]
	v_bfe_u32 v5, v3, 16, 1
	v_add3_u32 v5, v3, v5, s0
	v_lshrrev_b32_e32 v5, 16, v5
	v_cmp_o_f32_e32 vcc, v3, v3
	v_cndmask_b32_e32 v1, v1, v5, vcc
	s_mov_b64 s[0:1], 0
	s_branch .LBB47_1724
.LBB47_1722:
	s_mov_b64 s[0:1], -1
                                        ; implicit-def: $vgpr1
	s_branch .LBB47_1727
.LBB47_1723:
	s_mov_b64 s[0:1], -1
                                        ; implicit-def: $vgpr1
.LBB47_1724:
	s_andn2_b64 vcc, exec, s[0:1]
	s_cbranch_vccnz .LBB47_1726
; %bb.1725:
	global_load_dword v1, v[22:23], off
	s_movk_i32 s0, 0x7fff
	v_mov_b32_e32 v3, 0x7fc0
	s_waitcnt vmcnt(0)
	v_bfe_u32 v5, v1, 16, 1
	v_add3_u32 v5, v1, v5, s0
	v_lshrrev_b32_e32 v5, 16, v5
	v_cmp_o_f32_e32 vcc, v1, v1
	v_cndmask_b32_e32 v1, v3, v5, vcc
.LBB47_1726:
	s_mov_b64 s[0:1], 0
.LBB47_1727:
	s_andn2_b64 vcc, exec, s[0:1]
	s_cbranch_vccnz .LBB47_1729
; %bb.1728:
	global_load_ushort v1, v[22:23], off
	s_movk_i32 s0, 0x7fff
	v_mov_b32_e32 v5, 0x7fc0
	s_waitcnt vmcnt(0)
	v_cvt_f32_f16_e32 v3, v1
	v_cmp_o_f16_e32 vcc, v1, v1
	v_bfe_u32 v7, v3, 16, 1
	v_add3_u32 v3, v3, v7, s0
	v_lshrrev_b32_e32 v3, 16, v3
	v_cndmask_b32_e32 v1, v5, v3, vcc
.LBB47_1729:
	s_cbranch_execnz .LBB47_1748
.LBB47_1730:
	v_mov_b32_e32 v1, 2
	v_cmp_lt_i16_sdwa s[0:1], s25, v1 src0_sel:BYTE_0 src1_sel:DWORD
	s_and_b64 vcc, exec, s[0:1]
	s_cbranch_vccnz .LBB47_1734
; %bb.1731:
	v_mov_b32_e32 v1, 3
	v_cmp_lt_i16_sdwa s[0:1], s25, v1 src0_sel:BYTE_0 src1_sel:DWORD
	s_and_b64 vcc, exec, s[0:1]
	s_cbranch_vccnz .LBB47_1735
; %bb.1732:
	v_cmp_gt_i16_sdwa s[0:1], s25, v1 src0_sel:BYTE_0 src1_sel:DWORD
	s_and_b64 vcc, exec, s[0:1]
	s_cbranch_vccz .LBB47_1736
; %bb.1733:
	global_load_dwordx2 v[24:25], v[22:23], off
	s_movk_i32 s0, 0x7fff
	s_waitcnt vmcnt(0)
	v_xor_b32_e32 v3, v24, v25
	v_ffbh_i32_e32 v1, v25
	v_ashrrev_i32_e32 v3, 31, v3
	v_add_u32_e32 v1, -1, v1
	v_add_u32_e32 v3, 32, v3
	v_min_u32_e32 v1, v1, v3
	v_lshlrev_b64 v[24:25], v1, v[24:25]
	v_min_u32_e32 v3, 1, v24
	v_or_b32_e32 v3, v25, v3
	v_cvt_f32_i32_e32 v3, v3
	v_sub_u32_e32 v1, 32, v1
	v_ldexp_f32 v1, v3, v1
	v_bfe_u32 v3, v1, 16, 1
	v_add3_u32 v1, v1, v3, s0
	v_lshrrev_b32_e32 v1, 16, v1
	s_mov_b64 s[0:1], 0
	s_branch .LBB47_1737
.LBB47_1734:
                                        ; implicit-def: $vgpr1
	s_branch .LBB47_1743
.LBB47_1735:
	s_mov_b64 s[0:1], -1
                                        ; implicit-def: $vgpr1
	s_branch .LBB47_1740
.LBB47_1736:
	s_mov_b64 s[0:1], -1
                                        ; implicit-def: $vgpr1
.LBB47_1737:
	s_andn2_b64 vcc, exec, s[0:1]
	s_cbranch_vccnz .LBB47_1739
; %bb.1738:
	global_load_dword v1, v[22:23], off
	s_movk_i32 s0, 0x7fff
	s_waitcnt vmcnt(0)
	v_cvt_f32_i32_e32 v1, v1
	v_bfe_u32 v3, v1, 16, 1
	v_add3_u32 v1, v1, v3, s0
	v_lshrrev_b32_e32 v1, 16, v1
.LBB47_1739:
	s_mov_b64 s[0:1], 0
.LBB47_1740:
	s_andn2_b64 vcc, exec, s[0:1]
	s_cbranch_vccnz .LBB47_1742
; %bb.1741:
	global_load_sshort v1, v[22:23], off
	s_movk_i32 s0, 0x7fff
	s_waitcnt vmcnt(0)
	v_cvt_f32_i32_e32 v1, v1
	v_bfe_u32 v3, v1, 16, 1
	v_add3_u32 v1, v1, v3, s0
	v_lshrrev_b32_e32 v1, 16, v1
.LBB47_1742:
	s_cbranch_execnz .LBB47_1748
.LBB47_1743:
	v_mov_b32_e32 v1, 0
	v_cmp_gt_i16_sdwa s[0:1], s25, v1 src0_sel:BYTE_0 src1_sel:DWORD
	s_and_b64 vcc, exec, s[0:1]
	s_cbranch_vccz .LBB47_1745
; %bb.1744:
	global_load_sbyte v1, v[22:23], off
	s_movk_i32 s0, 0x7fff
	s_waitcnt vmcnt(0)
	v_cvt_f32_i32_e32 v1, v1
	v_bfe_u32 v3, v1, 16, 1
	v_add3_u32 v1, v1, v3, s0
	v_lshrrev_b32_e32 v1, 16, v1
	s_mov_b64 s[0:1], 0
	s_branch .LBB47_1746
.LBB47_1745:
	s_mov_b64 s[0:1], -1
                                        ; implicit-def: $vgpr1
.LBB47_1746:
	s_andn2_b64 vcc, exec, s[0:1]
	s_cbranch_vccnz .LBB47_1748
; %bb.1747:
	global_load_ubyte v1, v[22:23], off
	s_movk_i32 s0, 0x7fff
	s_waitcnt vmcnt(0)
	v_cvt_f32_ubyte0_e32 v1, v1
	v_bfe_u32 v3, v1, 16, 1
	v_add3_u32 v1, v1, v3, s0
	v_lshrrev_b32_e32 v1, 16, v1
.LBB47_1748:
.LBB47_1749:
	s_load_dwordx2 s[0:1], s[2:3], 0x198
	s_lshr_b32 s26, s24, 24
	v_cmp_lt_i16_e64 s[2:3], s26, 11
	s_waitcnt lgkmcnt(0)
	v_mov_b32_e32 v3, s1
	v_add_co_u32_e32 v20, vcc, s0, v20
	v_addc_co_u32_e32 v21, vcc, 0, v3, vcc
	s_and_b64 vcc, exec, s[2:3]
	s_cbranch_vccnz .LBB47_1756
; %bb.1750:
	v_cmp_gt_i16_e64 s[6:7], s26, 25
	s_mov_b64 s[16:17], 0
	s_and_b64 vcc, exec, s[6:7]
	s_cbranch_vccz .LBB47_1758
; %bb.1751:
	v_cmp_gt_i16_e64 s[6:7], s26, 28
	s_and_b64 vcc, exec, s[6:7]
	s_cbranch_vccz .LBB47_1759
; %bb.1752:
	v_cmp_gt_i16_e64 s[6:7], s26, 43
	;; [unrolled: 4-line block ×3, first 2 shown]
	s_and_b64 vcc, exec, s[6:7]
	s_cbranch_vccz .LBB47_1762
; %bb.1754:
	v_cmp_eq_u16_e64 s[6:7], s26, 46
	s_mov_b64 s[20:21], 0
	s_and_b64 vcc, exec, s[6:7]
	s_cbranch_vccz .LBB47_1765
; %bb.1755:
	global_load_dword v3, v[20:21], off
	s_mov_b64 s[6:7], 0
	s_mov_b64 s[18:19], -1
	s_branch .LBB47_1766
.LBB47_1756:
	s_mov_b64 s[18:19], 0
                                        ; implicit-def: $vgpr3
	s_cbranch_execnz .LBB47_1831
.LBB47_1757:
	s_andn2_b64 vcc, exec, s[18:19]
	s_cbranch_vccnz .LBB47_3112
	s_branch .LBB47_1878
.LBB47_1758:
	s_mov_b64 s[18:19], 0
	s_mov_b64 s[6:7], 0
                                        ; implicit-def: $vgpr3
	s_cbranch_execnz .LBB47_1795
	s_branch .LBB47_1827
.LBB47_1759:
	s_mov_b64 s[20:21], -1
	s_mov_b64 s[18:19], 0
	s_mov_b64 s[6:7], 0
                                        ; implicit-def: $vgpr3
	s_branch .LBB47_1776
.LBB47_1760:
	s_mov_b64 s[20:21], -1
	s_mov_b64 s[18:19], 0
	s_mov_b64 s[6:7], 0
                                        ; implicit-def: $vgpr3
	s_branch .LBB47_1771
.LBB47_1761:
	s_or_b64 s[4:5], s[12:13], exec
	s_trap 2
                                        ; implicit-def: $vgpr1
	s_cbranch_execz .LBB47_1702
	s_branch .LBB47_1703
.LBB47_1762:
	s_mov_b64 s[20:21], -1
	s_mov_b64 s[18:19], 0
	s_mov_b64 s[6:7], 0
                                        ; implicit-def: $vgpr3
	s_branch .LBB47_1766
.LBB47_1763:
	s_or_saveexec_b64 s[18:19], s[18:19]
                                        ; implicit-def: $sgpr24
	s_xor_b64 exec, exec, s[18:19]
	s_cbranch_execz .LBB47_1510
.LBB47_1764:
	s_mov_b32 s24, 0x42800000
	v_add_f32_e64 v1, |v6|, s24
	v_and_b32_e32 v1, 0xff, v1
	v_cmp_ne_u32_e32 vcc, 0, v1
	s_andn2_b64 s[16:17], s[16:17], exec
	s_and_b64 s[26:27], vcc, exec
	s_mov_b32 s24, 0
	s_or_b64 s[16:17], s[16:17], s[26:27]
	s_or_b64 exec, exec, s[18:19]
	v_mov_b32_e32 v8, s24
	s_and_saveexec_b64 s[18:19], s[16:17]
	s_cbranch_execnz .LBB47_1511
	s_branch .LBB47_1512
.LBB47_1765:
	s_mov_b64 s[6:7], -1
                                        ; implicit-def: $vgpr3
	s_mov_b64 s[18:19], 0
.LBB47_1766:
	s_and_b64 vcc, exec, s[20:21]
	s_cbranch_vccz .LBB47_1770
; %bb.1767:
	v_cmp_eq_u16_e64 s[6:7], s26, 44
	s_and_b64 vcc, exec, s[6:7]
	s_cbranch_vccz .LBB47_1769
; %bb.1768:
	global_load_ubyte v3, v[20:21], off
	s_movk_i32 s18, 0xff
	v_mov_b32_e32 v5, 0x7f800001
	v_mov_b32_e32 v7, 0x400000
	;; [unrolled: 1-line block ×3, first 2 shown]
	s_mov_b64 s[6:7], 0
	s_waitcnt vmcnt(0)
	v_lshlrev_b32_e32 v11, 23, v3
	v_cmp_ne_u32_e32 vcc, s18, v3
	v_cndmask_b32_e32 v5, v5, v11, vcc
	v_cmp_ne_u32_e32 vcc, 0, v3
	v_cndmask_b32_e32 v3, v7, v5, vcc
	v_add_u32_e32 v5, 0x7fff, v3
	v_lshrrev_b32_e32 v5, 16, v5
	v_cmp_o_f32_e32 vcc, v3, v3
	v_cndmask_b32_e32 v3, v9, v5, vcc
	s_mov_b64 s[18:19], -1
	s_branch .LBB47_1770
.LBB47_1769:
	s_mov_b64 s[6:7], -1
                                        ; implicit-def: $vgpr3
.LBB47_1770:
	s_mov_b64 s[20:21], 0
.LBB47_1771:
	s_and_b64 vcc, exec, s[20:21]
	s_cbranch_vccz .LBB47_1775
; %bb.1772:
	v_cmp_eq_u16_e64 s[6:7], s26, 29
	s_and_b64 vcc, exec, s[6:7]
	s_cbranch_vccz .LBB47_1774
; %bb.1773:
	global_load_dwordx2 v[22:23], v[20:21], off
	s_movk_i32 s18, 0x7fff
	s_mov_b64 s[6:7], 0
	s_mov_b64 s[20:21], 0
	s_waitcnt vmcnt(0)
	v_ffbh_u32_e32 v3, v23
	v_min_u32_e32 v3, 32, v3
	v_lshlrev_b64 v[22:23], v3, v[22:23]
	v_min_u32_e32 v5, 1, v22
	v_or_b32_e32 v5, v23, v5
	v_cvt_f32_u32_e32 v5, v5
	v_sub_u32_e32 v3, 32, v3
	v_ldexp_f32 v3, v5, v3
	v_bfe_u32 v5, v3, 16, 1
	v_add3_u32 v3, v3, v5, s18
	v_lshrrev_b32_e32 v3, 16, v3
	s_mov_b64 s[18:19], -1
	s_branch .LBB47_1776
.LBB47_1774:
	s_mov_b64 s[6:7], -1
                                        ; implicit-def: $vgpr3
.LBB47_1775:
	s_mov_b64 s[20:21], 0
.LBB47_1776:
	s_and_b64 vcc, exec, s[20:21]
	s_cbranch_vccz .LBB47_1794
; %bb.1777:
	v_cmp_lt_i16_e64 s[18:19], s26, 27
	s_and_b64 vcc, exec, s[18:19]
	s_cbranch_vccnz .LBB47_1780
; %bb.1778:
	v_cmp_gt_i16_e64 s[18:19], s26, 27
	s_and_b64 vcc, exec, s[18:19]
	s_cbranch_vccz .LBB47_1781
; %bb.1779:
	global_load_dword v3, v[20:21], off
	s_movk_i32 s18, 0x7fff
	s_waitcnt vmcnt(0)
	v_cvt_f32_u32_e32 v3, v3
	v_bfe_u32 v5, v3, 16, 1
	v_add3_u32 v3, v3, v5, s18
	v_lshrrev_b32_e32 v3, 16, v3
	s_mov_b64 s[18:19], 0
	s_branch .LBB47_1782
.LBB47_1780:
	s_mov_b64 s[18:19], -1
                                        ; implicit-def: $vgpr3
	s_branch .LBB47_1785
.LBB47_1781:
	s_mov_b64 s[18:19], -1
                                        ; implicit-def: $vgpr3
.LBB47_1782:
	s_andn2_b64 vcc, exec, s[18:19]
	s_cbranch_vccnz .LBB47_1784
; %bb.1783:
	global_load_ushort v3, v[20:21], off
	s_movk_i32 s18, 0x7fff
	s_waitcnt vmcnt(0)
	v_cvt_f32_u32_e32 v3, v3
	v_bfe_u32 v5, v3, 16, 1
	v_add3_u32 v3, v3, v5, s18
	v_lshrrev_b32_e32 v3, 16, v3
.LBB47_1784:
	s_mov_b64 s[18:19], 0
.LBB47_1785:
	s_andn2_b64 vcc, exec, s[18:19]
	s_cbranch_vccnz .LBB47_1793
; %bb.1786:
	global_load_ubyte v3, v[20:21], off
	s_movk_i32 s18, 0x7f
                                        ; implicit-def: $sgpr27
	s_waitcnt vmcnt(0)
	v_cmp_lt_i16_e32 vcc, s18, v3
	s_mov_b64 s[18:19], 0
	s_and_saveexec_b64 s[20:21], vcc
	s_xor_b64 s[20:21], exec, s[20:21]
	s_cbranch_execz .LBB47_1806
; %bb.1787:
	s_movk_i32 s18, 0x80
	v_cmp_eq_u16_e32 vcc, s18, v3
	s_mov_b64 s[18:19], -1
                                        ; implicit-def: $sgpr27
	s_and_saveexec_b64 s[22:23], vcc
; %bb.1788:
	s_mov_b32 s27, 0x7f800001
	s_xor_b64 s[18:19], exec, -1
; %bb.1789:
	s_or_b64 exec, exec, s[22:23]
	s_and_b64 s[18:19], s[18:19], exec
	s_or_saveexec_b64 s[20:21], s[20:21]
	v_mov_b32_e32 v5, s27
	s_xor_b64 exec, exec, s[20:21]
	s_cbranch_execnz .LBB47_1807
.LBB47_1790:
	s_or_b64 exec, exec, s[20:21]
	s_and_saveexec_b64 s[20:21], s[18:19]
	s_cbranch_execz .LBB47_1792
.LBB47_1791:
	v_lshlrev_b32_e32 v5, 24, v3
	v_and_b32_e32 v3, 0xffff, v3
	v_and_b32_e32 v7, 7, v3
	v_ffbh_u32_e32 v11, v7
	v_min_u32_e32 v11, 32, v11
	v_subrev_u32_e32 v13, 28, v11
	v_bfe_u32 v9, v3, 3, 4
	v_lshlrev_b32_e32 v3, v13, v3
	v_sub_u32_e32 v11, 29, v11
	v_and_b32_e32 v3, 7, v3
	v_cmp_eq_u32_e32 vcc, 0, v9
	v_cndmask_b32_e32 v9, v9, v11, vcc
	v_cndmask_b32_e32 v3, v7, v3, vcc
	v_mov_b32_e32 v7, 0x3b800000
	v_lshlrev_b32_e32 v3, 20, v3
	v_and_b32_e32 v5, 0x80000000, v5
	v_lshl_add_u32 v7, v9, 23, v7
	v_or3_b32 v5, v5, v7, v3
.LBB47_1792:
	s_or_b64 exec, exec, s[20:21]
	v_bfe_u32 v3, v5, 16, 1
	s_movk_i32 s18, 0x7fff
	v_add3_u32 v3, v5, v3, s18
	v_lshrrev_b32_e32 v3, 16, v3
	v_mov_b32_e32 v7, 0x7fc0
	v_cmp_o_f32_e32 vcc, v5, v5
	v_cndmask_b32_e32 v3, v7, v3, vcc
.LBB47_1793:
	s_mov_b64 s[18:19], -1
.LBB47_1794:
	s_branch .LBB47_1827
.LBB47_1795:
	v_cmp_gt_i16_e64 s[16:17], s26, 22
	s_and_b64 vcc, exec, s[16:17]
	s_cbranch_vccz .LBB47_1805
; %bb.1796:
	v_cmp_lt_i16_e64 s[16:17], s26, 24
	s_and_b64 vcc, exec, s[16:17]
	s_cbranch_vccnz .LBB47_1808
; %bb.1797:
	v_cmp_gt_i16_e64 s[16:17], s26, 24
	s_and_b64 vcc, exec, s[16:17]
	s_cbranch_vccz .LBB47_1809
; %bb.1798:
	global_load_ubyte v3, v[20:21], off
	s_movk_i32 s16, 0x7f
                                        ; implicit-def: $sgpr22
	s_waitcnt vmcnt(0)
	v_cmp_lt_i16_e32 vcc, s16, v3
	s_mov_b64 s[16:17], 0
	s_and_saveexec_b64 s[18:19], vcc
	s_xor_b64 s[18:19], exec, s[18:19]
	s_cbranch_execz .LBB47_1821
; %bb.1799:
	s_movk_i32 s16, 0x80
	v_cmp_eq_u16_e32 vcc, s16, v3
	s_mov_b64 s[16:17], -1
                                        ; implicit-def: $sgpr22
	s_and_saveexec_b64 s[20:21], vcc
; %bb.1800:
	s_mov_b32 s22, 0x7f800001
	s_xor_b64 s[16:17], exec, -1
; %bb.1801:
	s_or_b64 exec, exec, s[20:21]
	s_and_b64 s[16:17], s[16:17], exec
	s_or_saveexec_b64 s[18:19], s[18:19]
	v_mov_b32_e32 v5, s22
	s_xor_b64 exec, exec, s[18:19]
	s_cbranch_execnz .LBB47_1822
.LBB47_1802:
	s_or_b64 exec, exec, s[18:19]
	s_and_saveexec_b64 s[18:19], s[16:17]
	s_cbranch_execz .LBB47_1804
.LBB47_1803:
	v_lshlrev_b32_e32 v5, 24, v3
	v_and_b32_e32 v3, 0xffff, v3
	v_and_b32_e32 v7, 3, v3
	v_ffbh_u32_e32 v11, v7
	v_min_u32_e32 v11, 32, v11
	v_subrev_u32_e32 v13, 29, v11
	v_bfe_u32 v9, v3, 2, 5
	v_lshlrev_b32_e32 v3, v13, v3
	v_sub_u32_e32 v11, 30, v11
	v_and_b32_e32 v3, 3, v3
	v_cmp_eq_u32_e32 vcc, 0, v9
	v_cndmask_b32_e32 v9, v9, v11, vcc
	v_cndmask_b32_e32 v3, v7, v3, vcc
	v_mov_b32_e32 v7, 0x37800000
	v_lshlrev_b32_e32 v3, 21, v3
	v_and_b32_e32 v5, 0x80000000, v5
	v_lshl_add_u32 v7, v9, 23, v7
	v_or3_b32 v5, v5, v7, v3
.LBB47_1804:
	s_or_b64 exec, exec, s[18:19]
	v_bfe_u32 v3, v5, 16, 1
	s_movk_i32 s16, 0x7fff
	v_add3_u32 v3, v5, v3, s16
	v_lshrrev_b32_e32 v3, 16, v3
	v_mov_b32_e32 v7, 0x7fc0
	v_cmp_o_f32_e32 vcc, v5, v5
	v_cndmask_b32_e32 v3, v7, v3, vcc
	s_mov_b64 s[16:17], 0
	s_branch .LBB47_1810
.LBB47_1805:
	s_mov_b64 s[16:17], -1
                                        ; implicit-def: $vgpr3
	s_branch .LBB47_1816
.LBB47_1806:
	s_or_saveexec_b64 s[20:21], s[20:21]
	v_mov_b32_e32 v5, s27
	s_xor_b64 exec, exec, s[20:21]
	s_cbranch_execz .LBB47_1790
.LBB47_1807:
	v_cmp_ne_u16_e32 vcc, 0, v3
	s_andn2_b64 s[18:19], s[18:19], exec
	s_and_b64 s[22:23], vcc, exec
	v_mov_b32_e32 v5, 0
	s_or_b64 s[18:19], s[18:19], s[22:23]
	s_or_b64 exec, exec, s[20:21]
	s_and_saveexec_b64 s[20:21], s[18:19]
	s_cbranch_execnz .LBB47_1791
	s_branch .LBB47_1792
.LBB47_1808:
	s_mov_b64 s[16:17], -1
                                        ; implicit-def: $vgpr3
	s_branch .LBB47_1813
.LBB47_1809:
	s_mov_b64 s[16:17], -1
                                        ; implicit-def: $vgpr3
.LBB47_1810:
	s_and_b64 vcc, exec, s[16:17]
	s_cbranch_vccz .LBB47_1812
; %bb.1811:
	global_load_ubyte v3, v[20:21], off
	s_mov_b32 s16, 0x7f800000
	s_brev_b32 s17, 1
	s_movk_i32 s18, 0x7fff
	v_mov_b32_e32 v5, 0x7fc0
	s_waitcnt vmcnt(0)
	v_lshlrev_b32_e32 v3, 24, v3
	v_and_b32_e32 v7, 0x7f000000, v3
	v_ffbh_u32_e32 v9, v7
	v_min_u32_e32 v9, 32, v9
	v_sub_u32_e64 v9, v9, 4 clamp
	v_lshlrev_b32_e32 v13, v9, v7
	v_lshlrev_b32_e32 v9, 23, v9
	v_lshrrev_b32_e32 v13, 4, v13
	v_add_u32_e32 v11, 0x1000000, v7
	v_sub_u32_e32 v9, v13, v9
	v_ashrrev_i32_e32 v11, 8, v11
	v_add_u32_e32 v9, 0x3c000000, v9
	v_and_or_b32 v9, v11, s16, v9
	v_cmp_ne_u32_e32 vcc, 0, v7
	v_cndmask_b32_e32 v7, 0, v9, vcc
	v_and_or_b32 v3, v3, s17, v7
	v_bfe_u32 v7, v7, 16, 1
	v_add3_u32 v7, v3, v7, s18
	v_lshrrev_b32_e32 v7, 16, v7
	v_cmp_o_f32_e32 vcc, v3, v3
	v_cndmask_b32_e32 v3, v5, v7, vcc
.LBB47_1812:
	s_mov_b64 s[16:17], 0
.LBB47_1813:
	s_andn2_b64 vcc, exec, s[16:17]
	s_cbranch_vccnz .LBB47_1815
; %bb.1814:
	global_load_ubyte v3, v[20:21], off
	s_movk_i32 s16, 0x7f00
	s_brev_b32 s17, 16
	s_brev_b32 s18, 1
	s_movk_i32 s19, 0x7fff
	v_mov_b32_e32 v5, 0x7fc0
	s_waitcnt vmcnt(0)
	v_lshlrev_b16_e32 v7, 8, v3
	v_lshlrev_b32_e32 v3, 25, v3
	v_lshrrev_b32_e32 v9, 4, v3
	v_and_or_b32 v11, v7, s16, 0.5
	v_or_b32_e32 v9, 0x70000000, v9
	v_add_f32_e32 v11, -0.5, v11
	v_mul_f32_e32 v9, 0x7800000, v9
	v_cmp_gt_u32_e32 vcc, s17, v3
	v_bfe_i32 v7, v7, 0, 16
	v_cndmask_b32_e32 v3, v9, v11, vcc
	v_and_or_b32 v7, v7, s18, v3
	v_bfe_u32 v3, v3, 16, 1
	v_add3_u32 v3, v7, v3, s19
	v_lshrrev_b32_e32 v3, 16, v3
	v_cmp_o_f32_e32 vcc, v7, v7
	v_cndmask_b32_e32 v3, v5, v3, vcc
.LBB47_1815:
	s_mov_b64 s[16:17], 0
	s_mov_b64 s[18:19], -1
.LBB47_1816:
	s_andn2_b64 vcc, exec, s[16:17]
	s_mov_b64 s[16:17], 0
	s_cbranch_vccnz .LBB47_1827
; %bb.1817:
	v_cmp_gt_i16_e64 s[16:17], s26, 14
	s_and_b64 vcc, exec, s[16:17]
	s_cbranch_vccz .LBB47_1820
; %bb.1818:
	v_cmp_eq_u16_e64 s[6:7], s26, 15
	s_and_b64 vcc, exec, s[6:7]
	s_cbranch_vccz .LBB47_1823
; %bb.1819:
	global_load_ushort v3, v[20:21], off
	s_mov_b64 s[6:7], 0
	s_mov_b64 s[18:19], -1
	s_branch .LBB47_1824
.LBB47_1820:
	s_mov_b64 s[20:21], -1
                                        ; implicit-def: $vgpr3
	s_branch .LBB47_1825
.LBB47_1821:
	s_or_saveexec_b64 s[18:19], s[18:19]
	v_mov_b32_e32 v5, s22
	s_xor_b64 exec, exec, s[18:19]
	s_cbranch_execz .LBB47_1802
.LBB47_1822:
	v_cmp_ne_u16_e32 vcc, 0, v3
	s_andn2_b64 s[16:17], s[16:17], exec
	s_and_b64 s[20:21], vcc, exec
	v_mov_b32_e32 v5, 0
	s_or_b64 s[16:17], s[16:17], s[20:21]
	s_or_b64 exec, exec, s[18:19]
	s_and_saveexec_b64 s[18:19], s[16:17]
	s_cbranch_execnz .LBB47_1803
	s_branch .LBB47_1804
.LBB47_1823:
	s_mov_b64 s[6:7], -1
                                        ; implicit-def: $vgpr3
.LBB47_1824:
	s_mov_b64 s[20:21], 0
.LBB47_1825:
	s_mov_b64 s[16:17], 0
	s_and_b64 vcc, exec, s[20:21]
	s_cbranch_vccz .LBB47_1827
; %bb.1826:
	v_cmp_ne_u16_e64 s[6:7], s26, 11
	s_mov_b64 s[16:17], -1
                                        ; implicit-def: $vgpr3
.LBB47_1827:
	s_and_b64 vcc, exec, s[6:7]
	s_cbranch_vccnz .LBB47_1890
; %bb.1828:
	s_andn2_b64 vcc, exec, s[16:17]
	s_cbranch_vccnz .LBB47_1830
.LBB47_1829:
	global_load_ubyte v3, v[20:21], off
	s_mov_b64 s[18:19], -1
	s_waitcnt vmcnt(0)
	v_cmp_ne_u16_e32 vcc, 0, v3
	v_cndmask_b32_e64 v3, 0, 1.0, vcc
	v_lshrrev_b32_e32 v3, 16, v3
.LBB47_1830:
	s_branch .LBB47_1757
.LBB47_1831:
	v_cmp_lt_i16_e64 s[6:7], s26, 5
	s_and_b64 vcc, exec, s[6:7]
	s_cbranch_vccnz .LBB47_1836
; %bb.1832:
	v_cmp_lt_i16_e64 s[6:7], s26, 8
	s_and_b64 vcc, exec, s[6:7]
	s_cbranch_vccnz .LBB47_1837
; %bb.1833:
	;; [unrolled: 4-line block ×3, first 2 shown]
	v_cmp_gt_i16_e64 s[6:7], s26, 9
	s_and_b64 vcc, exec, s[6:7]
	s_cbranch_vccz .LBB47_1839
; %bb.1835:
	global_load_dwordx2 v[22:23], v[20:21], off
	s_movk_i32 s6, 0x7fff
	s_waitcnt vmcnt(1)
	v_mov_b32_e32 v3, 0x7fc0
	s_waitcnt vmcnt(0)
	v_cvt_f32_f64_e32 v5, v[22:23]
	v_bfe_u32 v7, v5, 16, 1
	v_add3_u32 v7, v5, v7, s6
	v_lshrrev_b32_e32 v7, 16, v7
	v_cmp_o_f32_e32 vcc, v5, v5
	v_cndmask_b32_e32 v3, v3, v7, vcc
	s_mov_b64 s[6:7], 0
	s_branch .LBB47_1840
.LBB47_1836:
                                        ; implicit-def: $vgpr3
	s_branch .LBB47_1858
.LBB47_1837:
	s_mov_b64 s[6:7], -1
                                        ; implicit-def: $vgpr3
	s_branch .LBB47_1846
.LBB47_1838:
	s_mov_b64 s[6:7], -1
                                        ; implicit-def: $vgpr3
	s_branch .LBB47_1843
.LBB47_1839:
	s_mov_b64 s[6:7], -1
                                        ; implicit-def: $vgpr3
.LBB47_1840:
	s_andn2_b64 vcc, exec, s[6:7]
	s_cbranch_vccnz .LBB47_1842
; %bb.1841:
	global_load_dword v3, v[20:21], off
	s_movk_i32 s6, 0x7fff
	v_mov_b32_e32 v5, 0x7fc0
	s_waitcnt vmcnt(0)
	v_bfe_u32 v7, v3, 16, 1
	v_add3_u32 v7, v3, v7, s6
	v_lshrrev_b32_e32 v7, 16, v7
	v_cmp_o_f32_e32 vcc, v3, v3
	v_cndmask_b32_e32 v3, v5, v7, vcc
.LBB47_1842:
	s_mov_b64 s[6:7], 0
.LBB47_1843:
	s_andn2_b64 vcc, exec, s[6:7]
	s_cbranch_vccnz .LBB47_1845
; %bb.1844:
	global_load_dword v3, v[20:21], off
	s_movk_i32 s6, 0x7fff
	v_mov_b32_e32 v7, 0x7fc0
	s_waitcnt vmcnt(0)
	v_cvt_f32_f16_e32 v5, v3
	v_cmp_o_f16_e32 vcc, v3, v3
	v_bfe_u32 v9, v5, 16, 1
	v_add3_u32 v5, v5, v9, s6
	v_lshrrev_b32_e32 v5, 16, v5
	v_cndmask_b32_e32 v3, v7, v5, vcc
.LBB47_1845:
	s_mov_b64 s[6:7], 0
.LBB47_1846:
	s_andn2_b64 vcc, exec, s[6:7]
	s_cbranch_vccnz .LBB47_1857
; %bb.1847:
	v_cmp_lt_i16_e64 s[6:7], s26, 6
	s_and_b64 vcc, exec, s[6:7]
	s_cbranch_vccnz .LBB47_1850
; %bb.1848:
	v_cmp_gt_i16_e64 s[6:7], s26, 6
	s_and_b64 vcc, exec, s[6:7]
	s_cbranch_vccz .LBB47_1851
; %bb.1849:
	global_load_dwordx2 v[22:23], v[20:21], off
	s_movk_i32 s6, 0x7fff
	s_waitcnt vmcnt(1)
	v_mov_b32_e32 v3, 0x7fc0
	s_waitcnt vmcnt(0)
	v_cvt_f32_f64_e32 v5, v[22:23]
	v_bfe_u32 v7, v5, 16, 1
	v_add3_u32 v7, v5, v7, s6
	v_lshrrev_b32_e32 v7, 16, v7
	v_cmp_o_f32_e32 vcc, v5, v5
	v_cndmask_b32_e32 v3, v3, v7, vcc
	s_mov_b64 s[6:7], 0
	s_branch .LBB47_1852
.LBB47_1850:
	s_mov_b64 s[6:7], -1
                                        ; implicit-def: $vgpr3
	s_branch .LBB47_1855
.LBB47_1851:
	s_mov_b64 s[6:7], -1
                                        ; implicit-def: $vgpr3
.LBB47_1852:
	s_andn2_b64 vcc, exec, s[6:7]
	s_cbranch_vccnz .LBB47_1854
; %bb.1853:
	global_load_dword v3, v[20:21], off
	s_movk_i32 s6, 0x7fff
	v_mov_b32_e32 v5, 0x7fc0
	s_waitcnt vmcnt(0)
	v_bfe_u32 v7, v3, 16, 1
	v_add3_u32 v7, v3, v7, s6
	v_lshrrev_b32_e32 v7, 16, v7
	v_cmp_o_f32_e32 vcc, v3, v3
	v_cndmask_b32_e32 v3, v5, v7, vcc
.LBB47_1854:
	s_mov_b64 s[6:7], 0
.LBB47_1855:
	s_andn2_b64 vcc, exec, s[6:7]
	s_cbranch_vccnz .LBB47_1857
; %bb.1856:
	global_load_ushort v3, v[20:21], off
	s_movk_i32 s6, 0x7fff
	v_mov_b32_e32 v7, 0x7fc0
	s_waitcnt vmcnt(0)
	v_cvt_f32_f16_e32 v5, v3
	v_cmp_o_f16_e32 vcc, v3, v3
	v_bfe_u32 v9, v5, 16, 1
	v_add3_u32 v5, v5, v9, s6
	v_lshrrev_b32_e32 v5, 16, v5
	v_cndmask_b32_e32 v3, v7, v5, vcc
.LBB47_1857:
	s_cbranch_execnz .LBB47_1877
.LBB47_1858:
	v_cmp_lt_i16_e64 s[6:7], s26, 2
	s_and_b64 vcc, exec, s[6:7]
	s_cbranch_vccnz .LBB47_1862
; %bb.1859:
	v_cmp_lt_i16_e64 s[6:7], s26, 3
	s_and_b64 vcc, exec, s[6:7]
	s_cbranch_vccnz .LBB47_1863
; %bb.1860:
	v_cmp_gt_i16_e64 s[6:7], s26, 3
	s_and_b64 vcc, exec, s[6:7]
	s_cbranch_vccz .LBB47_1864
; %bb.1861:
	global_load_dwordx2 v[22:23], v[20:21], off
	s_movk_i32 s6, 0x7fff
	s_waitcnt vmcnt(0)
	v_xor_b32_e32 v5, v22, v23
	v_ffbh_i32_e32 v3, v23
	v_ashrrev_i32_e32 v5, 31, v5
	v_add_u32_e32 v3, -1, v3
	v_add_u32_e32 v5, 32, v5
	v_min_u32_e32 v3, v3, v5
	v_lshlrev_b64 v[22:23], v3, v[22:23]
	v_min_u32_e32 v5, 1, v22
	v_or_b32_e32 v5, v23, v5
	v_cvt_f32_i32_e32 v5, v5
	v_sub_u32_e32 v3, 32, v3
	v_ldexp_f32 v3, v5, v3
	v_bfe_u32 v5, v3, 16, 1
	v_add3_u32 v3, v3, v5, s6
	v_lshrrev_b32_e32 v3, 16, v3
	s_mov_b64 s[6:7], 0
	s_branch .LBB47_1865
.LBB47_1862:
	s_mov_b64 s[6:7], -1
                                        ; implicit-def: $vgpr3
	s_branch .LBB47_1871
.LBB47_1863:
	s_mov_b64 s[6:7], -1
                                        ; implicit-def: $vgpr3
	s_branch .LBB47_1868
.LBB47_1864:
	s_mov_b64 s[6:7], -1
                                        ; implicit-def: $vgpr3
.LBB47_1865:
	s_andn2_b64 vcc, exec, s[6:7]
	s_cbranch_vccnz .LBB47_1867
; %bb.1866:
	global_load_dword v3, v[20:21], off
	s_movk_i32 s6, 0x7fff
	s_waitcnt vmcnt(0)
	v_cvt_f32_i32_e32 v3, v3
	v_bfe_u32 v5, v3, 16, 1
	v_add3_u32 v3, v3, v5, s6
	v_lshrrev_b32_e32 v3, 16, v3
.LBB47_1867:
	s_mov_b64 s[6:7], 0
.LBB47_1868:
	s_andn2_b64 vcc, exec, s[6:7]
	s_cbranch_vccnz .LBB47_1870
; %bb.1869:
	global_load_sshort v3, v[20:21], off
	s_movk_i32 s6, 0x7fff
	s_waitcnt vmcnt(0)
	v_cvt_f32_i32_e32 v3, v3
	v_bfe_u32 v5, v3, 16, 1
	v_add3_u32 v3, v3, v5, s6
	v_lshrrev_b32_e32 v3, 16, v3
.LBB47_1870:
	s_mov_b64 s[6:7], 0
.LBB47_1871:
	s_andn2_b64 vcc, exec, s[6:7]
	s_cbranch_vccnz .LBB47_1877
; %bb.1872:
	v_cmp_gt_i16_e64 s[6:7], s26, 0
	s_and_b64 vcc, exec, s[6:7]
	s_cbranch_vccz .LBB47_1874
; %bb.1873:
	global_load_sbyte v3, v[20:21], off
	s_movk_i32 s6, 0x7fff
	s_waitcnt vmcnt(0)
	v_cvt_f32_i32_e32 v3, v3
	v_bfe_u32 v5, v3, 16, 1
	v_add3_u32 v3, v3, v5, s6
	v_lshrrev_b32_e32 v3, 16, v3
	s_mov_b64 s[6:7], 0
	s_branch .LBB47_1875
.LBB47_1874:
	s_mov_b64 s[6:7], -1
                                        ; implicit-def: $vgpr3
.LBB47_1875:
	s_andn2_b64 vcc, exec, s[6:7]
	s_cbranch_vccnz .LBB47_1877
; %bb.1876:
	global_load_ubyte v3, v[20:21], off
	s_movk_i32 s6, 0x7fff
	s_waitcnt vmcnt(0)
	v_cvt_f32_ubyte0_e32 v3, v3
	v_bfe_u32 v5, v3, 16, 1
	v_add3_u32 v3, v3, v5, s6
	v_lshrrev_b32_e32 v3, 16, v3
.LBB47_1877:
.LBB47_1878:
	v_mov_b32_e32 v5, s11
	v_add_co_u32_e32 v18, vcc, s10, v18
	v_addc_co_u32_e32 v19, vcc, 0, v5, vcc
	v_mov_b32_e32 v5, 11
	v_cmp_lt_i16_sdwa s[6:7], s25, v5 src0_sel:BYTE_0 src1_sel:DWORD
	s_and_b64 vcc, exec, s[6:7]
	s_cbranch_vccnz .LBB47_1885
; %bb.1879:
	v_mov_b32_e32 v5, 25
	v_cmp_gt_i16_sdwa s[6:7], s25, v5 src0_sel:BYTE_0 src1_sel:DWORD
	s_mov_b64 s[16:17], 0
	s_and_b64 vcc, exec, s[6:7]
	s_cbranch_vccz .LBB47_1887
; %bb.1880:
	v_mov_b32_e32 v5, 28
	v_cmp_gt_i16_sdwa s[6:7], s25, v5 src0_sel:BYTE_0 src1_sel:DWORD
	s_and_b64 vcc, exec, s[6:7]
	s_cbranch_vccz .LBB47_1888
; %bb.1881:
	v_mov_b32_e32 v5, 43
	v_cmp_gt_i16_sdwa s[6:7], s25, v5 src0_sel:BYTE_0 src1_sel:DWORD
	;; [unrolled: 5-line block ×3, first 2 shown]
	s_and_b64 vcc, exec, s[6:7]
	s_cbranch_vccz .LBB47_1891
; %bb.1883:
	v_mov_b32_e32 v5, 46
	v_cmp_eq_u16_sdwa s[6:7], s25, v5 src0_sel:BYTE_0 src1_sel:DWORD
	s_mov_b64 s[20:21], 0
	s_and_b64 vcc, exec, s[6:7]
	s_cbranch_vccz .LBB47_1892
; %bb.1884:
	global_load_dword v5, v[18:19], off
	s_mov_b64 s[6:7], 0
	s_mov_b64 s[18:19], -1
	s_branch .LBB47_1893
.LBB47_1885:
	s_mov_b64 s[18:19], 0
                                        ; implicit-def: $vgpr5
	s_cbranch_execnz .LBB47_1959
.LBB47_1886:
	s_andn2_b64 vcc, exec, s[18:19]
	s_cbranch_vccnz .LBB47_3112
	s_branch .LBB47_2007
.LBB47_1887:
	s_mov_b64 s[20:21], -1
	s_mov_b64 s[18:19], 0
	s_mov_b64 s[6:7], 0
                                        ; implicit-def: $vgpr5
	s_branch .LBB47_1922
.LBB47_1888:
	s_mov_b64 s[20:21], -1
	s_mov_b64 s[18:19], 0
	s_mov_b64 s[6:7], 0
                                        ; implicit-def: $vgpr5
	s_branch .LBB47_1903
.LBB47_1889:
	s_mov_b64 s[20:21], -1
	s_mov_b64 s[18:19], 0
	s_mov_b64 s[6:7], 0
                                        ; implicit-def: $vgpr5
	s_branch .LBB47_1898
.LBB47_1890:
	s_trap 2
	s_or_b64 s[4:5], s[4:5], exec
                                        ; implicit-def: $vgpr3
	s_cbranch_execz .LBB47_1829
	s_branch .LBB47_1830
.LBB47_1891:
	s_mov_b64 s[20:21], -1
	s_mov_b64 s[18:19], 0
	s_mov_b64 s[6:7], 0
                                        ; implicit-def: $vgpr5
	s_branch .LBB47_1893
.LBB47_1892:
	s_mov_b64 s[6:7], -1
                                        ; implicit-def: $vgpr5
	s_mov_b64 s[18:19], 0
.LBB47_1893:
	s_and_b64 vcc, exec, s[20:21]
	s_cbranch_vccz .LBB47_1897
; %bb.1894:
	s_waitcnt vmcnt(0)
	v_mov_b32_e32 v5, 44
	v_cmp_eq_u16_sdwa s[6:7], s25, v5 src0_sel:BYTE_0 src1_sel:DWORD
	s_and_b64 vcc, exec, s[6:7]
	s_cbranch_vccz .LBB47_1896
; %bb.1895:
	global_load_ubyte v5, v[18:19], off
	s_movk_i32 s18, 0xff
	v_mov_b32_e32 v7, 0x7f800001
	v_mov_b32_e32 v9, 0x400000
	;; [unrolled: 1-line block ×3, first 2 shown]
	s_mov_b64 s[6:7], 0
	s_waitcnt vmcnt(0)
	v_lshlrev_b32_e32 v13, 23, v5
	v_cmp_ne_u32_e32 vcc, s18, v5
	v_cndmask_b32_e32 v7, v7, v13, vcc
	v_cmp_ne_u32_e32 vcc, 0, v5
	v_cndmask_b32_e32 v5, v9, v7, vcc
	v_add_u32_e32 v7, 0x7fff, v5
	v_lshrrev_b32_e32 v7, 16, v7
	v_cmp_o_f32_e32 vcc, v5, v5
	v_cndmask_b32_e32 v5, v11, v7, vcc
	s_mov_b64 s[18:19], -1
	s_branch .LBB47_1897
.LBB47_1896:
	s_mov_b64 s[6:7], -1
                                        ; implicit-def: $vgpr5
.LBB47_1897:
	s_mov_b64 s[20:21], 0
.LBB47_1898:
	s_and_b64 vcc, exec, s[20:21]
	s_cbranch_vccz .LBB47_1902
; %bb.1899:
	s_waitcnt vmcnt(0)
	v_mov_b32_e32 v5, 29
	v_cmp_eq_u16_sdwa s[6:7], s25, v5 src0_sel:BYTE_0 src1_sel:DWORD
	s_and_b64 vcc, exec, s[6:7]
	s_cbranch_vccz .LBB47_1901
; %bb.1900:
	global_load_dwordx2 v[20:21], v[18:19], off
	s_movk_i32 s18, 0x7fff
	s_mov_b64 s[6:7], 0
	s_mov_b64 s[20:21], 0
	s_waitcnt vmcnt(0)
	v_ffbh_u32_e32 v5, v21
	v_min_u32_e32 v5, 32, v5
	v_lshlrev_b64 v[20:21], v5, v[20:21]
	v_min_u32_e32 v7, 1, v20
	v_or_b32_e32 v7, v21, v7
	v_cvt_f32_u32_e32 v7, v7
	v_sub_u32_e32 v5, 32, v5
	v_ldexp_f32 v5, v7, v5
	v_bfe_u32 v7, v5, 16, 1
	v_add3_u32 v5, v5, v7, s18
	v_lshrrev_b32_e32 v5, 16, v5
	s_mov_b64 s[18:19], -1
	s_branch .LBB47_1903
.LBB47_1901:
	s_mov_b64 s[6:7], -1
                                        ; implicit-def: $vgpr5
.LBB47_1902:
	s_mov_b64 s[20:21], 0
.LBB47_1903:
	s_and_b64 vcc, exec, s[20:21]
	s_cbranch_vccz .LBB47_1921
; %bb.1904:
	s_waitcnt vmcnt(0)
	v_mov_b32_e32 v5, 27
	v_cmp_lt_i16_sdwa s[18:19], s25, v5 src0_sel:BYTE_0 src1_sel:DWORD
	s_and_b64 vcc, exec, s[18:19]
	s_cbranch_vccnz .LBB47_1907
; %bb.1905:
	v_cmp_gt_i16_sdwa s[18:19], s25, v5 src0_sel:BYTE_0 src1_sel:DWORD
	s_and_b64 vcc, exec, s[18:19]
	s_cbranch_vccz .LBB47_1908
; %bb.1906:
	global_load_dword v5, v[18:19], off
	s_movk_i32 s18, 0x7fff
	s_waitcnt vmcnt(0)
	v_cvt_f32_u32_e32 v5, v5
	v_bfe_u32 v7, v5, 16, 1
	v_add3_u32 v5, v5, v7, s18
	v_lshrrev_b32_e32 v5, 16, v5
	s_mov_b64 s[18:19], 0
	s_branch .LBB47_1909
.LBB47_1907:
	s_mov_b64 s[18:19], -1
                                        ; implicit-def: $vgpr5
	s_branch .LBB47_1912
.LBB47_1908:
	s_mov_b64 s[18:19], -1
                                        ; implicit-def: $vgpr5
.LBB47_1909:
	s_andn2_b64 vcc, exec, s[18:19]
	s_cbranch_vccnz .LBB47_1911
; %bb.1910:
	global_load_ushort v5, v[18:19], off
	s_movk_i32 s18, 0x7fff
	s_waitcnt vmcnt(0)
	v_cvt_f32_u32_e32 v5, v5
	v_bfe_u32 v7, v5, 16, 1
	v_add3_u32 v5, v5, v7, s18
	v_lshrrev_b32_e32 v5, 16, v5
.LBB47_1911:
	s_mov_b64 s[18:19], 0
.LBB47_1912:
	s_andn2_b64 vcc, exec, s[18:19]
	s_cbranch_vccnz .LBB47_1920
; %bb.1913:
	global_load_ubyte v5, v[18:19], off
	s_movk_i32 s18, 0x7f
                                        ; implicit-def: $sgpr27
	s_waitcnt vmcnt(0)
	v_cmp_lt_i16_e32 vcc, s18, v5
	s_mov_b64 s[18:19], 0
	s_and_saveexec_b64 s[20:21], vcc
	s_xor_b64 s[20:21], exec, s[20:21]
	s_cbranch_execz .LBB47_1934
; %bb.1914:
	s_movk_i32 s18, 0x80
	v_cmp_eq_u16_e32 vcc, s18, v5
	s_mov_b64 s[18:19], -1
                                        ; implicit-def: $sgpr27
	s_and_saveexec_b64 s[22:23], vcc
; %bb.1915:
	s_mov_b32 s27, 0x7f800001
	s_xor_b64 s[18:19], exec, -1
; %bb.1916:
	s_or_b64 exec, exec, s[22:23]
	s_and_b64 s[18:19], s[18:19], exec
	s_or_saveexec_b64 s[20:21], s[20:21]
	v_mov_b32_e32 v7, s27
	s_xor_b64 exec, exec, s[20:21]
	s_cbranch_execnz .LBB47_1935
.LBB47_1917:
	s_or_b64 exec, exec, s[20:21]
	s_and_saveexec_b64 s[20:21], s[18:19]
	s_cbranch_execz .LBB47_1919
.LBB47_1918:
	v_lshlrev_b32_e32 v7, 24, v5
	v_and_b32_e32 v5, 0xffff, v5
	v_and_b32_e32 v9, 7, v5
	v_ffbh_u32_e32 v13, v9
	v_min_u32_e32 v13, 32, v13
	v_subrev_u32_e32 v15, 28, v13
	v_bfe_u32 v11, v5, 3, 4
	v_lshlrev_b32_e32 v5, v15, v5
	v_sub_u32_e32 v13, 29, v13
	v_and_b32_e32 v5, 7, v5
	v_cmp_eq_u32_e32 vcc, 0, v11
	v_cndmask_b32_e32 v11, v11, v13, vcc
	v_cndmask_b32_e32 v5, v9, v5, vcc
	v_mov_b32_e32 v9, 0x3b800000
	v_lshlrev_b32_e32 v5, 20, v5
	v_and_b32_e32 v7, 0x80000000, v7
	v_lshl_add_u32 v9, v11, 23, v9
	v_or3_b32 v7, v7, v9, v5
.LBB47_1919:
	s_or_b64 exec, exec, s[20:21]
	v_bfe_u32 v5, v7, 16, 1
	s_movk_i32 s18, 0x7fff
	v_add3_u32 v5, v7, v5, s18
	v_lshrrev_b32_e32 v5, 16, v5
	v_mov_b32_e32 v9, 0x7fc0
	v_cmp_o_f32_e32 vcc, v7, v7
	v_cndmask_b32_e32 v5, v9, v5, vcc
.LBB47_1920:
	s_mov_b64 s[18:19], -1
.LBB47_1921:
	s_mov_b64 s[20:21], 0
.LBB47_1922:
	s_and_b64 vcc, exec, s[20:21]
	s_cbranch_vccz .LBB47_1955
; %bb.1923:
	s_waitcnt vmcnt(0)
	v_mov_b32_e32 v5, 22
	v_cmp_gt_i16_sdwa s[16:17], s25, v5 src0_sel:BYTE_0 src1_sel:DWORD
	s_and_b64 vcc, exec, s[16:17]
	s_cbranch_vccz .LBB47_1933
; %bb.1924:
	v_mov_b32_e32 v5, 24
	v_cmp_lt_i16_sdwa s[16:17], s25, v5 src0_sel:BYTE_0 src1_sel:DWORD
	s_and_b64 vcc, exec, s[16:17]
	s_cbranch_vccnz .LBB47_1936
; %bb.1925:
	v_cmp_gt_i16_sdwa s[16:17], s25, v5 src0_sel:BYTE_0 src1_sel:DWORD
	s_and_b64 vcc, exec, s[16:17]
	s_cbranch_vccz .LBB47_1937
; %bb.1926:
	global_load_ubyte v5, v[18:19], off
	s_movk_i32 s16, 0x7f
                                        ; implicit-def: $sgpr22
	s_waitcnt vmcnt(0)
	v_cmp_lt_i16_e32 vcc, s16, v5
	s_mov_b64 s[16:17], 0
	s_and_saveexec_b64 s[18:19], vcc
	s_xor_b64 s[18:19], exec, s[18:19]
	s_cbranch_execz .LBB47_1949
; %bb.1927:
	s_movk_i32 s16, 0x80
	v_cmp_eq_u16_e32 vcc, s16, v5
	s_mov_b64 s[16:17], -1
                                        ; implicit-def: $sgpr22
	s_and_saveexec_b64 s[20:21], vcc
; %bb.1928:
	s_mov_b32 s22, 0x7f800001
	s_xor_b64 s[16:17], exec, -1
; %bb.1929:
	s_or_b64 exec, exec, s[20:21]
	s_and_b64 s[16:17], s[16:17], exec
	s_or_saveexec_b64 s[18:19], s[18:19]
	v_mov_b32_e32 v7, s22
	s_xor_b64 exec, exec, s[18:19]
	s_cbranch_execnz .LBB47_1950
.LBB47_1930:
	s_or_b64 exec, exec, s[18:19]
	s_and_saveexec_b64 s[18:19], s[16:17]
	s_cbranch_execz .LBB47_1932
.LBB47_1931:
	v_lshlrev_b32_e32 v7, 24, v5
	v_and_b32_e32 v5, 0xffff, v5
	v_and_b32_e32 v9, 3, v5
	v_ffbh_u32_e32 v13, v9
	v_min_u32_e32 v13, 32, v13
	v_subrev_u32_e32 v15, 29, v13
	v_bfe_u32 v11, v5, 2, 5
	v_lshlrev_b32_e32 v5, v15, v5
	v_sub_u32_e32 v13, 30, v13
	v_and_b32_e32 v5, 3, v5
	v_cmp_eq_u32_e32 vcc, 0, v11
	v_cndmask_b32_e32 v11, v11, v13, vcc
	v_cndmask_b32_e32 v5, v9, v5, vcc
	v_mov_b32_e32 v9, 0x37800000
	v_lshlrev_b32_e32 v5, 21, v5
	v_and_b32_e32 v7, 0x80000000, v7
	v_lshl_add_u32 v9, v11, 23, v9
	v_or3_b32 v7, v7, v9, v5
.LBB47_1932:
	s_or_b64 exec, exec, s[18:19]
	v_bfe_u32 v5, v7, 16, 1
	s_movk_i32 s16, 0x7fff
	v_add3_u32 v5, v7, v5, s16
	v_lshrrev_b32_e32 v5, 16, v5
	v_mov_b32_e32 v9, 0x7fc0
	v_cmp_o_f32_e32 vcc, v7, v7
	v_cndmask_b32_e32 v5, v9, v5, vcc
	s_mov_b64 s[16:17], 0
	s_branch .LBB47_1938
.LBB47_1933:
	s_mov_b64 s[16:17], -1
                                        ; implicit-def: $vgpr5
	s_branch .LBB47_1944
.LBB47_1934:
	s_or_saveexec_b64 s[20:21], s[20:21]
	v_mov_b32_e32 v7, s27
	s_xor_b64 exec, exec, s[20:21]
	s_cbranch_execz .LBB47_1917
.LBB47_1935:
	v_cmp_ne_u16_e32 vcc, 0, v5
	s_andn2_b64 s[18:19], s[18:19], exec
	s_and_b64 s[22:23], vcc, exec
	v_mov_b32_e32 v7, 0
	s_or_b64 s[18:19], s[18:19], s[22:23]
	s_or_b64 exec, exec, s[20:21]
	s_and_saveexec_b64 s[20:21], s[18:19]
	s_cbranch_execnz .LBB47_1918
	s_branch .LBB47_1919
.LBB47_1936:
	s_mov_b64 s[16:17], -1
                                        ; implicit-def: $vgpr5
	s_branch .LBB47_1941
.LBB47_1937:
	s_mov_b64 s[16:17], -1
                                        ; implicit-def: $vgpr5
.LBB47_1938:
	s_and_b64 vcc, exec, s[16:17]
	s_cbranch_vccz .LBB47_1940
; %bb.1939:
	global_load_ubyte v5, v[18:19], off
	s_mov_b32 s16, 0x7f800000
	s_brev_b32 s17, 1
	s_movk_i32 s18, 0x7fff
	v_mov_b32_e32 v7, 0x7fc0
	s_waitcnt vmcnt(0)
	v_lshlrev_b32_e32 v5, 24, v5
	v_and_b32_e32 v9, 0x7f000000, v5
	v_ffbh_u32_e32 v11, v9
	v_min_u32_e32 v11, 32, v11
	v_sub_u32_e64 v11, v11, 4 clamp
	v_lshlrev_b32_e32 v15, v11, v9
	v_lshlrev_b32_e32 v11, 23, v11
	v_lshrrev_b32_e32 v15, 4, v15
	v_add_u32_e32 v13, 0x1000000, v9
	v_sub_u32_e32 v11, v15, v11
	v_ashrrev_i32_e32 v13, 8, v13
	v_add_u32_e32 v11, 0x3c000000, v11
	v_and_or_b32 v11, v13, s16, v11
	v_cmp_ne_u32_e32 vcc, 0, v9
	v_cndmask_b32_e32 v9, 0, v11, vcc
	v_and_or_b32 v5, v5, s17, v9
	v_bfe_u32 v9, v9, 16, 1
	v_add3_u32 v9, v5, v9, s18
	v_lshrrev_b32_e32 v9, 16, v9
	v_cmp_o_f32_e32 vcc, v5, v5
	v_cndmask_b32_e32 v5, v7, v9, vcc
.LBB47_1940:
	s_mov_b64 s[16:17], 0
.LBB47_1941:
	s_andn2_b64 vcc, exec, s[16:17]
	s_cbranch_vccnz .LBB47_1943
; %bb.1942:
	global_load_ubyte v5, v[18:19], off
	s_movk_i32 s16, 0x7f00
	s_brev_b32 s17, 16
	s_brev_b32 s18, 1
	s_movk_i32 s19, 0x7fff
	v_mov_b32_e32 v7, 0x7fc0
	s_waitcnt vmcnt(0)
	v_lshlrev_b16_e32 v9, 8, v5
	v_lshlrev_b32_e32 v5, 25, v5
	v_lshrrev_b32_e32 v11, 4, v5
	v_and_or_b32 v13, v9, s16, 0.5
	v_or_b32_e32 v11, 0x70000000, v11
	v_add_f32_e32 v13, -0.5, v13
	v_mul_f32_e32 v11, 0x7800000, v11
	v_cmp_gt_u32_e32 vcc, s17, v5
	v_bfe_i32 v9, v9, 0, 16
	v_cndmask_b32_e32 v5, v11, v13, vcc
	v_and_or_b32 v9, v9, s18, v5
	v_bfe_u32 v5, v5, 16, 1
	v_add3_u32 v5, v9, v5, s19
	v_lshrrev_b32_e32 v5, 16, v5
	v_cmp_o_f32_e32 vcc, v9, v9
	v_cndmask_b32_e32 v5, v7, v5, vcc
.LBB47_1943:
	s_mov_b64 s[16:17], 0
	s_mov_b64 s[18:19], -1
.LBB47_1944:
	s_andn2_b64 vcc, exec, s[16:17]
	s_mov_b64 s[16:17], 0
	s_cbranch_vccnz .LBB47_1955
; %bb.1945:
	v_mov_b32_e32 v5, 14
	v_cmp_gt_i16_sdwa s[16:17], s25, v5 src0_sel:BYTE_0 src1_sel:DWORD
	s_and_b64 vcc, exec, s[16:17]
	s_cbranch_vccz .LBB47_1948
; %bb.1946:
	v_mov_b32_e32 v5, 15
	v_cmp_eq_u16_sdwa s[6:7], s25, v5 src0_sel:BYTE_0 src1_sel:DWORD
	s_and_b64 vcc, exec, s[6:7]
	s_cbranch_vccz .LBB47_1951
; %bb.1947:
	global_load_ushort v5, v[18:19], off
	s_mov_b64 s[6:7], 0
	s_mov_b64 s[18:19], -1
	s_branch .LBB47_1952
.LBB47_1948:
	s_mov_b64 s[20:21], -1
                                        ; implicit-def: $vgpr5
	s_branch .LBB47_1953
.LBB47_1949:
	s_or_saveexec_b64 s[18:19], s[18:19]
	v_mov_b32_e32 v7, s22
	s_xor_b64 exec, exec, s[18:19]
	s_cbranch_execz .LBB47_1930
.LBB47_1950:
	v_cmp_ne_u16_e32 vcc, 0, v5
	s_andn2_b64 s[16:17], s[16:17], exec
	s_and_b64 s[20:21], vcc, exec
	v_mov_b32_e32 v7, 0
	s_or_b64 s[16:17], s[16:17], s[20:21]
	s_or_b64 exec, exec, s[18:19]
	s_and_saveexec_b64 s[18:19], s[16:17]
	s_cbranch_execnz .LBB47_1931
	s_branch .LBB47_1932
.LBB47_1951:
	s_mov_b64 s[6:7], -1
                                        ; implicit-def: $vgpr5
.LBB47_1952:
	s_mov_b64 s[20:21], 0
.LBB47_1953:
	s_mov_b64 s[16:17], 0
	s_and_b64 vcc, exec, s[20:21]
	s_cbranch_vccz .LBB47_1955
; %bb.1954:
	s_waitcnt vmcnt(0)
	v_mov_b32_e32 v5, 11
	v_cmp_ne_u16_sdwa s[6:7], s25, v5 src0_sel:BYTE_0 src1_sel:DWORD
	s_mov_b64 s[16:17], -1
                                        ; implicit-def: $vgpr5
.LBB47_1955:
	s_and_b64 vcc, exec, s[6:7]
	s_cbranch_vccnz .LBB47_2018
; %bb.1956:
	s_andn2_b64 vcc, exec, s[16:17]
	s_cbranch_vccnz .LBB47_1958
.LBB47_1957:
	global_load_ubyte v5, v[18:19], off
	s_mov_b64 s[18:19], -1
	s_waitcnt vmcnt(0)
	v_cmp_ne_u16_e32 vcc, 0, v5
	v_cndmask_b32_e64 v5, 0, 1.0, vcc
	v_lshrrev_b32_e32 v5, 16, v5
.LBB47_1958:
	s_branch .LBB47_1886
.LBB47_1959:
	s_waitcnt vmcnt(0)
	v_mov_b32_e32 v5, 5
	v_cmp_lt_i16_sdwa s[6:7], s25, v5 src0_sel:BYTE_0 src1_sel:DWORD
	s_and_b64 vcc, exec, s[6:7]
	s_cbranch_vccnz .LBB47_1964
; %bb.1960:
	v_mov_b32_e32 v5, 8
	v_cmp_lt_i16_sdwa s[6:7], s25, v5 src0_sel:BYTE_0 src1_sel:DWORD
	s_and_b64 vcc, exec, s[6:7]
	s_cbranch_vccnz .LBB47_1965
; %bb.1961:
	v_mov_b32_e32 v5, 9
	v_cmp_lt_i16_sdwa s[6:7], s25, v5 src0_sel:BYTE_0 src1_sel:DWORD
	s_and_b64 vcc, exec, s[6:7]
	s_cbranch_vccnz .LBB47_1966
; %bb.1962:
	v_cmp_gt_i16_sdwa s[6:7], s25, v5 src0_sel:BYTE_0 src1_sel:DWORD
	s_and_b64 vcc, exec, s[6:7]
	s_cbranch_vccz .LBB47_1967
; %bb.1963:
	global_load_dwordx2 v[20:21], v[18:19], off
	s_movk_i32 s6, 0x7fff
	v_mov_b32_e32 v5, 0x7fc0
	s_waitcnt vmcnt(0)
	v_cvt_f32_f64_e32 v7, v[20:21]
	v_bfe_u32 v9, v7, 16, 1
	v_add3_u32 v9, v7, v9, s6
	v_lshrrev_b32_e32 v9, 16, v9
	v_cmp_o_f32_e32 vcc, v7, v7
	v_cndmask_b32_e32 v5, v5, v9, vcc
	s_mov_b64 s[6:7], 0
	s_branch .LBB47_1968
.LBB47_1964:
	s_mov_b64 s[6:7], -1
                                        ; implicit-def: $vgpr5
	s_branch .LBB47_1986
.LBB47_1965:
	s_mov_b64 s[6:7], -1
                                        ; implicit-def: $vgpr5
	s_branch .LBB47_1974
.LBB47_1966:
	s_mov_b64 s[6:7], -1
                                        ; implicit-def: $vgpr5
	s_branch .LBB47_1971
.LBB47_1967:
	s_mov_b64 s[6:7], -1
                                        ; implicit-def: $vgpr5
.LBB47_1968:
	s_andn2_b64 vcc, exec, s[6:7]
	s_cbranch_vccnz .LBB47_1970
; %bb.1969:
	global_load_dword v5, v[18:19], off
	s_movk_i32 s6, 0x7fff
	v_mov_b32_e32 v7, 0x7fc0
	s_waitcnt vmcnt(0)
	v_bfe_u32 v9, v5, 16, 1
	v_add3_u32 v9, v5, v9, s6
	v_lshrrev_b32_e32 v9, 16, v9
	v_cmp_o_f32_e32 vcc, v5, v5
	v_cndmask_b32_e32 v5, v7, v9, vcc
.LBB47_1970:
	s_mov_b64 s[6:7], 0
.LBB47_1971:
	s_andn2_b64 vcc, exec, s[6:7]
	s_cbranch_vccnz .LBB47_1973
; %bb.1972:
	global_load_dword v5, v[18:19], off
	s_movk_i32 s6, 0x7fff
	v_mov_b32_e32 v9, 0x7fc0
	s_waitcnt vmcnt(0)
	v_cvt_f32_f16_e32 v7, v5
	v_cmp_o_f16_e32 vcc, v5, v5
	v_bfe_u32 v11, v7, 16, 1
	v_add3_u32 v7, v7, v11, s6
	v_lshrrev_b32_e32 v7, 16, v7
	v_cndmask_b32_e32 v5, v9, v7, vcc
.LBB47_1973:
	s_mov_b64 s[6:7], 0
.LBB47_1974:
	s_andn2_b64 vcc, exec, s[6:7]
	s_cbranch_vccnz .LBB47_1985
; %bb.1975:
	v_mov_b32_e32 v5, 6
	v_cmp_lt_i16_sdwa s[6:7], s25, v5 src0_sel:BYTE_0 src1_sel:DWORD
	s_and_b64 vcc, exec, s[6:7]
	s_cbranch_vccnz .LBB47_1978
; %bb.1976:
	v_cmp_gt_i16_sdwa s[6:7], s25, v5 src0_sel:BYTE_0 src1_sel:DWORD
	s_and_b64 vcc, exec, s[6:7]
	s_cbranch_vccz .LBB47_1979
; %bb.1977:
	global_load_dwordx2 v[20:21], v[18:19], off
	s_movk_i32 s6, 0x7fff
	v_mov_b32_e32 v5, 0x7fc0
	s_waitcnt vmcnt(0)
	v_cvt_f32_f64_e32 v7, v[20:21]
	v_bfe_u32 v9, v7, 16, 1
	v_add3_u32 v9, v7, v9, s6
	v_lshrrev_b32_e32 v9, 16, v9
	v_cmp_o_f32_e32 vcc, v7, v7
	v_cndmask_b32_e32 v5, v5, v9, vcc
	s_mov_b64 s[6:7], 0
	s_branch .LBB47_1980
.LBB47_1978:
	s_mov_b64 s[6:7], -1
                                        ; implicit-def: $vgpr5
	s_branch .LBB47_1983
.LBB47_1979:
	s_mov_b64 s[6:7], -1
                                        ; implicit-def: $vgpr5
.LBB47_1980:
	s_andn2_b64 vcc, exec, s[6:7]
	s_cbranch_vccnz .LBB47_1982
; %bb.1981:
	global_load_dword v5, v[18:19], off
	s_movk_i32 s6, 0x7fff
	v_mov_b32_e32 v7, 0x7fc0
	s_waitcnt vmcnt(0)
	v_bfe_u32 v9, v5, 16, 1
	v_add3_u32 v9, v5, v9, s6
	v_lshrrev_b32_e32 v9, 16, v9
	v_cmp_o_f32_e32 vcc, v5, v5
	v_cndmask_b32_e32 v5, v7, v9, vcc
.LBB47_1982:
	s_mov_b64 s[6:7], 0
.LBB47_1983:
	s_andn2_b64 vcc, exec, s[6:7]
	s_cbranch_vccnz .LBB47_1985
; %bb.1984:
	global_load_ushort v5, v[18:19], off
	s_movk_i32 s6, 0x7fff
	v_mov_b32_e32 v9, 0x7fc0
	s_waitcnt vmcnt(0)
	v_cvt_f32_f16_e32 v7, v5
	v_cmp_o_f16_e32 vcc, v5, v5
	v_bfe_u32 v11, v7, 16, 1
	v_add3_u32 v7, v7, v11, s6
	v_lshrrev_b32_e32 v7, 16, v7
	v_cndmask_b32_e32 v5, v9, v7, vcc
.LBB47_1985:
	s_mov_b64 s[6:7], 0
.LBB47_1986:
	s_andn2_b64 vcc, exec, s[6:7]
	s_cbranch_vccnz .LBB47_2006
; %bb.1987:
	v_mov_b32_e32 v5, 2
	v_cmp_lt_i16_sdwa s[6:7], s25, v5 src0_sel:BYTE_0 src1_sel:DWORD
	s_and_b64 vcc, exec, s[6:7]
	s_cbranch_vccnz .LBB47_1991
; %bb.1988:
	v_mov_b32_e32 v5, 3
	v_cmp_lt_i16_sdwa s[6:7], s25, v5 src0_sel:BYTE_0 src1_sel:DWORD
	s_and_b64 vcc, exec, s[6:7]
	s_cbranch_vccnz .LBB47_1992
; %bb.1989:
	v_cmp_gt_i16_sdwa s[6:7], s25, v5 src0_sel:BYTE_0 src1_sel:DWORD
	s_and_b64 vcc, exec, s[6:7]
	s_cbranch_vccz .LBB47_1993
; %bb.1990:
	global_load_dwordx2 v[20:21], v[18:19], off
	s_movk_i32 s6, 0x7fff
	s_waitcnt vmcnt(0)
	v_xor_b32_e32 v7, v20, v21
	v_ffbh_i32_e32 v5, v21
	v_ashrrev_i32_e32 v7, 31, v7
	v_add_u32_e32 v5, -1, v5
	v_add_u32_e32 v7, 32, v7
	v_min_u32_e32 v5, v5, v7
	v_lshlrev_b64 v[20:21], v5, v[20:21]
	v_min_u32_e32 v7, 1, v20
	v_or_b32_e32 v7, v21, v7
	v_cvt_f32_i32_e32 v7, v7
	v_sub_u32_e32 v5, 32, v5
	v_ldexp_f32 v5, v7, v5
	v_bfe_u32 v7, v5, 16, 1
	v_add3_u32 v5, v5, v7, s6
	v_lshrrev_b32_e32 v5, 16, v5
	s_mov_b64 s[6:7], 0
	s_branch .LBB47_1994
.LBB47_1991:
	s_mov_b64 s[6:7], -1
                                        ; implicit-def: $vgpr5
	s_branch .LBB47_2000
.LBB47_1992:
	s_mov_b64 s[6:7], -1
                                        ; implicit-def: $vgpr5
	s_branch .LBB47_1997
.LBB47_1993:
	s_mov_b64 s[6:7], -1
                                        ; implicit-def: $vgpr5
.LBB47_1994:
	s_andn2_b64 vcc, exec, s[6:7]
	s_cbranch_vccnz .LBB47_1996
; %bb.1995:
	global_load_dword v5, v[18:19], off
	s_movk_i32 s6, 0x7fff
	s_waitcnt vmcnt(0)
	v_cvt_f32_i32_e32 v5, v5
	v_bfe_u32 v7, v5, 16, 1
	v_add3_u32 v5, v5, v7, s6
	v_lshrrev_b32_e32 v5, 16, v5
.LBB47_1996:
	s_mov_b64 s[6:7], 0
.LBB47_1997:
	s_andn2_b64 vcc, exec, s[6:7]
	s_cbranch_vccnz .LBB47_1999
; %bb.1998:
	global_load_sshort v5, v[18:19], off
	s_movk_i32 s6, 0x7fff
	s_waitcnt vmcnt(0)
	v_cvt_f32_i32_e32 v5, v5
	v_bfe_u32 v7, v5, 16, 1
	v_add3_u32 v5, v5, v7, s6
	v_lshrrev_b32_e32 v5, 16, v5
.LBB47_1999:
	s_mov_b64 s[6:7], 0
.LBB47_2000:
	s_andn2_b64 vcc, exec, s[6:7]
	s_cbranch_vccnz .LBB47_2006
; %bb.2001:
	v_mov_b32_e32 v5, 0
	v_cmp_gt_i16_sdwa s[6:7], s25, v5 src0_sel:BYTE_0 src1_sel:DWORD
	s_and_b64 vcc, exec, s[6:7]
	s_cbranch_vccz .LBB47_2003
; %bb.2002:
	global_load_sbyte v5, v[18:19], off
	s_movk_i32 s6, 0x7fff
	s_waitcnt vmcnt(0)
	v_cvt_f32_i32_e32 v5, v5
	v_bfe_u32 v7, v5, 16, 1
	v_add3_u32 v5, v5, v7, s6
	v_lshrrev_b32_e32 v5, 16, v5
	s_mov_b64 s[6:7], 0
	s_branch .LBB47_2004
.LBB47_2003:
	s_mov_b64 s[6:7], -1
                                        ; implicit-def: $vgpr5
.LBB47_2004:
	s_andn2_b64 vcc, exec, s[6:7]
	s_cbranch_vccnz .LBB47_2006
; %bb.2005:
	global_load_ubyte v5, v[18:19], off
	s_movk_i32 s6, 0x7fff
	s_waitcnt vmcnt(0)
	v_cvt_f32_ubyte0_e32 v5, v5
	v_bfe_u32 v7, v5, 16, 1
	v_add3_u32 v5, v5, v7, s6
	v_lshrrev_b32_e32 v5, 16, v5
.LBB47_2006:
.LBB47_2007:
	v_mov_b32_e32 v7, s1
	v_add_co_u32_e32 v16, vcc, s0, v16
	v_addc_co_u32_e32 v17, vcc, 0, v7, vcc
	s_and_b64 vcc, exec, s[2:3]
	s_cbranch_vccnz .LBB47_2014
; %bb.2008:
	v_cmp_gt_i16_e64 s[6:7], s26, 25
	s_mov_b64 s[16:17], 0
	s_and_b64 vcc, exec, s[6:7]
	s_cbranch_vccz .LBB47_2015
; %bb.2009:
	v_cmp_gt_i16_e64 s[6:7], s26, 28
	s_and_b64 vcc, exec, s[6:7]
	s_cbranch_vccz .LBB47_2016
; %bb.2010:
	v_cmp_gt_i16_e64 s[6:7], s26, 43
	;; [unrolled: 4-line block ×3, first 2 shown]
	s_and_b64 vcc, exec, s[6:7]
	s_cbranch_vccz .LBB47_2019
; %bb.2012:
	v_cmp_eq_u16_e64 s[6:7], s26, 46
	s_mov_b64 s[20:21], 0
	s_and_b64 vcc, exec, s[6:7]
	s_cbranch_vccz .LBB47_2020
; %bb.2013:
	global_load_dword v18, v[16:17], off
	s_mov_b64 s[6:7], 0
	s_mov_b64 s[18:19], -1
	s_branch .LBB47_2021
.LBB47_2014:
	s_mov_b64 s[6:7], -1
	s_mov_b64 s[18:19], 0
                                        ; implicit-def: $vgpr18
	s_branch .LBB47_2087
.LBB47_2015:
	s_mov_b64 s[20:21], -1
	s_mov_b64 s[18:19], 0
	s_mov_b64 s[6:7], 0
                                        ; implicit-def: $vgpr18
	s_branch .LBB47_2050
.LBB47_2016:
	s_mov_b64 s[20:21], -1
	s_mov_b64 s[18:19], 0
	s_mov_b64 s[6:7], 0
                                        ; implicit-def: $vgpr18
	s_branch .LBB47_2031
.LBB47_2017:
	s_mov_b64 s[20:21], -1
	s_mov_b64 s[18:19], 0
	s_mov_b64 s[6:7], 0
                                        ; implicit-def: $vgpr18
	s_branch .LBB47_2026
.LBB47_2018:
	s_trap 2
	s_or_b64 s[4:5], s[4:5], exec
                                        ; implicit-def: $vgpr5
	s_cbranch_execz .LBB47_1957
	s_branch .LBB47_1958
.LBB47_2019:
	s_mov_b64 s[20:21], -1
	s_mov_b64 s[18:19], 0
	s_mov_b64 s[6:7], 0
                                        ; implicit-def: $vgpr18
	s_branch .LBB47_2021
.LBB47_2020:
	s_mov_b64 s[6:7], -1
                                        ; implicit-def: $vgpr18
	s_mov_b64 s[18:19], 0
.LBB47_2021:
	s_and_b64 vcc, exec, s[20:21]
	s_cbranch_vccz .LBB47_2025
; %bb.2022:
	v_cmp_eq_u16_e64 s[6:7], s26, 44
	s_and_b64 vcc, exec, s[6:7]
	s_cbranch_vccz .LBB47_2024
; %bb.2023:
	global_load_ubyte v7, v[16:17], off
	s_movk_i32 s18, 0xff
	v_mov_b32_e32 v9, 0x7f800001
	v_mov_b32_e32 v11, 0x400000
	;; [unrolled: 1-line block ×3, first 2 shown]
	s_mov_b64 s[6:7], 0
	s_waitcnt vmcnt(0)
	v_lshlrev_b32_e32 v15, 23, v7
	v_cmp_ne_u32_e32 vcc, s18, v7
	v_cndmask_b32_e32 v9, v9, v15, vcc
	v_cmp_ne_u32_e32 vcc, 0, v7
	v_cndmask_b32_e32 v7, v11, v9, vcc
	v_add_u32_e32 v9, 0x7fff, v7
	v_lshrrev_b32_e32 v9, 16, v9
	v_cmp_o_f32_e32 vcc, v7, v7
	v_cndmask_b32_e32 v18, v13, v9, vcc
	s_mov_b64 s[18:19], -1
	s_branch .LBB47_2025
.LBB47_2024:
	s_mov_b64 s[6:7], -1
                                        ; implicit-def: $vgpr18
.LBB47_2025:
	s_mov_b64 s[20:21], 0
.LBB47_2026:
	s_and_b64 vcc, exec, s[20:21]
	s_cbranch_vccz .LBB47_2030
; %bb.2027:
	v_cmp_eq_u16_e64 s[6:7], s26, 29
	s_and_b64 vcc, exec, s[6:7]
	s_cbranch_vccz .LBB47_2029
; %bb.2028:
	global_load_dwordx2 v[18:19], v[16:17], off
	s_movk_i32 s18, 0x7fff
	s_mov_b64 s[6:7], 0
	s_mov_b64 s[20:21], 0
	s_waitcnt vmcnt(0)
	v_ffbh_u32_e32 v7, v19
	v_min_u32_e32 v7, 32, v7
	v_lshlrev_b64 v[18:19], v7, v[18:19]
	v_min_u32_e32 v9, 1, v18
	v_or_b32_e32 v9, v19, v9
	v_cvt_f32_u32_e32 v9, v9
	v_sub_u32_e32 v7, 32, v7
	v_ldexp_f32 v7, v9, v7
	v_bfe_u32 v9, v7, 16, 1
	v_add3_u32 v7, v7, v9, s18
	v_lshrrev_b32_e32 v18, 16, v7
	s_mov_b64 s[18:19], -1
	s_branch .LBB47_2031
.LBB47_2029:
	s_mov_b64 s[6:7], -1
                                        ; implicit-def: $vgpr18
.LBB47_2030:
	s_mov_b64 s[20:21], 0
.LBB47_2031:
	s_and_b64 vcc, exec, s[20:21]
	s_cbranch_vccz .LBB47_2049
; %bb.2032:
	v_cmp_lt_i16_e64 s[18:19], s26, 27
	s_and_b64 vcc, exec, s[18:19]
	s_cbranch_vccnz .LBB47_2035
; %bb.2033:
	v_cmp_gt_i16_e64 s[18:19], s26, 27
	s_and_b64 vcc, exec, s[18:19]
	s_cbranch_vccz .LBB47_2036
; %bb.2034:
	global_load_dword v7, v[16:17], off
	s_movk_i32 s18, 0x7fff
	s_waitcnt vmcnt(0)
	v_cvt_f32_u32_e32 v7, v7
	v_bfe_u32 v9, v7, 16, 1
	v_add3_u32 v7, v7, v9, s18
	v_lshrrev_b32_e32 v18, 16, v7
	s_mov_b64 s[18:19], 0
	s_branch .LBB47_2037
.LBB47_2035:
	s_mov_b64 s[18:19], -1
                                        ; implicit-def: $vgpr18
	s_branch .LBB47_2040
.LBB47_2036:
	s_mov_b64 s[18:19], -1
                                        ; implicit-def: $vgpr18
.LBB47_2037:
	s_andn2_b64 vcc, exec, s[18:19]
	s_cbranch_vccnz .LBB47_2039
; %bb.2038:
	global_load_ushort v7, v[16:17], off
	s_movk_i32 s18, 0x7fff
	s_waitcnt vmcnt(0)
	v_cvt_f32_u32_e32 v7, v7
	v_bfe_u32 v9, v7, 16, 1
	v_add3_u32 v7, v7, v9, s18
	v_lshrrev_b32_e32 v18, 16, v7
.LBB47_2039:
	s_mov_b64 s[18:19], 0
.LBB47_2040:
	s_andn2_b64 vcc, exec, s[18:19]
	s_cbranch_vccnz .LBB47_2048
; %bb.2041:
	global_load_ubyte v7, v[16:17], off
	s_movk_i32 s18, 0x7f
                                        ; implicit-def: $sgpr27
	s_waitcnt vmcnt(0)
	v_cmp_lt_i16_e32 vcc, s18, v7
	s_mov_b64 s[18:19], 0
	s_and_saveexec_b64 s[20:21], vcc
	s_xor_b64 s[20:21], exec, s[20:21]
	s_cbranch_execz .LBB47_2062
; %bb.2042:
	s_movk_i32 s18, 0x80
	v_cmp_eq_u16_e32 vcc, s18, v7
	s_mov_b64 s[18:19], -1
                                        ; implicit-def: $sgpr27
	s_and_saveexec_b64 s[22:23], vcc
; %bb.2043:
	s_mov_b32 s27, 0x7f800001
	s_xor_b64 s[18:19], exec, -1
; %bb.2044:
	s_or_b64 exec, exec, s[22:23]
	s_and_b64 s[18:19], s[18:19], exec
	s_or_saveexec_b64 s[20:21], s[20:21]
	v_mov_b32_e32 v9, s27
	s_xor_b64 exec, exec, s[20:21]
	s_cbranch_execnz .LBB47_2063
.LBB47_2045:
	s_or_b64 exec, exec, s[20:21]
	s_and_saveexec_b64 s[20:21], s[18:19]
	s_cbranch_execz .LBB47_2047
.LBB47_2046:
	v_lshlrev_b32_e32 v9, 24, v7
	v_and_b32_e32 v7, 0xffff, v7
	v_and_b32_e32 v11, 7, v7
	v_ffbh_u32_e32 v15, v11
	v_min_u32_e32 v15, 32, v15
	v_subrev_u32_e32 v18, 28, v15
	v_bfe_u32 v13, v7, 3, 4
	v_lshlrev_b32_e32 v7, v18, v7
	v_sub_u32_e32 v15, 29, v15
	v_and_b32_e32 v7, 7, v7
	v_cmp_eq_u32_e32 vcc, 0, v13
	v_cndmask_b32_e32 v13, v13, v15, vcc
	v_cndmask_b32_e32 v7, v11, v7, vcc
	v_mov_b32_e32 v11, 0x3b800000
	v_lshlrev_b32_e32 v7, 20, v7
	v_and_b32_e32 v9, 0x80000000, v9
	v_lshl_add_u32 v11, v13, 23, v11
	v_or3_b32 v9, v9, v11, v7
.LBB47_2047:
	s_or_b64 exec, exec, s[20:21]
	v_bfe_u32 v7, v9, 16, 1
	s_movk_i32 s18, 0x7fff
	v_add3_u32 v7, v9, v7, s18
	v_lshrrev_b32_e32 v7, 16, v7
	v_mov_b32_e32 v11, 0x7fc0
	v_cmp_o_f32_e32 vcc, v9, v9
	v_cndmask_b32_e32 v18, v11, v7, vcc
.LBB47_2048:
	s_mov_b64 s[18:19], -1
.LBB47_2049:
	s_mov_b64 s[20:21], 0
.LBB47_2050:
	s_and_b64 vcc, exec, s[20:21]
	s_cbranch_vccz .LBB47_2083
; %bb.2051:
	v_cmp_gt_i16_e64 s[16:17], s26, 22
	s_and_b64 vcc, exec, s[16:17]
	s_cbranch_vccz .LBB47_2061
; %bb.2052:
	v_cmp_lt_i16_e64 s[16:17], s26, 24
	s_and_b64 vcc, exec, s[16:17]
	s_cbranch_vccnz .LBB47_2064
; %bb.2053:
	v_cmp_gt_i16_e64 s[16:17], s26, 24
	s_and_b64 vcc, exec, s[16:17]
	s_cbranch_vccz .LBB47_2065
; %bb.2054:
	global_load_ubyte v7, v[16:17], off
	s_movk_i32 s16, 0x7f
                                        ; implicit-def: $sgpr22
	s_waitcnt vmcnt(0)
	v_cmp_lt_i16_e32 vcc, s16, v7
	s_mov_b64 s[16:17], 0
	s_and_saveexec_b64 s[18:19], vcc
	s_xor_b64 s[18:19], exec, s[18:19]
	s_cbranch_execz .LBB47_2077
; %bb.2055:
	s_movk_i32 s16, 0x80
	v_cmp_eq_u16_e32 vcc, s16, v7
	s_mov_b64 s[16:17], -1
                                        ; implicit-def: $sgpr22
	s_and_saveexec_b64 s[20:21], vcc
; %bb.2056:
	s_mov_b32 s22, 0x7f800001
	s_xor_b64 s[16:17], exec, -1
; %bb.2057:
	s_or_b64 exec, exec, s[20:21]
	s_and_b64 s[16:17], s[16:17], exec
	s_or_saveexec_b64 s[18:19], s[18:19]
	v_mov_b32_e32 v9, s22
	s_xor_b64 exec, exec, s[18:19]
	s_cbranch_execnz .LBB47_2078
.LBB47_2058:
	s_or_b64 exec, exec, s[18:19]
	s_and_saveexec_b64 s[18:19], s[16:17]
	s_cbranch_execz .LBB47_2060
.LBB47_2059:
	v_lshlrev_b32_e32 v9, 24, v7
	v_and_b32_e32 v7, 0xffff, v7
	v_and_b32_e32 v11, 3, v7
	v_ffbh_u32_e32 v15, v11
	v_min_u32_e32 v15, 32, v15
	v_subrev_u32_e32 v18, 29, v15
	v_bfe_u32 v13, v7, 2, 5
	v_lshlrev_b32_e32 v7, v18, v7
	v_sub_u32_e32 v15, 30, v15
	v_and_b32_e32 v7, 3, v7
	v_cmp_eq_u32_e32 vcc, 0, v13
	v_cndmask_b32_e32 v13, v13, v15, vcc
	v_cndmask_b32_e32 v7, v11, v7, vcc
	v_mov_b32_e32 v11, 0x37800000
	v_lshlrev_b32_e32 v7, 21, v7
	v_and_b32_e32 v9, 0x80000000, v9
	v_lshl_add_u32 v11, v13, 23, v11
	v_or3_b32 v9, v9, v11, v7
.LBB47_2060:
	s_or_b64 exec, exec, s[18:19]
	v_bfe_u32 v7, v9, 16, 1
	s_movk_i32 s16, 0x7fff
	v_add3_u32 v7, v9, v7, s16
	v_lshrrev_b32_e32 v7, 16, v7
	v_mov_b32_e32 v11, 0x7fc0
	v_cmp_o_f32_e32 vcc, v9, v9
	v_cndmask_b32_e32 v18, v11, v7, vcc
	s_mov_b64 s[16:17], 0
	s_branch .LBB47_2066
.LBB47_2061:
	s_mov_b64 s[16:17], -1
                                        ; implicit-def: $vgpr18
	s_branch .LBB47_2072
.LBB47_2062:
	s_or_saveexec_b64 s[20:21], s[20:21]
	v_mov_b32_e32 v9, s27
	s_xor_b64 exec, exec, s[20:21]
	s_cbranch_execz .LBB47_2045
.LBB47_2063:
	v_cmp_ne_u16_e32 vcc, 0, v7
	s_andn2_b64 s[18:19], s[18:19], exec
	s_and_b64 s[22:23], vcc, exec
	v_mov_b32_e32 v9, 0
	s_or_b64 s[18:19], s[18:19], s[22:23]
	s_or_b64 exec, exec, s[20:21]
	s_and_saveexec_b64 s[20:21], s[18:19]
	s_cbranch_execnz .LBB47_2046
	s_branch .LBB47_2047
.LBB47_2064:
	s_mov_b64 s[16:17], -1
                                        ; implicit-def: $vgpr18
	s_branch .LBB47_2069
.LBB47_2065:
	s_mov_b64 s[16:17], -1
                                        ; implicit-def: $vgpr18
.LBB47_2066:
	s_and_b64 vcc, exec, s[16:17]
	s_cbranch_vccz .LBB47_2068
; %bb.2067:
	global_load_ubyte v7, v[16:17], off
	s_mov_b32 s16, 0x7f800000
	s_brev_b32 s17, 1
	s_movk_i32 s18, 0x7fff
	v_mov_b32_e32 v9, 0x7fc0
	s_waitcnt vmcnt(0)
	v_lshlrev_b32_e32 v7, 24, v7
	v_and_b32_e32 v11, 0x7f000000, v7
	v_ffbh_u32_e32 v13, v11
	v_min_u32_e32 v13, 32, v13
	v_sub_u32_e64 v13, v13, 4 clamp
	v_lshlrev_b32_e32 v18, v13, v11
	v_lshlrev_b32_e32 v13, 23, v13
	v_lshrrev_b32_e32 v18, 4, v18
	v_add_u32_e32 v15, 0x1000000, v11
	v_sub_u32_e32 v13, v18, v13
	v_ashrrev_i32_e32 v15, 8, v15
	v_add_u32_e32 v13, 0x3c000000, v13
	v_and_or_b32 v13, v15, s16, v13
	v_cmp_ne_u32_e32 vcc, 0, v11
	v_cndmask_b32_e32 v11, 0, v13, vcc
	v_and_or_b32 v7, v7, s17, v11
	v_bfe_u32 v11, v11, 16, 1
	v_add3_u32 v11, v7, v11, s18
	v_lshrrev_b32_e32 v11, 16, v11
	v_cmp_o_f32_e32 vcc, v7, v7
	v_cndmask_b32_e32 v18, v9, v11, vcc
.LBB47_2068:
	s_mov_b64 s[16:17], 0
.LBB47_2069:
	s_andn2_b64 vcc, exec, s[16:17]
	s_cbranch_vccnz .LBB47_2071
; %bb.2070:
	global_load_ubyte v7, v[16:17], off
	s_movk_i32 s16, 0x7f00
	s_brev_b32 s17, 16
	s_brev_b32 s18, 1
	s_movk_i32 s19, 0x7fff
	v_mov_b32_e32 v9, 0x7fc0
	s_waitcnt vmcnt(0)
	v_lshlrev_b16_e32 v11, 8, v7
	v_lshlrev_b32_e32 v7, 25, v7
	v_lshrrev_b32_e32 v13, 4, v7
	v_and_or_b32 v15, v11, s16, 0.5
	v_or_b32_e32 v13, 0x70000000, v13
	v_add_f32_e32 v15, -0.5, v15
	v_mul_f32_e32 v13, 0x7800000, v13
	v_cmp_gt_u32_e32 vcc, s17, v7
	v_bfe_i32 v11, v11, 0, 16
	v_cndmask_b32_e32 v7, v13, v15, vcc
	v_and_or_b32 v11, v11, s18, v7
	v_bfe_u32 v7, v7, 16, 1
	v_add3_u32 v7, v11, v7, s19
	v_lshrrev_b32_e32 v7, 16, v7
	v_cmp_o_f32_e32 vcc, v11, v11
	v_cndmask_b32_e32 v18, v9, v7, vcc
.LBB47_2071:
	s_mov_b64 s[16:17], 0
	s_mov_b64 s[18:19], -1
.LBB47_2072:
	s_andn2_b64 vcc, exec, s[16:17]
	s_mov_b64 s[16:17], 0
	s_cbranch_vccnz .LBB47_2083
; %bb.2073:
	v_cmp_gt_i16_e64 s[16:17], s26, 14
	s_and_b64 vcc, exec, s[16:17]
	s_cbranch_vccz .LBB47_2076
; %bb.2074:
	v_cmp_eq_u16_e64 s[6:7], s26, 15
	s_and_b64 vcc, exec, s[6:7]
	s_cbranch_vccz .LBB47_2079
; %bb.2075:
	global_load_ushort v18, v[16:17], off
	s_mov_b64 s[6:7], 0
	s_mov_b64 s[18:19], -1
	s_branch .LBB47_2080
.LBB47_2076:
	s_mov_b64 s[20:21], -1
                                        ; implicit-def: $vgpr18
	s_branch .LBB47_2081
.LBB47_2077:
	s_or_saveexec_b64 s[18:19], s[18:19]
	v_mov_b32_e32 v9, s22
	s_xor_b64 exec, exec, s[18:19]
	s_cbranch_execz .LBB47_2058
.LBB47_2078:
	v_cmp_ne_u16_e32 vcc, 0, v7
	s_andn2_b64 s[16:17], s[16:17], exec
	s_and_b64 s[20:21], vcc, exec
	v_mov_b32_e32 v9, 0
	s_or_b64 s[16:17], s[16:17], s[20:21]
	s_or_b64 exec, exec, s[18:19]
	s_and_saveexec_b64 s[18:19], s[16:17]
	s_cbranch_execnz .LBB47_2059
	s_branch .LBB47_2060
.LBB47_2079:
	s_mov_b64 s[6:7], -1
                                        ; implicit-def: $vgpr18
.LBB47_2080:
	s_mov_b64 s[20:21], 0
.LBB47_2081:
	s_mov_b64 s[16:17], 0
	s_and_b64 vcc, exec, s[20:21]
	s_cbranch_vccz .LBB47_2083
; %bb.2082:
	v_cmp_ne_u16_e64 s[6:7], s26, 11
	s_mov_b64 s[16:17], -1
                                        ; implicit-def: $vgpr18
.LBB47_2083:
	s_and_b64 vcc, exec, s[6:7]
	s_cbranch_vccnz .LBB47_2148
; %bb.2084:
	s_andn2_b64 vcc, exec, s[16:17]
	s_cbranch_vccnz .LBB47_2086
.LBB47_2085:
	global_load_ubyte v7, v[16:17], off
	s_mov_b64 s[18:19], -1
	s_waitcnt vmcnt(0)
	v_cmp_ne_u16_e32 vcc, 0, v7
	v_cndmask_b32_e64 v7, 0, 1.0, vcc
	v_lshrrev_b32_e32 v18, 16, v7
.LBB47_2086:
	s_mov_b64 s[6:7], 0
.LBB47_2087:
	s_and_b64 vcc, exec, s[6:7]
	s_cbranch_vccz .LBB47_2136
; %bb.2088:
	v_cmp_lt_i16_e64 s[6:7], s26, 5
	s_and_b64 vcc, exec, s[6:7]
	s_cbranch_vccnz .LBB47_2093
; %bb.2089:
	v_cmp_lt_i16_e64 s[6:7], s26, 8
	s_and_b64 vcc, exec, s[6:7]
	s_cbranch_vccnz .LBB47_2094
	;; [unrolled: 4-line block ×3, first 2 shown]
; %bb.2091:
	v_cmp_gt_i16_e64 s[6:7], s26, 9
	s_and_b64 vcc, exec, s[6:7]
	s_cbranch_vccz .LBB47_2096
; %bb.2092:
	global_load_dwordx2 v[18:19], v[16:17], off
	s_movk_i32 s6, 0x7fff
	v_mov_b32_e32 v7, 0x7fc0
	s_waitcnt vmcnt(0)
	v_cvt_f32_f64_e32 v9, v[18:19]
	v_bfe_u32 v11, v9, 16, 1
	v_add3_u32 v11, v9, v11, s6
	v_lshrrev_b32_e32 v11, 16, v11
	v_cmp_o_f32_e32 vcc, v9, v9
	v_cndmask_b32_e32 v18, v7, v11, vcc
	s_mov_b64 s[6:7], 0
	s_branch .LBB47_2097
.LBB47_2093:
	s_mov_b64 s[6:7], -1
                                        ; implicit-def: $vgpr18
	s_branch .LBB47_2115
.LBB47_2094:
	s_mov_b64 s[6:7], -1
                                        ; implicit-def: $vgpr18
	s_branch .LBB47_2103
.LBB47_2095:
	s_mov_b64 s[6:7], -1
                                        ; implicit-def: $vgpr18
	s_branch .LBB47_2100
.LBB47_2096:
	s_mov_b64 s[6:7], -1
                                        ; implicit-def: $vgpr18
.LBB47_2097:
	s_andn2_b64 vcc, exec, s[6:7]
	s_cbranch_vccnz .LBB47_2099
; %bb.2098:
	global_load_dword v7, v[16:17], off
	s_movk_i32 s6, 0x7fff
	v_mov_b32_e32 v9, 0x7fc0
	s_waitcnt vmcnt(0)
	v_bfe_u32 v11, v7, 16, 1
	v_add3_u32 v11, v7, v11, s6
	v_lshrrev_b32_e32 v11, 16, v11
	v_cmp_o_f32_e32 vcc, v7, v7
	v_cndmask_b32_e32 v18, v9, v11, vcc
.LBB47_2099:
	s_mov_b64 s[6:7], 0
.LBB47_2100:
	s_andn2_b64 vcc, exec, s[6:7]
	s_cbranch_vccnz .LBB47_2102
; %bb.2101:
	global_load_dword v7, v[16:17], off
	s_movk_i32 s6, 0x7fff
	v_mov_b32_e32 v11, 0x7fc0
	s_waitcnt vmcnt(0)
	v_cvt_f32_f16_e32 v9, v7
	v_cmp_o_f16_e32 vcc, v7, v7
	v_bfe_u32 v13, v9, 16, 1
	v_add3_u32 v9, v9, v13, s6
	v_lshrrev_b32_e32 v9, 16, v9
	v_cndmask_b32_e32 v18, v11, v9, vcc
.LBB47_2102:
	s_mov_b64 s[6:7], 0
.LBB47_2103:
	s_andn2_b64 vcc, exec, s[6:7]
	s_cbranch_vccnz .LBB47_2114
; %bb.2104:
	v_cmp_lt_i16_e64 s[6:7], s26, 6
	s_and_b64 vcc, exec, s[6:7]
	s_cbranch_vccnz .LBB47_2107
; %bb.2105:
	v_cmp_gt_i16_e64 s[6:7], s26, 6
	s_and_b64 vcc, exec, s[6:7]
	s_cbranch_vccz .LBB47_2108
; %bb.2106:
	global_load_dwordx2 v[18:19], v[16:17], off
	s_movk_i32 s6, 0x7fff
	v_mov_b32_e32 v7, 0x7fc0
	s_waitcnt vmcnt(0)
	v_cvt_f32_f64_e32 v9, v[18:19]
	v_bfe_u32 v11, v9, 16, 1
	v_add3_u32 v11, v9, v11, s6
	v_lshrrev_b32_e32 v11, 16, v11
	v_cmp_o_f32_e32 vcc, v9, v9
	v_cndmask_b32_e32 v18, v7, v11, vcc
	s_mov_b64 s[6:7], 0
	s_branch .LBB47_2109
.LBB47_2107:
	s_mov_b64 s[6:7], -1
                                        ; implicit-def: $vgpr18
	s_branch .LBB47_2112
.LBB47_2108:
	s_mov_b64 s[6:7], -1
                                        ; implicit-def: $vgpr18
.LBB47_2109:
	s_andn2_b64 vcc, exec, s[6:7]
	s_cbranch_vccnz .LBB47_2111
; %bb.2110:
	global_load_dword v7, v[16:17], off
	s_movk_i32 s6, 0x7fff
	v_mov_b32_e32 v9, 0x7fc0
	s_waitcnt vmcnt(0)
	v_bfe_u32 v11, v7, 16, 1
	v_add3_u32 v11, v7, v11, s6
	v_lshrrev_b32_e32 v11, 16, v11
	v_cmp_o_f32_e32 vcc, v7, v7
	v_cndmask_b32_e32 v18, v9, v11, vcc
.LBB47_2111:
	s_mov_b64 s[6:7], 0
.LBB47_2112:
	s_andn2_b64 vcc, exec, s[6:7]
	s_cbranch_vccnz .LBB47_2114
; %bb.2113:
	global_load_ushort v7, v[16:17], off
	s_movk_i32 s6, 0x7fff
	v_mov_b32_e32 v11, 0x7fc0
	s_waitcnt vmcnt(0)
	v_cvt_f32_f16_e32 v9, v7
	v_cmp_o_f16_e32 vcc, v7, v7
	v_bfe_u32 v13, v9, 16, 1
	v_add3_u32 v9, v9, v13, s6
	v_lshrrev_b32_e32 v9, 16, v9
	v_cndmask_b32_e32 v18, v11, v9, vcc
.LBB47_2114:
	s_mov_b64 s[6:7], 0
.LBB47_2115:
	s_andn2_b64 vcc, exec, s[6:7]
	s_cbranch_vccnz .LBB47_2135
; %bb.2116:
	v_cmp_lt_i16_e64 s[6:7], s26, 2
	s_and_b64 vcc, exec, s[6:7]
	s_cbranch_vccnz .LBB47_2120
; %bb.2117:
	v_cmp_lt_i16_e64 s[6:7], s26, 3
	s_and_b64 vcc, exec, s[6:7]
	s_cbranch_vccnz .LBB47_2121
; %bb.2118:
	v_cmp_gt_i16_e64 s[6:7], s26, 3
	s_and_b64 vcc, exec, s[6:7]
	s_cbranch_vccz .LBB47_2122
; %bb.2119:
	global_load_dwordx2 v[18:19], v[16:17], off
	s_movk_i32 s6, 0x7fff
	s_waitcnt vmcnt(0)
	v_xor_b32_e32 v9, v18, v19
	v_ffbh_i32_e32 v7, v19
	v_ashrrev_i32_e32 v9, 31, v9
	v_add_u32_e32 v7, -1, v7
	v_add_u32_e32 v9, 32, v9
	v_min_u32_e32 v7, v7, v9
	v_lshlrev_b64 v[18:19], v7, v[18:19]
	v_min_u32_e32 v9, 1, v18
	v_or_b32_e32 v9, v19, v9
	v_cvt_f32_i32_e32 v9, v9
	v_sub_u32_e32 v7, 32, v7
	v_ldexp_f32 v7, v9, v7
	v_bfe_u32 v9, v7, 16, 1
	v_add3_u32 v7, v7, v9, s6
	v_lshrrev_b32_e32 v18, 16, v7
	s_mov_b64 s[6:7], 0
	s_branch .LBB47_2123
.LBB47_2120:
	s_mov_b64 s[6:7], -1
                                        ; implicit-def: $vgpr18
	s_branch .LBB47_2129
.LBB47_2121:
	s_mov_b64 s[6:7], -1
                                        ; implicit-def: $vgpr18
	s_branch .LBB47_2126
.LBB47_2122:
	s_mov_b64 s[6:7], -1
                                        ; implicit-def: $vgpr18
.LBB47_2123:
	s_andn2_b64 vcc, exec, s[6:7]
	s_cbranch_vccnz .LBB47_2125
; %bb.2124:
	global_load_dword v7, v[16:17], off
	s_movk_i32 s6, 0x7fff
	s_waitcnt vmcnt(0)
	v_cvt_f32_i32_e32 v7, v7
	v_bfe_u32 v9, v7, 16, 1
	v_add3_u32 v7, v7, v9, s6
	v_lshrrev_b32_e32 v18, 16, v7
.LBB47_2125:
	s_mov_b64 s[6:7], 0
.LBB47_2126:
	s_andn2_b64 vcc, exec, s[6:7]
	s_cbranch_vccnz .LBB47_2128
; %bb.2127:
	global_load_sshort v7, v[16:17], off
	s_movk_i32 s6, 0x7fff
	s_waitcnt vmcnt(0)
	v_cvt_f32_i32_e32 v7, v7
	v_bfe_u32 v9, v7, 16, 1
	v_add3_u32 v7, v7, v9, s6
	v_lshrrev_b32_e32 v18, 16, v7
.LBB47_2128:
	s_mov_b64 s[6:7], 0
.LBB47_2129:
	s_andn2_b64 vcc, exec, s[6:7]
	s_cbranch_vccnz .LBB47_2135
; %bb.2130:
	v_cmp_gt_i16_e64 s[6:7], s26, 0
	s_and_b64 vcc, exec, s[6:7]
	s_cbranch_vccz .LBB47_2132
; %bb.2131:
	global_load_sbyte v7, v[16:17], off
	s_movk_i32 s6, 0x7fff
	s_waitcnt vmcnt(0)
	v_cvt_f32_i32_e32 v7, v7
	v_bfe_u32 v9, v7, 16, 1
	v_add3_u32 v7, v7, v9, s6
	v_lshrrev_b32_e32 v18, 16, v7
	s_mov_b64 s[6:7], 0
	s_branch .LBB47_2133
.LBB47_2132:
	s_mov_b64 s[6:7], -1
                                        ; implicit-def: $vgpr18
.LBB47_2133:
	s_andn2_b64 vcc, exec, s[6:7]
	s_cbranch_vccnz .LBB47_2135
; %bb.2134:
	global_load_ubyte v7, v[16:17], off
	s_movk_i32 s6, 0x7fff
	s_waitcnt vmcnt(0)
	v_cvt_f32_ubyte0_e32 v7, v7
	v_bfe_u32 v9, v7, 16, 1
	v_add3_u32 v7, v7, v9, s6
	v_lshrrev_b32_e32 v18, 16, v7
.LBB47_2135:
	s_mov_b64 s[18:19], -1
.LBB47_2136:
	s_andn2_b64 vcc, exec, s[18:19]
	s_cbranch_vccnz .LBB47_3112
; %bb.2137:
	v_mov_b32_e32 v7, s11
	v_add_co_u32_e32 v14, vcc, s10, v14
	v_addc_co_u32_e32 v15, vcc, 0, v7, vcc
	v_mov_b32_e32 v7, 11
	v_cmp_lt_i16_sdwa s[6:7], s25, v7 src0_sel:BYTE_0 src1_sel:DWORD
	s_and_b64 vcc, exec, s[6:7]
	s_cbranch_vccnz .LBB47_2144
; %bb.2138:
	v_mov_b32_e32 v7, 25
	v_cmp_gt_i16_sdwa s[6:7], s25, v7 src0_sel:BYTE_0 src1_sel:DWORD
	s_mov_b64 s[16:17], 0
	s_and_b64 vcc, exec, s[6:7]
	s_cbranch_vccz .LBB47_2145
; %bb.2139:
	v_mov_b32_e32 v7, 28
	v_cmp_gt_i16_sdwa s[6:7], s25, v7 src0_sel:BYTE_0 src1_sel:DWORD
	s_and_b64 vcc, exec, s[6:7]
	s_cbranch_vccz .LBB47_2146
; %bb.2140:
	v_mov_b32_e32 v7, 43
	v_cmp_gt_i16_sdwa s[6:7], s25, v7 src0_sel:BYTE_0 src1_sel:DWORD
	;; [unrolled: 5-line block ×3, first 2 shown]
	s_and_b64 vcc, exec, s[6:7]
	s_cbranch_vccz .LBB47_2149
; %bb.2142:
	v_mov_b32_e32 v7, 46
	v_cmp_eq_u16_sdwa s[6:7], s25, v7 src0_sel:BYTE_0 src1_sel:DWORD
	s_mov_b64 s[20:21], 0
	s_and_b64 vcc, exec, s[6:7]
	s_cbranch_vccz .LBB47_2150
; %bb.2143:
	global_load_dword v16, v[14:15], off
	s_mov_b64 s[6:7], 0
	s_mov_b64 s[18:19], -1
	s_branch .LBB47_2151
.LBB47_2144:
	s_mov_b64 s[6:7], -1
	s_mov_b64 s[18:19], 0
                                        ; implicit-def: $vgpr16
	s_branch .LBB47_2217
.LBB47_2145:
	s_mov_b64 s[20:21], -1
	s_mov_b64 s[18:19], 0
	s_mov_b64 s[6:7], 0
                                        ; implicit-def: $vgpr16
	s_branch .LBB47_2180
.LBB47_2146:
	s_mov_b64 s[20:21], -1
	s_mov_b64 s[18:19], 0
	s_mov_b64 s[6:7], 0
                                        ; implicit-def: $vgpr16
	s_branch .LBB47_2161
.LBB47_2147:
	s_mov_b64 s[20:21], -1
	s_mov_b64 s[18:19], 0
	s_mov_b64 s[6:7], 0
                                        ; implicit-def: $vgpr16
	s_branch .LBB47_2156
.LBB47_2148:
	s_trap 2
	s_or_b64 s[4:5], s[4:5], exec
                                        ; implicit-def: $vgpr18
	s_cbranch_execz .LBB47_2085
	s_branch .LBB47_2086
.LBB47_2149:
	s_mov_b64 s[20:21], -1
	s_mov_b64 s[18:19], 0
	s_mov_b64 s[6:7], 0
                                        ; implicit-def: $vgpr16
	s_branch .LBB47_2151
.LBB47_2150:
	s_mov_b64 s[6:7], -1
                                        ; implicit-def: $vgpr16
	s_mov_b64 s[18:19], 0
.LBB47_2151:
	s_and_b64 vcc, exec, s[20:21]
	s_cbranch_vccz .LBB47_2155
; %bb.2152:
	v_mov_b32_e32 v7, 44
	v_cmp_eq_u16_sdwa s[6:7], s25, v7 src0_sel:BYTE_0 src1_sel:DWORD
	s_and_b64 vcc, exec, s[6:7]
	s_cbranch_vccz .LBB47_2154
; %bb.2153:
	global_load_ubyte v7, v[14:15], off
	s_movk_i32 s18, 0xff
	v_mov_b32_e32 v9, 0x7f800001
	v_mov_b32_e32 v11, 0x400000
	v_mov_b32_e32 v13, 0x7fc0
	s_mov_b64 s[6:7], 0
	s_waitcnt vmcnt(0)
	v_lshlrev_b32_e32 v16, 23, v7
	v_cmp_ne_u32_e32 vcc, s18, v7
	v_cndmask_b32_e32 v9, v9, v16, vcc
	v_cmp_ne_u32_e32 vcc, 0, v7
	v_cndmask_b32_e32 v7, v11, v9, vcc
	v_add_u32_e32 v9, 0x7fff, v7
	v_lshrrev_b32_e32 v9, 16, v9
	v_cmp_o_f32_e32 vcc, v7, v7
	v_cndmask_b32_e32 v16, v13, v9, vcc
	s_mov_b64 s[18:19], -1
	s_branch .LBB47_2155
.LBB47_2154:
	s_mov_b64 s[6:7], -1
                                        ; implicit-def: $vgpr16
.LBB47_2155:
	s_mov_b64 s[20:21], 0
.LBB47_2156:
	s_and_b64 vcc, exec, s[20:21]
	s_cbranch_vccz .LBB47_2160
; %bb.2157:
	v_mov_b32_e32 v7, 29
	v_cmp_eq_u16_sdwa s[6:7], s25, v7 src0_sel:BYTE_0 src1_sel:DWORD
	s_and_b64 vcc, exec, s[6:7]
	s_cbranch_vccz .LBB47_2159
; %bb.2158:
	global_load_dwordx2 v[16:17], v[14:15], off
	s_movk_i32 s18, 0x7fff
	s_mov_b64 s[6:7], 0
	s_mov_b64 s[20:21], 0
	s_waitcnt vmcnt(0)
	v_ffbh_u32_e32 v7, v17
	v_min_u32_e32 v7, 32, v7
	v_lshlrev_b64 v[16:17], v7, v[16:17]
	v_min_u32_e32 v9, 1, v16
	v_or_b32_e32 v9, v17, v9
	v_cvt_f32_u32_e32 v9, v9
	v_sub_u32_e32 v7, 32, v7
	v_ldexp_f32 v7, v9, v7
	v_bfe_u32 v9, v7, 16, 1
	v_add3_u32 v7, v7, v9, s18
	v_lshrrev_b32_e32 v16, 16, v7
	s_mov_b64 s[18:19], -1
	s_branch .LBB47_2161
.LBB47_2159:
	s_mov_b64 s[6:7], -1
                                        ; implicit-def: $vgpr16
.LBB47_2160:
	s_mov_b64 s[20:21], 0
.LBB47_2161:
	s_and_b64 vcc, exec, s[20:21]
	s_cbranch_vccz .LBB47_2179
; %bb.2162:
	v_mov_b32_e32 v7, 27
	v_cmp_lt_i16_sdwa s[18:19], s25, v7 src0_sel:BYTE_0 src1_sel:DWORD
	s_and_b64 vcc, exec, s[18:19]
	s_cbranch_vccnz .LBB47_2165
; %bb.2163:
	v_cmp_gt_i16_sdwa s[18:19], s25, v7 src0_sel:BYTE_0 src1_sel:DWORD
	s_and_b64 vcc, exec, s[18:19]
	s_cbranch_vccz .LBB47_2166
; %bb.2164:
	global_load_dword v7, v[14:15], off
	s_movk_i32 s18, 0x7fff
	s_waitcnt vmcnt(0)
	v_cvt_f32_u32_e32 v7, v7
	v_bfe_u32 v9, v7, 16, 1
	v_add3_u32 v7, v7, v9, s18
	v_lshrrev_b32_e32 v16, 16, v7
	s_mov_b64 s[18:19], 0
	s_branch .LBB47_2167
.LBB47_2165:
	s_mov_b64 s[18:19], -1
                                        ; implicit-def: $vgpr16
	s_branch .LBB47_2170
.LBB47_2166:
	s_mov_b64 s[18:19], -1
                                        ; implicit-def: $vgpr16
.LBB47_2167:
	s_andn2_b64 vcc, exec, s[18:19]
	s_cbranch_vccnz .LBB47_2169
; %bb.2168:
	global_load_ushort v7, v[14:15], off
	s_movk_i32 s18, 0x7fff
	s_waitcnt vmcnt(0)
	v_cvt_f32_u32_e32 v7, v7
	v_bfe_u32 v9, v7, 16, 1
	v_add3_u32 v7, v7, v9, s18
	v_lshrrev_b32_e32 v16, 16, v7
.LBB47_2169:
	s_mov_b64 s[18:19], 0
.LBB47_2170:
	s_andn2_b64 vcc, exec, s[18:19]
	s_cbranch_vccnz .LBB47_2178
; %bb.2171:
	global_load_ubyte v7, v[14:15], off
	s_movk_i32 s18, 0x7f
                                        ; implicit-def: $sgpr27
	s_waitcnt vmcnt(0)
	v_cmp_lt_i16_e32 vcc, s18, v7
	s_mov_b64 s[18:19], 0
	s_and_saveexec_b64 s[20:21], vcc
	s_xor_b64 s[20:21], exec, s[20:21]
	s_cbranch_execz .LBB47_2192
; %bb.2172:
	s_movk_i32 s18, 0x80
	v_cmp_eq_u16_e32 vcc, s18, v7
	s_mov_b64 s[18:19], -1
                                        ; implicit-def: $sgpr27
	s_and_saveexec_b64 s[22:23], vcc
; %bb.2173:
	s_mov_b32 s27, 0x7f800001
	s_xor_b64 s[18:19], exec, -1
; %bb.2174:
	s_or_b64 exec, exec, s[22:23]
	s_and_b64 s[18:19], s[18:19], exec
	s_or_saveexec_b64 s[20:21], s[20:21]
	v_mov_b32_e32 v9, s27
	s_xor_b64 exec, exec, s[20:21]
	s_cbranch_execnz .LBB47_2193
.LBB47_2175:
	s_or_b64 exec, exec, s[20:21]
	s_and_saveexec_b64 s[20:21], s[18:19]
	s_cbranch_execz .LBB47_2177
.LBB47_2176:
	v_lshlrev_b32_e32 v9, 24, v7
	v_and_b32_e32 v7, 0xffff, v7
	v_and_b32_e32 v11, 7, v7
	v_ffbh_u32_e32 v16, v11
	v_min_u32_e32 v16, 32, v16
	v_subrev_u32_e32 v17, 28, v16
	v_bfe_u32 v13, v7, 3, 4
	v_lshlrev_b32_e32 v7, v17, v7
	v_sub_u32_e32 v16, 29, v16
	v_and_b32_e32 v7, 7, v7
	v_cmp_eq_u32_e32 vcc, 0, v13
	v_cndmask_b32_e32 v13, v13, v16, vcc
	v_cndmask_b32_e32 v7, v11, v7, vcc
	v_mov_b32_e32 v11, 0x3b800000
	v_lshlrev_b32_e32 v7, 20, v7
	v_and_b32_e32 v9, 0x80000000, v9
	v_lshl_add_u32 v11, v13, 23, v11
	v_or3_b32 v9, v9, v11, v7
.LBB47_2177:
	s_or_b64 exec, exec, s[20:21]
	v_bfe_u32 v7, v9, 16, 1
	s_movk_i32 s18, 0x7fff
	v_add3_u32 v7, v9, v7, s18
	v_lshrrev_b32_e32 v7, 16, v7
	v_mov_b32_e32 v11, 0x7fc0
	v_cmp_o_f32_e32 vcc, v9, v9
	v_cndmask_b32_e32 v16, v11, v7, vcc
.LBB47_2178:
	s_mov_b64 s[18:19], -1
.LBB47_2179:
	s_mov_b64 s[20:21], 0
.LBB47_2180:
	s_and_b64 vcc, exec, s[20:21]
	s_cbranch_vccz .LBB47_2213
; %bb.2181:
	v_mov_b32_e32 v7, 22
	v_cmp_gt_i16_sdwa s[16:17], s25, v7 src0_sel:BYTE_0 src1_sel:DWORD
	s_and_b64 vcc, exec, s[16:17]
	s_cbranch_vccz .LBB47_2191
; %bb.2182:
	v_mov_b32_e32 v7, 24
	v_cmp_lt_i16_sdwa s[16:17], s25, v7 src0_sel:BYTE_0 src1_sel:DWORD
	s_and_b64 vcc, exec, s[16:17]
	s_cbranch_vccnz .LBB47_2194
; %bb.2183:
	v_cmp_gt_i16_sdwa s[16:17], s25, v7 src0_sel:BYTE_0 src1_sel:DWORD
	s_and_b64 vcc, exec, s[16:17]
	s_cbranch_vccz .LBB47_2195
; %bb.2184:
	global_load_ubyte v7, v[14:15], off
	s_movk_i32 s16, 0x7f
                                        ; implicit-def: $sgpr22
	s_waitcnt vmcnt(0)
	v_cmp_lt_i16_e32 vcc, s16, v7
	s_mov_b64 s[16:17], 0
	s_and_saveexec_b64 s[18:19], vcc
	s_xor_b64 s[18:19], exec, s[18:19]
	s_cbranch_execz .LBB47_2207
; %bb.2185:
	s_movk_i32 s16, 0x80
	v_cmp_eq_u16_e32 vcc, s16, v7
	s_mov_b64 s[16:17], -1
                                        ; implicit-def: $sgpr22
	s_and_saveexec_b64 s[20:21], vcc
; %bb.2186:
	s_mov_b32 s22, 0x7f800001
	s_xor_b64 s[16:17], exec, -1
; %bb.2187:
	s_or_b64 exec, exec, s[20:21]
	s_and_b64 s[16:17], s[16:17], exec
	s_or_saveexec_b64 s[18:19], s[18:19]
	v_mov_b32_e32 v9, s22
	s_xor_b64 exec, exec, s[18:19]
	s_cbranch_execnz .LBB47_2208
.LBB47_2188:
	s_or_b64 exec, exec, s[18:19]
	s_and_saveexec_b64 s[18:19], s[16:17]
	s_cbranch_execz .LBB47_2190
.LBB47_2189:
	v_lshlrev_b32_e32 v9, 24, v7
	v_and_b32_e32 v7, 0xffff, v7
	v_and_b32_e32 v11, 3, v7
	v_ffbh_u32_e32 v16, v11
	v_min_u32_e32 v16, 32, v16
	v_subrev_u32_e32 v17, 29, v16
	v_bfe_u32 v13, v7, 2, 5
	v_lshlrev_b32_e32 v7, v17, v7
	v_sub_u32_e32 v16, 30, v16
	v_and_b32_e32 v7, 3, v7
	v_cmp_eq_u32_e32 vcc, 0, v13
	v_cndmask_b32_e32 v13, v13, v16, vcc
	v_cndmask_b32_e32 v7, v11, v7, vcc
	v_mov_b32_e32 v11, 0x37800000
	v_lshlrev_b32_e32 v7, 21, v7
	v_and_b32_e32 v9, 0x80000000, v9
	v_lshl_add_u32 v11, v13, 23, v11
	v_or3_b32 v9, v9, v11, v7
.LBB47_2190:
	s_or_b64 exec, exec, s[18:19]
	v_bfe_u32 v7, v9, 16, 1
	s_movk_i32 s16, 0x7fff
	v_add3_u32 v7, v9, v7, s16
	v_lshrrev_b32_e32 v7, 16, v7
	v_mov_b32_e32 v11, 0x7fc0
	v_cmp_o_f32_e32 vcc, v9, v9
	v_cndmask_b32_e32 v16, v11, v7, vcc
	s_mov_b64 s[16:17], 0
	s_branch .LBB47_2196
.LBB47_2191:
	s_mov_b64 s[16:17], -1
                                        ; implicit-def: $vgpr16
	s_branch .LBB47_2202
.LBB47_2192:
	s_or_saveexec_b64 s[20:21], s[20:21]
	v_mov_b32_e32 v9, s27
	s_xor_b64 exec, exec, s[20:21]
	s_cbranch_execz .LBB47_2175
.LBB47_2193:
	v_cmp_ne_u16_e32 vcc, 0, v7
	s_andn2_b64 s[18:19], s[18:19], exec
	s_and_b64 s[22:23], vcc, exec
	v_mov_b32_e32 v9, 0
	s_or_b64 s[18:19], s[18:19], s[22:23]
	s_or_b64 exec, exec, s[20:21]
	s_and_saveexec_b64 s[20:21], s[18:19]
	s_cbranch_execnz .LBB47_2176
	s_branch .LBB47_2177
.LBB47_2194:
	s_mov_b64 s[16:17], -1
                                        ; implicit-def: $vgpr16
	s_branch .LBB47_2199
.LBB47_2195:
	s_mov_b64 s[16:17], -1
                                        ; implicit-def: $vgpr16
.LBB47_2196:
	s_and_b64 vcc, exec, s[16:17]
	s_cbranch_vccz .LBB47_2198
; %bb.2197:
	global_load_ubyte v7, v[14:15], off
	s_mov_b32 s16, 0x7f800000
	s_brev_b32 s17, 1
	s_movk_i32 s18, 0x7fff
	v_mov_b32_e32 v9, 0x7fc0
	s_waitcnt vmcnt(0)
	v_lshlrev_b32_e32 v7, 24, v7
	v_and_b32_e32 v11, 0x7f000000, v7
	v_ffbh_u32_e32 v13, v11
	v_min_u32_e32 v13, 32, v13
	v_sub_u32_e64 v13, v13, 4 clamp
	v_lshlrev_b32_e32 v17, v13, v11
	v_lshlrev_b32_e32 v13, 23, v13
	v_lshrrev_b32_e32 v17, 4, v17
	v_add_u32_e32 v16, 0x1000000, v11
	v_sub_u32_e32 v13, v17, v13
	v_ashrrev_i32_e32 v16, 8, v16
	v_add_u32_e32 v13, 0x3c000000, v13
	v_and_or_b32 v13, v16, s16, v13
	v_cmp_ne_u32_e32 vcc, 0, v11
	v_cndmask_b32_e32 v11, 0, v13, vcc
	v_and_or_b32 v7, v7, s17, v11
	v_bfe_u32 v11, v11, 16, 1
	v_add3_u32 v11, v7, v11, s18
	v_lshrrev_b32_e32 v11, 16, v11
	v_cmp_o_f32_e32 vcc, v7, v7
	v_cndmask_b32_e32 v16, v9, v11, vcc
.LBB47_2198:
	s_mov_b64 s[16:17], 0
.LBB47_2199:
	s_andn2_b64 vcc, exec, s[16:17]
	s_cbranch_vccnz .LBB47_2201
; %bb.2200:
	global_load_ubyte v7, v[14:15], off
	s_movk_i32 s16, 0x7f00
	s_brev_b32 s17, 16
	s_brev_b32 s18, 1
	s_movk_i32 s19, 0x7fff
	v_mov_b32_e32 v9, 0x7fc0
	s_waitcnt vmcnt(0)
	v_lshlrev_b16_e32 v11, 8, v7
	v_lshlrev_b32_e32 v7, 25, v7
	v_lshrrev_b32_e32 v13, 4, v7
	v_and_or_b32 v16, v11, s16, 0.5
	v_or_b32_e32 v13, 0x70000000, v13
	v_add_f32_e32 v16, -0.5, v16
	v_mul_f32_e32 v13, 0x7800000, v13
	v_cmp_gt_u32_e32 vcc, s17, v7
	v_bfe_i32 v11, v11, 0, 16
	v_cndmask_b32_e32 v7, v13, v16, vcc
	v_and_or_b32 v11, v11, s18, v7
	v_bfe_u32 v7, v7, 16, 1
	v_add3_u32 v7, v11, v7, s19
	v_lshrrev_b32_e32 v7, 16, v7
	v_cmp_o_f32_e32 vcc, v11, v11
	v_cndmask_b32_e32 v16, v9, v7, vcc
.LBB47_2201:
	s_mov_b64 s[16:17], 0
	s_mov_b64 s[18:19], -1
.LBB47_2202:
	s_andn2_b64 vcc, exec, s[16:17]
	s_mov_b64 s[16:17], 0
	s_cbranch_vccnz .LBB47_2213
; %bb.2203:
	v_mov_b32_e32 v7, 14
	v_cmp_gt_i16_sdwa s[16:17], s25, v7 src0_sel:BYTE_0 src1_sel:DWORD
	s_and_b64 vcc, exec, s[16:17]
	s_cbranch_vccz .LBB47_2206
; %bb.2204:
	v_mov_b32_e32 v7, 15
	v_cmp_eq_u16_sdwa s[6:7], s25, v7 src0_sel:BYTE_0 src1_sel:DWORD
	s_and_b64 vcc, exec, s[6:7]
	s_cbranch_vccz .LBB47_2209
; %bb.2205:
	global_load_ushort v16, v[14:15], off
	s_mov_b64 s[6:7], 0
	s_mov_b64 s[18:19], -1
	s_branch .LBB47_2210
.LBB47_2206:
	s_mov_b64 s[20:21], -1
                                        ; implicit-def: $vgpr16
	s_branch .LBB47_2211
.LBB47_2207:
	s_or_saveexec_b64 s[18:19], s[18:19]
	v_mov_b32_e32 v9, s22
	s_xor_b64 exec, exec, s[18:19]
	s_cbranch_execz .LBB47_2188
.LBB47_2208:
	v_cmp_ne_u16_e32 vcc, 0, v7
	s_andn2_b64 s[16:17], s[16:17], exec
	s_and_b64 s[20:21], vcc, exec
	v_mov_b32_e32 v9, 0
	s_or_b64 s[16:17], s[16:17], s[20:21]
	s_or_b64 exec, exec, s[18:19]
	s_and_saveexec_b64 s[18:19], s[16:17]
	s_cbranch_execnz .LBB47_2189
	s_branch .LBB47_2190
.LBB47_2209:
	s_mov_b64 s[6:7], -1
                                        ; implicit-def: $vgpr16
.LBB47_2210:
	s_mov_b64 s[20:21], 0
.LBB47_2211:
	s_mov_b64 s[16:17], 0
	s_and_b64 vcc, exec, s[20:21]
	s_cbranch_vccz .LBB47_2213
; %bb.2212:
	v_mov_b32_e32 v7, 11
	v_cmp_ne_u16_sdwa s[6:7], s25, v7 src0_sel:BYTE_0 src1_sel:DWORD
	s_mov_b64 s[16:17], -1
                                        ; implicit-def: $vgpr16
.LBB47_2213:
	s_and_b64 vcc, exec, s[6:7]
	s_cbranch_vccnz .LBB47_2278
; %bb.2214:
	s_andn2_b64 vcc, exec, s[16:17]
	s_cbranch_vccnz .LBB47_2216
.LBB47_2215:
	global_load_ubyte v7, v[14:15], off
	s_mov_b64 s[18:19], -1
	s_waitcnt vmcnt(0)
	v_cmp_ne_u16_e32 vcc, 0, v7
	v_cndmask_b32_e64 v7, 0, 1.0, vcc
	v_lshrrev_b32_e32 v16, 16, v7
.LBB47_2216:
	s_mov_b64 s[6:7], 0
.LBB47_2217:
	s_and_b64 vcc, exec, s[6:7]
	s_cbranch_vccz .LBB47_2266
; %bb.2218:
	v_mov_b32_e32 v7, 5
	v_cmp_lt_i16_sdwa s[6:7], s25, v7 src0_sel:BYTE_0 src1_sel:DWORD
	s_and_b64 vcc, exec, s[6:7]
	s_cbranch_vccnz .LBB47_2223
; %bb.2219:
	v_mov_b32_e32 v7, 8
	v_cmp_lt_i16_sdwa s[6:7], s25, v7 src0_sel:BYTE_0 src1_sel:DWORD
	s_and_b64 vcc, exec, s[6:7]
	s_cbranch_vccnz .LBB47_2224
	;; [unrolled: 5-line block ×3, first 2 shown]
; %bb.2221:
	v_cmp_gt_i16_sdwa s[6:7], s25, v7 src0_sel:BYTE_0 src1_sel:DWORD
	s_and_b64 vcc, exec, s[6:7]
	s_cbranch_vccz .LBB47_2226
; %bb.2222:
	global_load_dwordx2 v[16:17], v[14:15], off
	s_movk_i32 s6, 0x7fff
	v_mov_b32_e32 v7, 0x7fc0
	s_waitcnt vmcnt(0)
	v_cvt_f32_f64_e32 v9, v[16:17]
	v_bfe_u32 v11, v9, 16, 1
	v_add3_u32 v11, v9, v11, s6
	v_lshrrev_b32_e32 v11, 16, v11
	v_cmp_o_f32_e32 vcc, v9, v9
	v_cndmask_b32_e32 v16, v7, v11, vcc
	s_mov_b64 s[6:7], 0
	s_branch .LBB47_2227
.LBB47_2223:
	s_mov_b64 s[6:7], -1
                                        ; implicit-def: $vgpr16
	s_branch .LBB47_2245
.LBB47_2224:
	s_mov_b64 s[6:7], -1
                                        ; implicit-def: $vgpr16
	s_branch .LBB47_2233
.LBB47_2225:
	s_mov_b64 s[6:7], -1
                                        ; implicit-def: $vgpr16
	s_branch .LBB47_2230
.LBB47_2226:
	s_mov_b64 s[6:7], -1
                                        ; implicit-def: $vgpr16
.LBB47_2227:
	s_andn2_b64 vcc, exec, s[6:7]
	s_cbranch_vccnz .LBB47_2229
; %bb.2228:
	global_load_dword v7, v[14:15], off
	s_movk_i32 s6, 0x7fff
	v_mov_b32_e32 v9, 0x7fc0
	s_waitcnt vmcnt(0)
	v_bfe_u32 v11, v7, 16, 1
	v_add3_u32 v11, v7, v11, s6
	v_lshrrev_b32_e32 v11, 16, v11
	v_cmp_o_f32_e32 vcc, v7, v7
	v_cndmask_b32_e32 v16, v9, v11, vcc
.LBB47_2229:
	s_mov_b64 s[6:7], 0
.LBB47_2230:
	s_andn2_b64 vcc, exec, s[6:7]
	s_cbranch_vccnz .LBB47_2232
; %bb.2231:
	global_load_dword v7, v[14:15], off
	s_movk_i32 s6, 0x7fff
	v_mov_b32_e32 v11, 0x7fc0
	s_waitcnt vmcnt(0)
	v_cvt_f32_f16_e32 v9, v7
	v_cmp_o_f16_e32 vcc, v7, v7
	v_bfe_u32 v13, v9, 16, 1
	v_add3_u32 v9, v9, v13, s6
	v_lshrrev_b32_e32 v9, 16, v9
	v_cndmask_b32_e32 v16, v11, v9, vcc
.LBB47_2232:
	s_mov_b64 s[6:7], 0
.LBB47_2233:
	s_andn2_b64 vcc, exec, s[6:7]
	s_cbranch_vccnz .LBB47_2244
; %bb.2234:
	v_mov_b32_e32 v7, 6
	v_cmp_lt_i16_sdwa s[6:7], s25, v7 src0_sel:BYTE_0 src1_sel:DWORD
	s_and_b64 vcc, exec, s[6:7]
	s_cbranch_vccnz .LBB47_2237
; %bb.2235:
	v_cmp_gt_i16_sdwa s[6:7], s25, v7 src0_sel:BYTE_0 src1_sel:DWORD
	s_and_b64 vcc, exec, s[6:7]
	s_cbranch_vccz .LBB47_2238
; %bb.2236:
	global_load_dwordx2 v[16:17], v[14:15], off
	s_movk_i32 s6, 0x7fff
	v_mov_b32_e32 v7, 0x7fc0
	s_waitcnt vmcnt(0)
	v_cvt_f32_f64_e32 v9, v[16:17]
	v_bfe_u32 v11, v9, 16, 1
	v_add3_u32 v11, v9, v11, s6
	v_lshrrev_b32_e32 v11, 16, v11
	v_cmp_o_f32_e32 vcc, v9, v9
	v_cndmask_b32_e32 v16, v7, v11, vcc
	s_mov_b64 s[6:7], 0
	s_branch .LBB47_2239
.LBB47_2237:
	s_mov_b64 s[6:7], -1
                                        ; implicit-def: $vgpr16
	s_branch .LBB47_2242
.LBB47_2238:
	s_mov_b64 s[6:7], -1
                                        ; implicit-def: $vgpr16
.LBB47_2239:
	s_andn2_b64 vcc, exec, s[6:7]
	s_cbranch_vccnz .LBB47_2241
; %bb.2240:
	global_load_dword v7, v[14:15], off
	s_movk_i32 s6, 0x7fff
	v_mov_b32_e32 v9, 0x7fc0
	s_waitcnt vmcnt(0)
	v_bfe_u32 v11, v7, 16, 1
	v_add3_u32 v11, v7, v11, s6
	v_lshrrev_b32_e32 v11, 16, v11
	v_cmp_o_f32_e32 vcc, v7, v7
	v_cndmask_b32_e32 v16, v9, v11, vcc
.LBB47_2241:
	s_mov_b64 s[6:7], 0
.LBB47_2242:
	s_andn2_b64 vcc, exec, s[6:7]
	s_cbranch_vccnz .LBB47_2244
; %bb.2243:
	global_load_ushort v7, v[14:15], off
	s_movk_i32 s6, 0x7fff
	v_mov_b32_e32 v11, 0x7fc0
	s_waitcnt vmcnt(0)
	v_cvt_f32_f16_e32 v9, v7
	v_cmp_o_f16_e32 vcc, v7, v7
	v_bfe_u32 v13, v9, 16, 1
	v_add3_u32 v9, v9, v13, s6
	v_lshrrev_b32_e32 v9, 16, v9
	v_cndmask_b32_e32 v16, v11, v9, vcc
.LBB47_2244:
	s_mov_b64 s[6:7], 0
.LBB47_2245:
	s_andn2_b64 vcc, exec, s[6:7]
	s_cbranch_vccnz .LBB47_2265
; %bb.2246:
	v_mov_b32_e32 v7, 2
	v_cmp_lt_i16_sdwa s[6:7], s25, v7 src0_sel:BYTE_0 src1_sel:DWORD
	s_and_b64 vcc, exec, s[6:7]
	s_cbranch_vccnz .LBB47_2250
; %bb.2247:
	v_mov_b32_e32 v7, 3
	v_cmp_lt_i16_sdwa s[6:7], s25, v7 src0_sel:BYTE_0 src1_sel:DWORD
	s_and_b64 vcc, exec, s[6:7]
	s_cbranch_vccnz .LBB47_2251
; %bb.2248:
	v_cmp_gt_i16_sdwa s[6:7], s25, v7 src0_sel:BYTE_0 src1_sel:DWORD
	s_and_b64 vcc, exec, s[6:7]
	s_cbranch_vccz .LBB47_2252
; %bb.2249:
	global_load_dwordx2 v[16:17], v[14:15], off
	s_movk_i32 s6, 0x7fff
	s_waitcnt vmcnt(0)
	v_xor_b32_e32 v9, v16, v17
	v_ffbh_i32_e32 v7, v17
	v_ashrrev_i32_e32 v9, 31, v9
	v_add_u32_e32 v7, -1, v7
	v_add_u32_e32 v9, 32, v9
	v_min_u32_e32 v7, v7, v9
	v_lshlrev_b64 v[16:17], v7, v[16:17]
	v_min_u32_e32 v9, 1, v16
	v_or_b32_e32 v9, v17, v9
	v_cvt_f32_i32_e32 v9, v9
	v_sub_u32_e32 v7, 32, v7
	v_ldexp_f32 v7, v9, v7
	v_bfe_u32 v9, v7, 16, 1
	v_add3_u32 v7, v7, v9, s6
	v_lshrrev_b32_e32 v16, 16, v7
	s_mov_b64 s[6:7], 0
	s_branch .LBB47_2253
.LBB47_2250:
	s_mov_b64 s[6:7], -1
                                        ; implicit-def: $vgpr16
	s_branch .LBB47_2259
.LBB47_2251:
	s_mov_b64 s[6:7], -1
                                        ; implicit-def: $vgpr16
	s_branch .LBB47_2256
.LBB47_2252:
	s_mov_b64 s[6:7], -1
                                        ; implicit-def: $vgpr16
.LBB47_2253:
	s_andn2_b64 vcc, exec, s[6:7]
	s_cbranch_vccnz .LBB47_2255
; %bb.2254:
	global_load_dword v7, v[14:15], off
	s_movk_i32 s6, 0x7fff
	s_waitcnt vmcnt(0)
	v_cvt_f32_i32_e32 v7, v7
	v_bfe_u32 v9, v7, 16, 1
	v_add3_u32 v7, v7, v9, s6
	v_lshrrev_b32_e32 v16, 16, v7
.LBB47_2255:
	s_mov_b64 s[6:7], 0
.LBB47_2256:
	s_andn2_b64 vcc, exec, s[6:7]
	s_cbranch_vccnz .LBB47_2258
; %bb.2257:
	global_load_sshort v7, v[14:15], off
	s_movk_i32 s6, 0x7fff
	s_waitcnt vmcnt(0)
	v_cvt_f32_i32_e32 v7, v7
	v_bfe_u32 v9, v7, 16, 1
	v_add3_u32 v7, v7, v9, s6
	v_lshrrev_b32_e32 v16, 16, v7
.LBB47_2258:
	s_mov_b64 s[6:7], 0
.LBB47_2259:
	s_andn2_b64 vcc, exec, s[6:7]
	s_cbranch_vccnz .LBB47_2265
; %bb.2260:
	v_mov_b32_e32 v7, 0
	v_cmp_gt_i16_sdwa s[6:7], s25, v7 src0_sel:BYTE_0 src1_sel:DWORD
	s_and_b64 vcc, exec, s[6:7]
	s_cbranch_vccz .LBB47_2262
; %bb.2261:
	global_load_sbyte v7, v[14:15], off
	s_movk_i32 s6, 0x7fff
	s_waitcnt vmcnt(0)
	v_cvt_f32_i32_e32 v7, v7
	v_bfe_u32 v9, v7, 16, 1
	v_add3_u32 v7, v7, v9, s6
	v_lshrrev_b32_e32 v16, 16, v7
	s_mov_b64 s[6:7], 0
	s_branch .LBB47_2263
.LBB47_2262:
	s_mov_b64 s[6:7], -1
                                        ; implicit-def: $vgpr16
.LBB47_2263:
	s_andn2_b64 vcc, exec, s[6:7]
	s_cbranch_vccnz .LBB47_2265
; %bb.2264:
	global_load_ubyte v7, v[14:15], off
	s_movk_i32 s6, 0x7fff
	s_waitcnt vmcnt(0)
	v_cvt_f32_ubyte0_e32 v7, v7
	v_bfe_u32 v9, v7, 16, 1
	v_add3_u32 v7, v7, v9, s6
	v_lshrrev_b32_e32 v16, 16, v7
.LBB47_2265:
	s_mov_b64 s[18:19], -1
.LBB47_2266:
	s_andn2_b64 vcc, exec, s[18:19]
	s_cbranch_vccnz .LBB47_3112
; %bb.2267:
	v_mov_b32_e32 v7, s1
	v_add_co_u32_e32 v12, vcc, s0, v12
	v_addc_co_u32_e32 v13, vcc, 0, v7, vcc
	s_and_b64 vcc, exec, s[2:3]
	s_cbranch_vccnz .LBB47_2274
; %bb.2268:
	v_cmp_gt_i16_e64 s[6:7], s26, 25
	s_mov_b64 s[16:17], 0
	s_and_b64 vcc, exec, s[6:7]
	s_cbranch_vccz .LBB47_2275
; %bb.2269:
	v_cmp_gt_i16_e64 s[6:7], s26, 28
	s_and_b64 vcc, exec, s[6:7]
	s_cbranch_vccz .LBB47_2276
; %bb.2270:
	v_cmp_gt_i16_e64 s[6:7], s26, 43
	;; [unrolled: 4-line block ×3, first 2 shown]
	s_and_b64 vcc, exec, s[6:7]
	s_cbranch_vccz .LBB47_2279
; %bb.2272:
	v_cmp_eq_u16_e64 s[6:7], s26, 46
	s_mov_b64 s[20:21], 0
	s_and_b64 vcc, exec, s[6:7]
	s_cbranch_vccz .LBB47_2282
; %bb.2273:
	global_load_dword v14, v[12:13], off
	s_mov_b64 s[6:7], 0
	s_mov_b64 s[18:19], -1
	s_branch .LBB47_2283
.LBB47_2274:
	s_mov_b64 s[6:7], -1
	s_mov_b64 s[18:19], 0
                                        ; implicit-def: $vgpr14
	s_branch .LBB47_2349
.LBB47_2275:
	s_mov_b64 s[20:21], -1
	s_mov_b64 s[18:19], 0
	s_mov_b64 s[6:7], 0
                                        ; implicit-def: $vgpr14
	s_branch .LBB47_2312
.LBB47_2276:
	s_mov_b64 s[20:21], -1
	s_mov_b64 s[18:19], 0
	s_mov_b64 s[6:7], 0
                                        ; implicit-def: $vgpr14
	s_branch .LBB47_2293
.LBB47_2277:
	s_mov_b64 s[20:21], -1
	s_mov_b64 s[18:19], 0
	s_mov_b64 s[6:7], 0
                                        ; implicit-def: $vgpr14
	s_branch .LBB47_2288
.LBB47_2278:
	s_trap 2
	s_or_b64 s[4:5], s[4:5], exec
                                        ; implicit-def: $vgpr16
	s_cbranch_execz .LBB47_2215
	s_branch .LBB47_2216
.LBB47_2279:
	s_mov_b64 s[20:21], -1
	s_mov_b64 s[18:19], 0
	s_mov_b64 s[6:7], 0
                                        ; implicit-def: $vgpr14
	s_branch .LBB47_2283
.LBB47_2280:
	s_or_saveexec_b64 s[62:63], s[62:63]
                                        ; implicit-def: $sgpr64
	s_xor_b64 exec, exec, s[62:63]
	s_cbranch_execz .LBB47_1116
.LBB47_2281:
	s_mov_b32 s64, 0x42800000
	v_add_f32_e64 v5, |v10|, s64
	v_and_b32_e32 v5, 0xff, v5
	v_cmp_ne_u32_e32 vcc, 0, v5
	s_andn2_b64 s[60:61], s[60:61], exec
	s_and_b64 s[70:71], vcc, exec
	s_mov_b32 s64, 0
	s_or_b64 s[60:61], s[60:61], s[70:71]
	s_or_b64 exec, exec, s[62:63]
	v_mov_b32_e32 v11, s64
	s_and_saveexec_b64 s[62:63], s[60:61]
	s_cbranch_execnz .LBB47_1117
	s_branch .LBB47_1118
.LBB47_2282:
	s_mov_b64 s[6:7], -1
                                        ; implicit-def: $vgpr14
	s_mov_b64 s[18:19], 0
.LBB47_2283:
	s_and_b64 vcc, exec, s[20:21]
	s_cbranch_vccz .LBB47_2287
; %bb.2284:
	v_cmp_eq_u16_e64 s[6:7], s26, 44
	s_and_b64 vcc, exec, s[6:7]
	s_cbranch_vccz .LBB47_2286
; %bb.2285:
	global_load_ubyte v7, v[12:13], off
	s_movk_i32 s18, 0xff
	v_mov_b32_e32 v9, 0x7f800001
	v_mov_b32_e32 v11, 0x400000
	s_waitcnt vmcnt(1)
	v_mov_b32_e32 v14, 0x7fc0
	s_mov_b64 s[6:7], 0
	s_waitcnt vmcnt(0)
	v_lshlrev_b32_e32 v15, 23, v7
	v_cmp_ne_u32_e32 vcc, s18, v7
	v_cndmask_b32_e32 v9, v9, v15, vcc
	v_cmp_ne_u32_e32 vcc, 0, v7
	v_cndmask_b32_e32 v7, v11, v9, vcc
	v_add_u32_e32 v9, 0x7fff, v7
	v_lshrrev_b32_e32 v9, 16, v9
	v_cmp_o_f32_e32 vcc, v7, v7
	v_cndmask_b32_e32 v14, v14, v9, vcc
	s_mov_b64 s[18:19], -1
	s_branch .LBB47_2287
.LBB47_2286:
	s_mov_b64 s[6:7], -1
                                        ; implicit-def: $vgpr14
.LBB47_2287:
	s_mov_b64 s[20:21], 0
.LBB47_2288:
	s_and_b64 vcc, exec, s[20:21]
	s_cbranch_vccz .LBB47_2292
; %bb.2289:
	v_cmp_eq_u16_e64 s[6:7], s26, 29
	s_and_b64 vcc, exec, s[6:7]
	s_cbranch_vccz .LBB47_2291
; %bb.2290:
	global_load_dwordx2 v[14:15], v[12:13], off
	s_movk_i32 s18, 0x7fff
	s_mov_b64 s[6:7], 0
	s_mov_b64 s[20:21], 0
	s_waitcnt vmcnt(0)
	v_ffbh_u32_e32 v7, v15
	v_min_u32_e32 v7, 32, v7
	v_lshlrev_b64 v[14:15], v7, v[14:15]
	v_min_u32_e32 v9, 1, v14
	v_or_b32_e32 v9, v15, v9
	v_cvt_f32_u32_e32 v9, v9
	v_sub_u32_e32 v7, 32, v7
	v_ldexp_f32 v7, v9, v7
	v_bfe_u32 v9, v7, 16, 1
	v_add3_u32 v7, v7, v9, s18
	v_lshrrev_b32_e32 v14, 16, v7
	s_mov_b64 s[18:19], -1
	s_branch .LBB47_2293
.LBB47_2291:
	s_mov_b64 s[6:7], -1
                                        ; implicit-def: $vgpr14
.LBB47_2292:
	s_mov_b64 s[20:21], 0
.LBB47_2293:
	s_and_b64 vcc, exec, s[20:21]
	s_cbranch_vccz .LBB47_2311
; %bb.2294:
	v_cmp_lt_i16_e64 s[18:19], s26, 27
	s_and_b64 vcc, exec, s[18:19]
	s_cbranch_vccnz .LBB47_2297
; %bb.2295:
	v_cmp_gt_i16_e64 s[18:19], s26, 27
	s_and_b64 vcc, exec, s[18:19]
	s_cbranch_vccz .LBB47_2298
; %bb.2296:
	global_load_dword v7, v[12:13], off
	s_movk_i32 s18, 0x7fff
	s_waitcnt vmcnt(0)
	v_cvt_f32_u32_e32 v7, v7
	v_bfe_u32 v9, v7, 16, 1
	v_add3_u32 v7, v7, v9, s18
	v_lshrrev_b32_e32 v14, 16, v7
	s_mov_b64 s[18:19], 0
	s_branch .LBB47_2299
.LBB47_2297:
	s_mov_b64 s[18:19], -1
                                        ; implicit-def: $vgpr14
	s_branch .LBB47_2302
.LBB47_2298:
	s_mov_b64 s[18:19], -1
                                        ; implicit-def: $vgpr14
.LBB47_2299:
	s_andn2_b64 vcc, exec, s[18:19]
	s_cbranch_vccnz .LBB47_2301
; %bb.2300:
	global_load_ushort v7, v[12:13], off
	s_movk_i32 s18, 0x7fff
	s_waitcnt vmcnt(0)
	v_cvt_f32_u32_e32 v7, v7
	v_bfe_u32 v9, v7, 16, 1
	v_add3_u32 v7, v7, v9, s18
	v_lshrrev_b32_e32 v14, 16, v7
.LBB47_2301:
	s_mov_b64 s[18:19], 0
.LBB47_2302:
	s_andn2_b64 vcc, exec, s[18:19]
	s_cbranch_vccnz .LBB47_2310
; %bb.2303:
	global_load_ubyte v7, v[12:13], off
	s_movk_i32 s18, 0x7f
                                        ; implicit-def: $sgpr27
	s_waitcnt vmcnt(0)
	v_cmp_lt_i16_e32 vcc, s18, v7
	s_mov_b64 s[18:19], 0
	s_and_saveexec_b64 s[20:21], vcc
	s_xor_b64 s[20:21], exec, s[20:21]
	s_cbranch_execz .LBB47_2324
; %bb.2304:
	s_movk_i32 s18, 0x80
	v_cmp_eq_u16_e32 vcc, s18, v7
	s_mov_b64 s[18:19], -1
                                        ; implicit-def: $sgpr27
	s_and_saveexec_b64 s[22:23], vcc
; %bb.2305:
	s_mov_b32 s27, 0x7f800001
	s_xor_b64 s[18:19], exec, -1
; %bb.2306:
	s_or_b64 exec, exec, s[22:23]
	s_and_b64 s[18:19], s[18:19], exec
	s_or_saveexec_b64 s[20:21], s[20:21]
	v_mov_b32_e32 v9, s27
	s_xor_b64 exec, exec, s[20:21]
	s_cbranch_execnz .LBB47_2325
.LBB47_2307:
	s_or_b64 exec, exec, s[20:21]
	s_and_saveexec_b64 s[20:21], s[18:19]
	s_cbranch_execz .LBB47_2309
.LBB47_2308:
	v_lshlrev_b32_e32 v9, 24, v7
	v_and_b32_e32 v7, 0xffff, v7
	v_and_b32_e32 v11, 7, v7
	v_ffbh_u32_e32 v15, v11
	v_min_u32_e32 v15, 32, v15
	v_subrev_u32_e32 v17, 28, v15
	v_bfe_u32 v14, v7, 3, 4
	v_lshlrev_b32_e32 v7, v17, v7
	v_sub_u32_e32 v15, 29, v15
	v_and_b32_e32 v7, 7, v7
	v_cmp_eq_u32_e32 vcc, 0, v14
	v_cndmask_b32_e32 v14, v14, v15, vcc
	v_cndmask_b32_e32 v7, v11, v7, vcc
	v_mov_b32_e32 v11, 0x3b800000
	v_lshlrev_b32_e32 v7, 20, v7
	v_and_b32_e32 v9, 0x80000000, v9
	v_lshl_add_u32 v11, v14, 23, v11
	v_or3_b32 v9, v9, v11, v7
.LBB47_2309:
	s_or_b64 exec, exec, s[20:21]
	v_bfe_u32 v7, v9, 16, 1
	s_movk_i32 s18, 0x7fff
	v_add3_u32 v7, v9, v7, s18
	v_lshrrev_b32_e32 v7, 16, v7
	v_mov_b32_e32 v11, 0x7fc0
	v_cmp_o_f32_e32 vcc, v9, v9
	v_cndmask_b32_e32 v14, v11, v7, vcc
.LBB47_2310:
	s_mov_b64 s[18:19], -1
.LBB47_2311:
	s_mov_b64 s[20:21], 0
.LBB47_2312:
	s_and_b64 vcc, exec, s[20:21]
	s_cbranch_vccz .LBB47_2345
; %bb.2313:
	v_cmp_gt_i16_e64 s[16:17], s26, 22
	s_and_b64 vcc, exec, s[16:17]
	s_cbranch_vccz .LBB47_2323
; %bb.2314:
	v_cmp_lt_i16_e64 s[16:17], s26, 24
	s_and_b64 vcc, exec, s[16:17]
	s_cbranch_vccnz .LBB47_2326
; %bb.2315:
	v_cmp_gt_i16_e64 s[16:17], s26, 24
	s_and_b64 vcc, exec, s[16:17]
	s_cbranch_vccz .LBB47_2327
; %bb.2316:
	global_load_ubyte v7, v[12:13], off
	s_movk_i32 s16, 0x7f
                                        ; implicit-def: $sgpr22
	s_waitcnt vmcnt(0)
	v_cmp_lt_i16_e32 vcc, s16, v7
	s_mov_b64 s[16:17], 0
	s_and_saveexec_b64 s[18:19], vcc
	s_xor_b64 s[18:19], exec, s[18:19]
	s_cbranch_execz .LBB47_2339
; %bb.2317:
	s_movk_i32 s16, 0x80
	v_cmp_eq_u16_e32 vcc, s16, v7
	s_mov_b64 s[16:17], -1
                                        ; implicit-def: $sgpr22
	s_and_saveexec_b64 s[20:21], vcc
; %bb.2318:
	s_mov_b32 s22, 0x7f800001
	s_xor_b64 s[16:17], exec, -1
; %bb.2319:
	s_or_b64 exec, exec, s[20:21]
	s_and_b64 s[16:17], s[16:17], exec
	s_or_saveexec_b64 s[18:19], s[18:19]
	v_mov_b32_e32 v9, s22
	s_xor_b64 exec, exec, s[18:19]
	s_cbranch_execnz .LBB47_2340
.LBB47_2320:
	s_or_b64 exec, exec, s[18:19]
	s_and_saveexec_b64 s[18:19], s[16:17]
	s_cbranch_execz .LBB47_2322
.LBB47_2321:
	v_lshlrev_b32_e32 v9, 24, v7
	v_and_b32_e32 v7, 0xffff, v7
	v_and_b32_e32 v11, 3, v7
	v_ffbh_u32_e32 v15, v11
	v_min_u32_e32 v15, 32, v15
	v_subrev_u32_e32 v17, 29, v15
	v_bfe_u32 v14, v7, 2, 5
	v_lshlrev_b32_e32 v7, v17, v7
	v_sub_u32_e32 v15, 30, v15
	v_and_b32_e32 v7, 3, v7
	v_cmp_eq_u32_e32 vcc, 0, v14
	v_cndmask_b32_e32 v14, v14, v15, vcc
	v_cndmask_b32_e32 v7, v11, v7, vcc
	v_mov_b32_e32 v11, 0x37800000
	v_lshlrev_b32_e32 v7, 21, v7
	v_and_b32_e32 v9, 0x80000000, v9
	v_lshl_add_u32 v11, v14, 23, v11
	v_or3_b32 v9, v9, v11, v7
.LBB47_2322:
	s_or_b64 exec, exec, s[18:19]
	v_bfe_u32 v7, v9, 16, 1
	s_movk_i32 s16, 0x7fff
	v_add3_u32 v7, v9, v7, s16
	v_lshrrev_b32_e32 v7, 16, v7
	v_mov_b32_e32 v11, 0x7fc0
	v_cmp_o_f32_e32 vcc, v9, v9
	v_cndmask_b32_e32 v14, v11, v7, vcc
	s_mov_b64 s[16:17], 0
	s_branch .LBB47_2328
.LBB47_2323:
	s_mov_b64 s[16:17], -1
                                        ; implicit-def: $vgpr14
	s_branch .LBB47_2334
.LBB47_2324:
	s_or_saveexec_b64 s[20:21], s[20:21]
	v_mov_b32_e32 v9, s27
	s_xor_b64 exec, exec, s[20:21]
	s_cbranch_execz .LBB47_2307
.LBB47_2325:
	v_cmp_ne_u16_e32 vcc, 0, v7
	s_andn2_b64 s[18:19], s[18:19], exec
	s_and_b64 s[22:23], vcc, exec
	v_mov_b32_e32 v9, 0
	s_or_b64 s[18:19], s[18:19], s[22:23]
	s_or_b64 exec, exec, s[20:21]
	s_and_saveexec_b64 s[20:21], s[18:19]
	s_cbranch_execnz .LBB47_2308
	s_branch .LBB47_2309
.LBB47_2326:
	s_mov_b64 s[16:17], -1
                                        ; implicit-def: $vgpr14
	s_branch .LBB47_2331
.LBB47_2327:
	s_mov_b64 s[16:17], -1
                                        ; implicit-def: $vgpr14
.LBB47_2328:
	s_and_b64 vcc, exec, s[16:17]
	s_cbranch_vccz .LBB47_2330
; %bb.2329:
	global_load_ubyte v7, v[12:13], off
	s_mov_b32 s16, 0x7f800000
	s_brev_b32 s17, 1
	s_movk_i32 s18, 0x7fff
	v_mov_b32_e32 v9, 0x7fc0
	s_waitcnt vmcnt(0)
	v_lshlrev_b32_e32 v7, 24, v7
	v_and_b32_e32 v11, 0x7f000000, v7
	v_ffbh_u32_e32 v14, v11
	v_min_u32_e32 v14, 32, v14
	v_sub_u32_e64 v14, v14, 4 clamp
	v_lshlrev_b32_e32 v17, v14, v11
	v_lshlrev_b32_e32 v14, 23, v14
	v_lshrrev_b32_e32 v17, 4, v17
	v_add_u32_e32 v15, 0x1000000, v11
	v_sub_u32_e32 v14, v17, v14
	v_ashrrev_i32_e32 v15, 8, v15
	v_add_u32_e32 v14, 0x3c000000, v14
	v_and_or_b32 v14, v15, s16, v14
	v_cmp_ne_u32_e32 vcc, 0, v11
	v_cndmask_b32_e32 v11, 0, v14, vcc
	v_and_or_b32 v7, v7, s17, v11
	v_bfe_u32 v11, v11, 16, 1
	v_add3_u32 v11, v7, v11, s18
	v_lshrrev_b32_e32 v11, 16, v11
	v_cmp_o_f32_e32 vcc, v7, v7
	v_cndmask_b32_e32 v14, v9, v11, vcc
.LBB47_2330:
	s_mov_b64 s[16:17], 0
.LBB47_2331:
	s_andn2_b64 vcc, exec, s[16:17]
	s_cbranch_vccnz .LBB47_2333
; %bb.2332:
	global_load_ubyte v7, v[12:13], off
	s_movk_i32 s16, 0x7f00
	s_brev_b32 s17, 16
	s_brev_b32 s18, 1
	s_movk_i32 s19, 0x7fff
	v_mov_b32_e32 v9, 0x7fc0
	s_waitcnt vmcnt(0)
	v_lshlrev_b16_e32 v11, 8, v7
	v_lshlrev_b32_e32 v7, 25, v7
	v_lshrrev_b32_e32 v14, 4, v7
	v_and_or_b32 v15, v11, s16, 0.5
	v_or_b32_e32 v14, 0x70000000, v14
	v_add_f32_e32 v15, -0.5, v15
	v_mul_f32_e32 v14, 0x7800000, v14
	v_cmp_gt_u32_e32 vcc, s17, v7
	v_bfe_i32 v11, v11, 0, 16
	v_cndmask_b32_e32 v7, v14, v15, vcc
	v_and_or_b32 v11, v11, s18, v7
	v_bfe_u32 v7, v7, 16, 1
	v_add3_u32 v7, v11, v7, s19
	v_lshrrev_b32_e32 v7, 16, v7
	v_cmp_o_f32_e32 vcc, v11, v11
	v_cndmask_b32_e32 v14, v9, v7, vcc
.LBB47_2333:
	s_mov_b64 s[16:17], 0
	s_mov_b64 s[18:19], -1
.LBB47_2334:
	s_andn2_b64 vcc, exec, s[16:17]
	s_mov_b64 s[16:17], 0
	s_cbranch_vccnz .LBB47_2345
; %bb.2335:
	v_cmp_gt_i16_e64 s[16:17], s26, 14
	s_and_b64 vcc, exec, s[16:17]
	s_cbranch_vccz .LBB47_2338
; %bb.2336:
	v_cmp_eq_u16_e64 s[6:7], s26, 15
	s_and_b64 vcc, exec, s[6:7]
	s_cbranch_vccz .LBB47_2341
; %bb.2337:
	global_load_ushort v14, v[12:13], off
	s_mov_b64 s[6:7], 0
	s_mov_b64 s[18:19], -1
	s_branch .LBB47_2342
.LBB47_2338:
	s_mov_b64 s[20:21], -1
                                        ; implicit-def: $vgpr14
	s_branch .LBB47_2343
.LBB47_2339:
	s_or_saveexec_b64 s[18:19], s[18:19]
	v_mov_b32_e32 v9, s22
	s_xor_b64 exec, exec, s[18:19]
	s_cbranch_execz .LBB47_2320
.LBB47_2340:
	v_cmp_ne_u16_e32 vcc, 0, v7
	s_andn2_b64 s[16:17], s[16:17], exec
	s_and_b64 s[20:21], vcc, exec
	v_mov_b32_e32 v9, 0
	s_or_b64 s[16:17], s[16:17], s[20:21]
	s_or_b64 exec, exec, s[18:19]
	s_and_saveexec_b64 s[18:19], s[16:17]
	s_cbranch_execnz .LBB47_2321
	s_branch .LBB47_2322
.LBB47_2341:
	s_mov_b64 s[6:7], -1
                                        ; implicit-def: $vgpr14
.LBB47_2342:
	s_mov_b64 s[20:21], 0
.LBB47_2343:
	s_mov_b64 s[16:17], 0
	s_and_b64 vcc, exec, s[20:21]
	s_cbranch_vccz .LBB47_2345
; %bb.2344:
	v_cmp_ne_u16_e64 s[6:7], s26, 11
	s_mov_b64 s[16:17], -1
                                        ; implicit-def: $vgpr14
.LBB47_2345:
	s_and_b64 vcc, exec, s[6:7]
	s_cbranch_vccnz .LBB47_2410
; %bb.2346:
	s_andn2_b64 vcc, exec, s[16:17]
	s_cbranch_vccnz .LBB47_2348
.LBB47_2347:
	global_load_ubyte v7, v[12:13], off
	s_mov_b64 s[18:19], -1
	s_waitcnt vmcnt(0)
	v_cmp_ne_u16_e32 vcc, 0, v7
	v_cndmask_b32_e64 v7, 0, 1.0, vcc
	v_lshrrev_b32_e32 v14, 16, v7
.LBB47_2348:
	s_mov_b64 s[6:7], 0
.LBB47_2349:
	s_and_b64 vcc, exec, s[6:7]
	s_cbranch_vccz .LBB47_2398
; %bb.2350:
	v_cmp_lt_i16_e64 s[6:7], s26, 5
	s_and_b64 vcc, exec, s[6:7]
	s_cbranch_vccnz .LBB47_2355
; %bb.2351:
	v_cmp_lt_i16_e64 s[6:7], s26, 8
	s_and_b64 vcc, exec, s[6:7]
	s_cbranch_vccnz .LBB47_2356
	;; [unrolled: 4-line block ×3, first 2 shown]
; %bb.2353:
	v_cmp_gt_i16_e64 s[6:7], s26, 9
	s_and_b64 vcc, exec, s[6:7]
	s_cbranch_vccz .LBB47_2358
; %bb.2354:
	global_load_dwordx2 v[14:15], v[12:13], off
	s_movk_i32 s6, 0x7fff
	v_mov_b32_e32 v7, 0x7fc0
	s_waitcnt vmcnt(0)
	v_cvt_f32_f64_e32 v9, v[14:15]
	v_bfe_u32 v11, v9, 16, 1
	v_add3_u32 v11, v9, v11, s6
	v_lshrrev_b32_e32 v11, 16, v11
	v_cmp_o_f32_e32 vcc, v9, v9
	v_cndmask_b32_e32 v14, v7, v11, vcc
	s_mov_b64 s[6:7], 0
	s_branch .LBB47_2359
.LBB47_2355:
	s_mov_b64 s[6:7], -1
                                        ; implicit-def: $vgpr14
	s_branch .LBB47_2377
.LBB47_2356:
	s_mov_b64 s[6:7], -1
                                        ; implicit-def: $vgpr14
	s_branch .LBB47_2365
.LBB47_2357:
	s_mov_b64 s[6:7], -1
                                        ; implicit-def: $vgpr14
	s_branch .LBB47_2362
.LBB47_2358:
	s_mov_b64 s[6:7], -1
                                        ; implicit-def: $vgpr14
.LBB47_2359:
	s_andn2_b64 vcc, exec, s[6:7]
	s_cbranch_vccnz .LBB47_2361
; %bb.2360:
	global_load_dword v7, v[12:13], off
	s_movk_i32 s6, 0x7fff
	v_mov_b32_e32 v9, 0x7fc0
	s_waitcnt vmcnt(0)
	v_bfe_u32 v11, v7, 16, 1
	v_add3_u32 v11, v7, v11, s6
	v_lshrrev_b32_e32 v11, 16, v11
	v_cmp_o_f32_e32 vcc, v7, v7
	v_cndmask_b32_e32 v14, v9, v11, vcc
.LBB47_2361:
	s_mov_b64 s[6:7], 0
.LBB47_2362:
	s_andn2_b64 vcc, exec, s[6:7]
	s_cbranch_vccnz .LBB47_2364
; %bb.2363:
	global_load_dword v7, v[12:13], off
	s_movk_i32 s6, 0x7fff
	v_mov_b32_e32 v11, 0x7fc0
	s_waitcnt vmcnt(0)
	v_cvt_f32_f16_e32 v9, v7
	v_cmp_o_f16_e32 vcc, v7, v7
	v_bfe_u32 v14, v9, 16, 1
	v_add3_u32 v9, v9, v14, s6
	v_lshrrev_b32_e32 v9, 16, v9
	v_cndmask_b32_e32 v14, v11, v9, vcc
.LBB47_2364:
	s_mov_b64 s[6:7], 0
.LBB47_2365:
	s_andn2_b64 vcc, exec, s[6:7]
	s_cbranch_vccnz .LBB47_2376
; %bb.2366:
	v_cmp_lt_i16_e64 s[6:7], s26, 6
	s_and_b64 vcc, exec, s[6:7]
	s_cbranch_vccnz .LBB47_2369
; %bb.2367:
	v_cmp_gt_i16_e64 s[6:7], s26, 6
	s_and_b64 vcc, exec, s[6:7]
	s_cbranch_vccz .LBB47_2370
; %bb.2368:
	global_load_dwordx2 v[14:15], v[12:13], off
	s_movk_i32 s6, 0x7fff
	v_mov_b32_e32 v7, 0x7fc0
	s_waitcnt vmcnt(0)
	v_cvt_f32_f64_e32 v9, v[14:15]
	v_bfe_u32 v11, v9, 16, 1
	v_add3_u32 v11, v9, v11, s6
	v_lshrrev_b32_e32 v11, 16, v11
	v_cmp_o_f32_e32 vcc, v9, v9
	v_cndmask_b32_e32 v14, v7, v11, vcc
	s_mov_b64 s[6:7], 0
	s_branch .LBB47_2371
.LBB47_2369:
	s_mov_b64 s[6:7], -1
                                        ; implicit-def: $vgpr14
	s_branch .LBB47_2374
.LBB47_2370:
	s_mov_b64 s[6:7], -1
                                        ; implicit-def: $vgpr14
.LBB47_2371:
	s_andn2_b64 vcc, exec, s[6:7]
	s_cbranch_vccnz .LBB47_2373
; %bb.2372:
	global_load_dword v7, v[12:13], off
	s_movk_i32 s6, 0x7fff
	v_mov_b32_e32 v9, 0x7fc0
	s_waitcnt vmcnt(0)
	v_bfe_u32 v11, v7, 16, 1
	v_add3_u32 v11, v7, v11, s6
	v_lshrrev_b32_e32 v11, 16, v11
	v_cmp_o_f32_e32 vcc, v7, v7
	v_cndmask_b32_e32 v14, v9, v11, vcc
.LBB47_2373:
	s_mov_b64 s[6:7], 0
.LBB47_2374:
	s_andn2_b64 vcc, exec, s[6:7]
	s_cbranch_vccnz .LBB47_2376
; %bb.2375:
	global_load_ushort v7, v[12:13], off
	s_movk_i32 s6, 0x7fff
	v_mov_b32_e32 v11, 0x7fc0
	s_waitcnt vmcnt(0)
	v_cvt_f32_f16_e32 v9, v7
	v_cmp_o_f16_e32 vcc, v7, v7
	v_bfe_u32 v14, v9, 16, 1
	v_add3_u32 v9, v9, v14, s6
	v_lshrrev_b32_e32 v9, 16, v9
	v_cndmask_b32_e32 v14, v11, v9, vcc
.LBB47_2376:
	s_mov_b64 s[6:7], 0
.LBB47_2377:
	s_andn2_b64 vcc, exec, s[6:7]
	s_cbranch_vccnz .LBB47_2397
; %bb.2378:
	v_cmp_lt_i16_e64 s[6:7], s26, 2
	s_and_b64 vcc, exec, s[6:7]
	s_cbranch_vccnz .LBB47_2382
; %bb.2379:
	v_cmp_lt_i16_e64 s[6:7], s26, 3
	s_and_b64 vcc, exec, s[6:7]
	s_cbranch_vccnz .LBB47_2383
; %bb.2380:
	v_cmp_gt_i16_e64 s[6:7], s26, 3
	s_and_b64 vcc, exec, s[6:7]
	s_cbranch_vccz .LBB47_2384
; %bb.2381:
	global_load_dwordx2 v[14:15], v[12:13], off
	s_movk_i32 s6, 0x7fff
	s_waitcnt vmcnt(0)
	v_xor_b32_e32 v9, v14, v15
	v_ffbh_i32_e32 v7, v15
	v_ashrrev_i32_e32 v9, 31, v9
	v_add_u32_e32 v7, -1, v7
	v_add_u32_e32 v9, 32, v9
	v_min_u32_e32 v7, v7, v9
	v_lshlrev_b64 v[14:15], v7, v[14:15]
	v_min_u32_e32 v9, 1, v14
	v_or_b32_e32 v9, v15, v9
	v_cvt_f32_i32_e32 v9, v9
	v_sub_u32_e32 v7, 32, v7
	v_ldexp_f32 v7, v9, v7
	v_bfe_u32 v9, v7, 16, 1
	v_add3_u32 v7, v7, v9, s6
	v_lshrrev_b32_e32 v14, 16, v7
	s_mov_b64 s[6:7], 0
	s_branch .LBB47_2385
.LBB47_2382:
	s_mov_b64 s[6:7], -1
                                        ; implicit-def: $vgpr14
	s_branch .LBB47_2391
.LBB47_2383:
	s_mov_b64 s[6:7], -1
                                        ; implicit-def: $vgpr14
	s_branch .LBB47_2388
.LBB47_2384:
	s_mov_b64 s[6:7], -1
                                        ; implicit-def: $vgpr14
.LBB47_2385:
	s_andn2_b64 vcc, exec, s[6:7]
	s_cbranch_vccnz .LBB47_2387
; %bb.2386:
	global_load_dword v7, v[12:13], off
	s_movk_i32 s6, 0x7fff
	s_waitcnt vmcnt(0)
	v_cvt_f32_i32_e32 v7, v7
	v_bfe_u32 v9, v7, 16, 1
	v_add3_u32 v7, v7, v9, s6
	v_lshrrev_b32_e32 v14, 16, v7
.LBB47_2387:
	s_mov_b64 s[6:7], 0
.LBB47_2388:
	s_andn2_b64 vcc, exec, s[6:7]
	s_cbranch_vccnz .LBB47_2390
; %bb.2389:
	global_load_sshort v7, v[12:13], off
	s_movk_i32 s6, 0x7fff
	s_waitcnt vmcnt(0)
	v_cvt_f32_i32_e32 v7, v7
	v_bfe_u32 v9, v7, 16, 1
	v_add3_u32 v7, v7, v9, s6
	v_lshrrev_b32_e32 v14, 16, v7
.LBB47_2390:
	s_mov_b64 s[6:7], 0
.LBB47_2391:
	s_andn2_b64 vcc, exec, s[6:7]
	s_cbranch_vccnz .LBB47_2397
; %bb.2392:
	v_cmp_gt_i16_e64 s[6:7], s26, 0
	s_and_b64 vcc, exec, s[6:7]
	s_cbranch_vccz .LBB47_2394
; %bb.2393:
	global_load_sbyte v7, v[12:13], off
	s_movk_i32 s6, 0x7fff
	s_waitcnt vmcnt(0)
	v_cvt_f32_i32_e32 v7, v7
	v_bfe_u32 v9, v7, 16, 1
	v_add3_u32 v7, v7, v9, s6
	v_lshrrev_b32_e32 v14, 16, v7
	s_mov_b64 s[6:7], 0
	s_branch .LBB47_2395
.LBB47_2394:
	s_mov_b64 s[6:7], -1
                                        ; implicit-def: $vgpr14
.LBB47_2395:
	s_andn2_b64 vcc, exec, s[6:7]
	s_cbranch_vccnz .LBB47_2397
; %bb.2396:
	global_load_ubyte v7, v[12:13], off
	s_movk_i32 s6, 0x7fff
	s_waitcnt vmcnt(0)
	v_cvt_f32_ubyte0_e32 v7, v7
	v_bfe_u32 v9, v7, 16, 1
	v_add3_u32 v7, v7, v9, s6
	v_lshrrev_b32_e32 v14, 16, v7
.LBB47_2397:
	s_mov_b64 s[18:19], -1
.LBB47_2398:
	s_andn2_b64 vcc, exec, s[18:19]
	s_cbranch_vccnz .LBB47_3112
; %bb.2399:
	v_mov_b32_e32 v7, s11
	v_add_co_u32_e32 v10, vcc, s10, v10
	v_addc_co_u32_e32 v11, vcc, 0, v7, vcc
	v_mov_b32_e32 v7, 11
	v_cmp_lt_i16_sdwa s[6:7], s25, v7 src0_sel:BYTE_0 src1_sel:DWORD
	s_and_b64 vcc, exec, s[6:7]
	s_cbranch_vccnz .LBB47_2406
; %bb.2400:
	v_mov_b32_e32 v7, 25
	v_cmp_gt_i16_sdwa s[6:7], s25, v7 src0_sel:BYTE_0 src1_sel:DWORD
	s_mov_b64 s[10:11], 0
	s_and_b64 vcc, exec, s[6:7]
	s_cbranch_vccz .LBB47_2407
; %bb.2401:
	v_mov_b32_e32 v7, 28
	v_cmp_gt_i16_sdwa s[6:7], s25, v7 src0_sel:BYTE_0 src1_sel:DWORD
	s_and_b64 vcc, exec, s[6:7]
	s_cbranch_vccz .LBB47_2408
; %bb.2402:
	v_mov_b32_e32 v7, 43
	v_cmp_gt_i16_sdwa s[6:7], s25, v7 src0_sel:BYTE_0 src1_sel:DWORD
	;; [unrolled: 5-line block ×3, first 2 shown]
	s_and_b64 vcc, exec, s[6:7]
	s_cbranch_vccz .LBB47_2411
; %bb.2404:
	v_mov_b32_e32 v7, 46
	v_cmp_eq_u16_sdwa s[6:7], s25, v7 src0_sel:BYTE_0 src1_sel:DWORD
	s_mov_b64 s[18:19], 0
	s_and_b64 vcc, exec, s[6:7]
	s_cbranch_vccz .LBB47_2412
; %bb.2405:
	global_load_dword v12, v[10:11], off
	s_mov_b64 s[6:7], 0
	s_mov_b64 s[16:17], -1
	s_branch .LBB47_2413
.LBB47_2406:
	s_mov_b64 s[6:7], -1
	s_mov_b64 s[16:17], 0
                                        ; implicit-def: $vgpr12
	s_branch .LBB47_2479
.LBB47_2407:
	s_mov_b64 s[18:19], -1
	s_mov_b64 s[16:17], 0
	s_mov_b64 s[6:7], 0
                                        ; implicit-def: $vgpr12
	s_branch .LBB47_2442
.LBB47_2408:
	s_mov_b64 s[18:19], -1
	s_mov_b64 s[16:17], 0
	s_mov_b64 s[6:7], 0
                                        ; implicit-def: $vgpr12
	s_branch .LBB47_2423
.LBB47_2409:
	s_mov_b64 s[18:19], -1
	s_mov_b64 s[16:17], 0
	s_mov_b64 s[6:7], 0
                                        ; implicit-def: $vgpr12
	s_branch .LBB47_2418
.LBB47_2410:
	s_trap 2
	s_or_b64 s[4:5], s[4:5], exec
                                        ; implicit-def: $vgpr14
	s_cbranch_execz .LBB47_2347
	s_branch .LBB47_2348
.LBB47_2411:
	s_mov_b64 s[18:19], -1
	s_mov_b64 s[16:17], 0
	s_mov_b64 s[6:7], 0
                                        ; implicit-def: $vgpr12
	s_branch .LBB47_2413
.LBB47_2412:
	s_mov_b64 s[6:7], -1
                                        ; implicit-def: $vgpr12
	s_mov_b64 s[16:17], 0
.LBB47_2413:
	s_and_b64 vcc, exec, s[18:19]
	s_cbranch_vccz .LBB47_2417
; %bb.2414:
	v_mov_b32_e32 v7, 44
	v_cmp_eq_u16_sdwa s[6:7], s25, v7 src0_sel:BYTE_0 src1_sel:DWORD
	s_and_b64 vcc, exec, s[6:7]
	s_cbranch_vccz .LBB47_2416
; %bb.2415:
	global_load_ubyte v7, v[10:11], off
	s_movk_i32 s16, 0xff
	v_mov_b32_e32 v9, 0x7f800001
	s_waitcnt vmcnt(1)
	v_mov_b32_e32 v12, 0x400000
	v_mov_b32_e32 v13, 0x7fc0
	s_mov_b64 s[6:7], 0
	s_waitcnt vmcnt(0)
	v_lshlrev_b32_e32 v15, 23, v7
	v_cmp_ne_u32_e32 vcc, s16, v7
	v_cndmask_b32_e32 v9, v9, v15, vcc
	v_cmp_ne_u32_e32 vcc, 0, v7
	v_cndmask_b32_e32 v7, v12, v9, vcc
	v_add_u32_e32 v9, 0x7fff, v7
	v_lshrrev_b32_e32 v9, 16, v9
	v_cmp_o_f32_e32 vcc, v7, v7
	v_cndmask_b32_e32 v12, v13, v9, vcc
	s_mov_b64 s[16:17], -1
	s_branch .LBB47_2417
.LBB47_2416:
	s_mov_b64 s[6:7], -1
                                        ; implicit-def: $vgpr12
.LBB47_2417:
	s_mov_b64 s[18:19], 0
.LBB47_2418:
	s_and_b64 vcc, exec, s[18:19]
	s_cbranch_vccz .LBB47_2422
; %bb.2419:
	v_mov_b32_e32 v7, 29
	v_cmp_eq_u16_sdwa s[6:7], s25, v7 src0_sel:BYTE_0 src1_sel:DWORD
	s_and_b64 vcc, exec, s[6:7]
	s_cbranch_vccz .LBB47_2421
; %bb.2420:
	global_load_dwordx2 v[12:13], v[10:11], off
	s_movk_i32 s16, 0x7fff
	s_mov_b64 s[6:7], 0
	s_mov_b64 s[18:19], 0
	s_waitcnt vmcnt(0)
	v_ffbh_u32_e32 v7, v13
	v_min_u32_e32 v7, 32, v7
	v_lshlrev_b64 v[12:13], v7, v[12:13]
	v_min_u32_e32 v9, 1, v12
	v_or_b32_e32 v9, v13, v9
	v_cvt_f32_u32_e32 v9, v9
	v_sub_u32_e32 v7, 32, v7
	v_ldexp_f32 v7, v9, v7
	v_bfe_u32 v9, v7, 16, 1
	v_add3_u32 v7, v7, v9, s16
	v_lshrrev_b32_e32 v12, 16, v7
	s_mov_b64 s[16:17], -1
	s_branch .LBB47_2423
.LBB47_2421:
	s_mov_b64 s[6:7], -1
                                        ; implicit-def: $vgpr12
.LBB47_2422:
	s_mov_b64 s[18:19], 0
.LBB47_2423:
	s_and_b64 vcc, exec, s[18:19]
	s_cbranch_vccz .LBB47_2441
; %bb.2424:
	v_mov_b32_e32 v7, 27
	v_cmp_lt_i16_sdwa s[16:17], s25, v7 src0_sel:BYTE_0 src1_sel:DWORD
	s_and_b64 vcc, exec, s[16:17]
	s_cbranch_vccnz .LBB47_2427
; %bb.2425:
	v_cmp_gt_i16_sdwa s[16:17], s25, v7 src0_sel:BYTE_0 src1_sel:DWORD
	s_and_b64 vcc, exec, s[16:17]
	s_cbranch_vccz .LBB47_2428
; %bb.2426:
	global_load_dword v7, v[10:11], off
	s_movk_i32 s16, 0x7fff
	s_waitcnt vmcnt(0)
	v_cvt_f32_u32_e32 v7, v7
	v_bfe_u32 v9, v7, 16, 1
	v_add3_u32 v7, v7, v9, s16
	v_lshrrev_b32_e32 v12, 16, v7
	s_mov_b64 s[16:17], 0
	s_branch .LBB47_2429
.LBB47_2427:
	s_mov_b64 s[16:17], -1
                                        ; implicit-def: $vgpr12
	s_branch .LBB47_2432
.LBB47_2428:
	s_mov_b64 s[16:17], -1
                                        ; implicit-def: $vgpr12
.LBB47_2429:
	s_andn2_b64 vcc, exec, s[16:17]
	s_cbranch_vccnz .LBB47_2431
; %bb.2430:
	global_load_ushort v7, v[10:11], off
	s_movk_i32 s16, 0x7fff
	s_waitcnt vmcnt(0)
	v_cvt_f32_u32_e32 v7, v7
	v_bfe_u32 v9, v7, 16, 1
	v_add3_u32 v7, v7, v9, s16
	v_lshrrev_b32_e32 v12, 16, v7
.LBB47_2431:
	s_mov_b64 s[16:17], 0
.LBB47_2432:
	s_andn2_b64 vcc, exec, s[16:17]
	s_cbranch_vccnz .LBB47_2440
; %bb.2433:
	global_load_ubyte v7, v[10:11], off
	s_movk_i32 s16, 0x7f
                                        ; implicit-def: $sgpr22
	s_waitcnt vmcnt(0)
	v_cmp_lt_i16_e32 vcc, s16, v7
	s_mov_b64 s[16:17], 0
	s_and_saveexec_b64 s[18:19], vcc
	s_xor_b64 s[18:19], exec, s[18:19]
	s_cbranch_execz .LBB47_2454
; %bb.2434:
	s_movk_i32 s16, 0x80
	v_cmp_eq_u16_e32 vcc, s16, v7
	s_mov_b64 s[16:17], -1
                                        ; implicit-def: $sgpr22
	s_and_saveexec_b64 s[20:21], vcc
; %bb.2435:
	s_mov_b32 s22, 0x7f800001
	s_xor_b64 s[16:17], exec, -1
; %bb.2436:
	s_or_b64 exec, exec, s[20:21]
	s_and_b64 s[16:17], s[16:17], exec
	s_or_saveexec_b64 s[18:19], s[18:19]
	v_mov_b32_e32 v9, s22
	s_xor_b64 exec, exec, s[18:19]
	s_cbranch_execnz .LBB47_2455
.LBB47_2437:
	s_or_b64 exec, exec, s[18:19]
	s_and_saveexec_b64 s[18:19], s[16:17]
	s_cbranch_execz .LBB47_2439
.LBB47_2438:
	v_lshlrev_b32_e32 v9, 24, v7
	v_and_b32_e32 v7, 0xffff, v7
	v_and_b32_e32 v12, 7, v7
	v_ffbh_u32_e32 v15, v12
	v_min_u32_e32 v15, 32, v15
	v_subrev_u32_e32 v17, 28, v15
	v_bfe_u32 v13, v7, 3, 4
	v_lshlrev_b32_e32 v7, v17, v7
	v_sub_u32_e32 v15, 29, v15
	v_and_b32_e32 v7, 7, v7
	v_cmp_eq_u32_e32 vcc, 0, v13
	v_cndmask_b32_e32 v13, v13, v15, vcc
	v_cndmask_b32_e32 v7, v12, v7, vcc
	v_mov_b32_e32 v12, 0x3b800000
	v_lshlrev_b32_e32 v7, 20, v7
	v_and_b32_e32 v9, 0x80000000, v9
	v_lshl_add_u32 v12, v13, 23, v12
	v_or3_b32 v9, v9, v12, v7
.LBB47_2439:
	s_or_b64 exec, exec, s[18:19]
	v_bfe_u32 v7, v9, 16, 1
	s_movk_i32 s16, 0x7fff
	v_add3_u32 v7, v9, v7, s16
	v_lshrrev_b32_e32 v7, 16, v7
	v_mov_b32_e32 v12, 0x7fc0
	v_cmp_o_f32_e32 vcc, v9, v9
	v_cndmask_b32_e32 v12, v12, v7, vcc
.LBB47_2440:
	s_mov_b64 s[16:17], -1
.LBB47_2441:
	s_mov_b64 s[18:19], 0
.LBB47_2442:
	s_and_b64 vcc, exec, s[18:19]
	s_cbranch_vccz .LBB47_2475
; %bb.2443:
	v_mov_b32_e32 v7, 22
	v_cmp_gt_i16_sdwa s[10:11], s25, v7 src0_sel:BYTE_0 src1_sel:DWORD
	s_and_b64 vcc, exec, s[10:11]
	s_cbranch_vccz .LBB47_2453
; %bb.2444:
	v_mov_b32_e32 v7, 24
	v_cmp_lt_i16_sdwa s[10:11], s25, v7 src0_sel:BYTE_0 src1_sel:DWORD
	s_and_b64 vcc, exec, s[10:11]
	s_cbranch_vccnz .LBB47_2456
; %bb.2445:
	v_cmp_gt_i16_sdwa s[10:11], s25, v7 src0_sel:BYTE_0 src1_sel:DWORD
	s_and_b64 vcc, exec, s[10:11]
	s_cbranch_vccz .LBB47_2457
; %bb.2446:
	global_load_ubyte v7, v[10:11], off
	s_movk_i32 s10, 0x7f
                                        ; implicit-def: $sgpr20
	s_waitcnt vmcnt(0)
	v_cmp_lt_i16_e32 vcc, s10, v7
	s_mov_b64 s[10:11], 0
	s_and_saveexec_b64 s[16:17], vcc
	s_xor_b64 s[16:17], exec, s[16:17]
	s_cbranch_execz .LBB47_2469
; %bb.2447:
	s_movk_i32 s10, 0x80
	v_cmp_eq_u16_e32 vcc, s10, v7
	s_mov_b64 s[10:11], -1
                                        ; implicit-def: $sgpr20
	s_and_saveexec_b64 s[18:19], vcc
; %bb.2448:
	s_mov_b32 s20, 0x7f800001
	s_xor_b64 s[10:11], exec, -1
; %bb.2449:
	s_or_b64 exec, exec, s[18:19]
	s_and_b64 s[10:11], s[10:11], exec
	s_or_saveexec_b64 s[16:17], s[16:17]
	v_mov_b32_e32 v9, s20
	s_xor_b64 exec, exec, s[16:17]
	s_cbranch_execnz .LBB47_2470
.LBB47_2450:
	s_or_b64 exec, exec, s[16:17]
	s_and_saveexec_b64 s[16:17], s[10:11]
	s_cbranch_execz .LBB47_2452
.LBB47_2451:
	v_lshlrev_b32_e32 v9, 24, v7
	v_and_b32_e32 v7, 0xffff, v7
	v_and_b32_e32 v12, 3, v7
	v_ffbh_u32_e32 v15, v12
	v_min_u32_e32 v15, 32, v15
	v_subrev_u32_e32 v17, 29, v15
	v_bfe_u32 v13, v7, 2, 5
	v_lshlrev_b32_e32 v7, v17, v7
	v_sub_u32_e32 v15, 30, v15
	v_and_b32_e32 v7, 3, v7
	v_cmp_eq_u32_e32 vcc, 0, v13
	v_cndmask_b32_e32 v13, v13, v15, vcc
	v_cndmask_b32_e32 v7, v12, v7, vcc
	v_mov_b32_e32 v12, 0x37800000
	v_lshlrev_b32_e32 v7, 21, v7
	v_and_b32_e32 v9, 0x80000000, v9
	v_lshl_add_u32 v12, v13, 23, v12
	v_or3_b32 v9, v9, v12, v7
.LBB47_2452:
	s_or_b64 exec, exec, s[16:17]
	v_bfe_u32 v7, v9, 16, 1
	s_movk_i32 s10, 0x7fff
	v_add3_u32 v7, v9, v7, s10
	v_lshrrev_b32_e32 v7, 16, v7
	v_mov_b32_e32 v12, 0x7fc0
	v_cmp_o_f32_e32 vcc, v9, v9
	v_cndmask_b32_e32 v12, v12, v7, vcc
	s_mov_b64 s[10:11], 0
	s_branch .LBB47_2458
.LBB47_2453:
	s_mov_b64 s[10:11], -1
                                        ; implicit-def: $vgpr12
	s_branch .LBB47_2464
.LBB47_2454:
	s_or_saveexec_b64 s[18:19], s[18:19]
	v_mov_b32_e32 v9, s22
	s_xor_b64 exec, exec, s[18:19]
	s_cbranch_execz .LBB47_2437
.LBB47_2455:
	v_cmp_ne_u16_e32 vcc, 0, v7
	s_andn2_b64 s[16:17], s[16:17], exec
	s_and_b64 s[20:21], vcc, exec
	v_mov_b32_e32 v9, 0
	s_or_b64 s[16:17], s[16:17], s[20:21]
	s_or_b64 exec, exec, s[18:19]
	s_and_saveexec_b64 s[18:19], s[16:17]
	s_cbranch_execnz .LBB47_2438
	s_branch .LBB47_2439
.LBB47_2456:
	s_mov_b64 s[10:11], -1
                                        ; implicit-def: $vgpr12
	s_branch .LBB47_2461
.LBB47_2457:
	s_mov_b64 s[10:11], -1
                                        ; implicit-def: $vgpr12
.LBB47_2458:
	s_and_b64 vcc, exec, s[10:11]
	s_cbranch_vccz .LBB47_2460
; %bb.2459:
	global_load_ubyte v7, v[10:11], off
	s_mov_b32 s10, 0x7f800000
	s_brev_b32 s11, 1
	s_movk_i32 s16, 0x7fff
	v_mov_b32_e32 v9, 0x7fc0
	s_waitcnt vmcnt(0)
	v_lshlrev_b32_e32 v7, 24, v7
	v_and_b32_e32 v12, 0x7f000000, v7
	v_ffbh_u32_e32 v13, v12
	v_min_u32_e32 v13, 32, v13
	v_sub_u32_e64 v13, v13, 4 clamp
	v_lshlrev_b32_e32 v17, v13, v12
	v_lshlrev_b32_e32 v13, 23, v13
	v_lshrrev_b32_e32 v17, 4, v17
	v_add_u32_e32 v15, 0x1000000, v12
	v_sub_u32_e32 v13, v17, v13
	v_ashrrev_i32_e32 v15, 8, v15
	v_add_u32_e32 v13, 0x3c000000, v13
	v_and_or_b32 v13, v15, s10, v13
	v_cmp_ne_u32_e32 vcc, 0, v12
	v_cndmask_b32_e32 v12, 0, v13, vcc
	v_and_or_b32 v7, v7, s11, v12
	v_bfe_u32 v12, v12, 16, 1
	v_add3_u32 v12, v7, v12, s16
	v_lshrrev_b32_e32 v12, 16, v12
	v_cmp_o_f32_e32 vcc, v7, v7
	v_cndmask_b32_e32 v12, v9, v12, vcc
.LBB47_2460:
	s_mov_b64 s[10:11], 0
.LBB47_2461:
	s_andn2_b64 vcc, exec, s[10:11]
	s_cbranch_vccnz .LBB47_2463
; %bb.2462:
	global_load_ubyte v7, v[10:11], off
	s_movk_i32 s10, 0x7f00
	s_brev_b32 s11, 16
	s_brev_b32 s16, 1
	s_movk_i32 s17, 0x7fff
	v_mov_b32_e32 v9, 0x7fc0
	s_waitcnt vmcnt(0)
	v_lshlrev_b16_e32 v12, 8, v7
	v_lshlrev_b32_e32 v7, 25, v7
	v_lshrrev_b32_e32 v13, 4, v7
	v_and_or_b32 v15, v12, s10, 0.5
	v_or_b32_e32 v13, 0x70000000, v13
	v_add_f32_e32 v15, -0.5, v15
	v_mul_f32_e32 v13, 0x7800000, v13
	v_cmp_gt_u32_e32 vcc, s11, v7
	v_bfe_i32 v12, v12, 0, 16
	v_cndmask_b32_e32 v7, v13, v15, vcc
	v_and_or_b32 v12, v12, s16, v7
	v_bfe_u32 v7, v7, 16, 1
	v_add3_u32 v7, v12, v7, s17
	v_lshrrev_b32_e32 v7, 16, v7
	v_cmp_o_f32_e32 vcc, v12, v12
	v_cndmask_b32_e32 v12, v9, v7, vcc
.LBB47_2463:
	s_mov_b64 s[10:11], 0
	s_mov_b64 s[16:17], -1
.LBB47_2464:
	s_andn2_b64 vcc, exec, s[10:11]
	s_mov_b64 s[10:11], 0
	s_cbranch_vccnz .LBB47_2475
; %bb.2465:
	v_mov_b32_e32 v7, 14
	v_cmp_gt_i16_sdwa s[10:11], s25, v7 src0_sel:BYTE_0 src1_sel:DWORD
	s_and_b64 vcc, exec, s[10:11]
	s_cbranch_vccz .LBB47_2468
; %bb.2466:
	v_mov_b32_e32 v7, 15
	v_cmp_eq_u16_sdwa s[6:7], s25, v7 src0_sel:BYTE_0 src1_sel:DWORD
	s_and_b64 vcc, exec, s[6:7]
	s_cbranch_vccz .LBB47_2471
; %bb.2467:
	global_load_ushort v12, v[10:11], off
	s_mov_b64 s[6:7], 0
	s_mov_b64 s[16:17], -1
	s_branch .LBB47_2472
.LBB47_2468:
	s_mov_b64 s[18:19], -1
                                        ; implicit-def: $vgpr12
	s_branch .LBB47_2473
.LBB47_2469:
	s_or_saveexec_b64 s[16:17], s[16:17]
	v_mov_b32_e32 v9, s20
	s_xor_b64 exec, exec, s[16:17]
	s_cbranch_execz .LBB47_2450
.LBB47_2470:
	v_cmp_ne_u16_e32 vcc, 0, v7
	s_andn2_b64 s[10:11], s[10:11], exec
	s_and_b64 s[18:19], vcc, exec
	v_mov_b32_e32 v9, 0
	s_or_b64 s[10:11], s[10:11], s[18:19]
	s_or_b64 exec, exec, s[16:17]
	s_and_saveexec_b64 s[16:17], s[10:11]
	s_cbranch_execnz .LBB47_2451
	s_branch .LBB47_2452
.LBB47_2471:
	s_mov_b64 s[6:7], -1
                                        ; implicit-def: $vgpr12
.LBB47_2472:
	s_mov_b64 s[18:19], 0
.LBB47_2473:
	s_mov_b64 s[10:11], 0
	s_and_b64 vcc, exec, s[18:19]
	s_cbranch_vccz .LBB47_2475
; %bb.2474:
	v_mov_b32_e32 v7, 11
	v_cmp_ne_u16_sdwa s[6:7], s25, v7 src0_sel:BYTE_0 src1_sel:DWORD
	s_mov_b64 s[10:11], -1
                                        ; implicit-def: $vgpr12
.LBB47_2475:
	s_and_b64 vcc, exec, s[6:7]
	s_cbranch_vccnz .LBB47_2540
; %bb.2476:
	s_andn2_b64 vcc, exec, s[10:11]
	s_cbranch_vccnz .LBB47_2478
.LBB47_2477:
	global_load_ubyte v7, v[10:11], off
	s_mov_b64 s[16:17], -1
	s_waitcnt vmcnt(0)
	v_cmp_ne_u16_e32 vcc, 0, v7
	v_cndmask_b32_e64 v7, 0, 1.0, vcc
	v_lshrrev_b32_e32 v12, 16, v7
.LBB47_2478:
	s_mov_b64 s[6:7], 0
.LBB47_2479:
	s_and_b64 vcc, exec, s[6:7]
	s_cbranch_vccz .LBB47_2528
; %bb.2480:
	v_mov_b32_e32 v7, 5
	v_cmp_lt_i16_sdwa s[6:7], s25, v7 src0_sel:BYTE_0 src1_sel:DWORD
	s_and_b64 vcc, exec, s[6:7]
	s_cbranch_vccnz .LBB47_2485
; %bb.2481:
	v_mov_b32_e32 v7, 8
	v_cmp_lt_i16_sdwa s[6:7], s25, v7 src0_sel:BYTE_0 src1_sel:DWORD
	s_and_b64 vcc, exec, s[6:7]
	s_cbranch_vccnz .LBB47_2486
	;; [unrolled: 5-line block ×3, first 2 shown]
; %bb.2483:
	v_cmp_gt_i16_sdwa s[6:7], s25, v7 src0_sel:BYTE_0 src1_sel:DWORD
	s_and_b64 vcc, exec, s[6:7]
	s_cbranch_vccz .LBB47_2488
; %bb.2484:
	global_load_dwordx2 v[12:13], v[10:11], off
	s_movk_i32 s6, 0x7fff
	v_mov_b32_e32 v7, 0x7fc0
	s_waitcnt vmcnt(0)
	v_cvt_f32_f64_e32 v9, v[12:13]
	v_bfe_u32 v12, v9, 16, 1
	v_add3_u32 v12, v9, v12, s6
	v_lshrrev_b32_e32 v12, 16, v12
	v_cmp_o_f32_e32 vcc, v9, v9
	v_cndmask_b32_e32 v12, v7, v12, vcc
	s_mov_b64 s[6:7], 0
	s_branch .LBB47_2489
.LBB47_2485:
	s_mov_b64 s[6:7], -1
                                        ; implicit-def: $vgpr12
	s_branch .LBB47_2507
.LBB47_2486:
	s_mov_b64 s[6:7], -1
                                        ; implicit-def: $vgpr12
	s_branch .LBB47_2495
.LBB47_2487:
	s_mov_b64 s[6:7], -1
                                        ; implicit-def: $vgpr12
	s_branch .LBB47_2492
.LBB47_2488:
	s_mov_b64 s[6:7], -1
                                        ; implicit-def: $vgpr12
.LBB47_2489:
	s_andn2_b64 vcc, exec, s[6:7]
	s_cbranch_vccnz .LBB47_2491
; %bb.2490:
	global_load_dword v7, v[10:11], off
	s_movk_i32 s6, 0x7fff
	v_mov_b32_e32 v9, 0x7fc0
	s_waitcnt vmcnt(0)
	v_bfe_u32 v12, v7, 16, 1
	v_add3_u32 v12, v7, v12, s6
	v_lshrrev_b32_e32 v12, 16, v12
	v_cmp_o_f32_e32 vcc, v7, v7
	v_cndmask_b32_e32 v12, v9, v12, vcc
.LBB47_2491:
	s_mov_b64 s[6:7], 0
.LBB47_2492:
	s_andn2_b64 vcc, exec, s[6:7]
	s_cbranch_vccnz .LBB47_2494
; %bb.2493:
	global_load_dword v7, v[10:11], off
	s_movk_i32 s6, 0x7fff
	s_waitcnt vmcnt(1)
	v_mov_b32_e32 v12, 0x7fc0
	s_waitcnt vmcnt(0)
	v_cvt_f32_f16_e32 v9, v7
	v_cmp_o_f16_e32 vcc, v7, v7
	v_bfe_u32 v13, v9, 16, 1
	v_add3_u32 v9, v9, v13, s6
	v_lshrrev_b32_e32 v9, 16, v9
	v_cndmask_b32_e32 v12, v12, v9, vcc
.LBB47_2494:
	s_mov_b64 s[6:7], 0
.LBB47_2495:
	s_andn2_b64 vcc, exec, s[6:7]
	s_cbranch_vccnz .LBB47_2506
; %bb.2496:
	v_mov_b32_e32 v7, 6
	v_cmp_lt_i16_sdwa s[6:7], s25, v7 src0_sel:BYTE_0 src1_sel:DWORD
	s_and_b64 vcc, exec, s[6:7]
	s_cbranch_vccnz .LBB47_2499
; %bb.2497:
	v_cmp_gt_i16_sdwa s[6:7], s25, v7 src0_sel:BYTE_0 src1_sel:DWORD
	s_and_b64 vcc, exec, s[6:7]
	s_cbranch_vccz .LBB47_2500
; %bb.2498:
	global_load_dwordx2 v[12:13], v[10:11], off
	s_movk_i32 s6, 0x7fff
	v_mov_b32_e32 v7, 0x7fc0
	s_waitcnt vmcnt(0)
	v_cvt_f32_f64_e32 v9, v[12:13]
	v_bfe_u32 v12, v9, 16, 1
	v_add3_u32 v12, v9, v12, s6
	v_lshrrev_b32_e32 v12, 16, v12
	v_cmp_o_f32_e32 vcc, v9, v9
	v_cndmask_b32_e32 v12, v7, v12, vcc
	s_mov_b64 s[6:7], 0
	s_branch .LBB47_2501
.LBB47_2499:
	s_mov_b64 s[6:7], -1
                                        ; implicit-def: $vgpr12
	s_branch .LBB47_2504
.LBB47_2500:
	s_mov_b64 s[6:7], -1
                                        ; implicit-def: $vgpr12
.LBB47_2501:
	s_andn2_b64 vcc, exec, s[6:7]
	s_cbranch_vccnz .LBB47_2503
; %bb.2502:
	global_load_dword v7, v[10:11], off
	s_movk_i32 s6, 0x7fff
	v_mov_b32_e32 v9, 0x7fc0
	s_waitcnt vmcnt(0)
	v_bfe_u32 v12, v7, 16, 1
	v_add3_u32 v12, v7, v12, s6
	v_lshrrev_b32_e32 v12, 16, v12
	v_cmp_o_f32_e32 vcc, v7, v7
	v_cndmask_b32_e32 v12, v9, v12, vcc
.LBB47_2503:
	s_mov_b64 s[6:7], 0
.LBB47_2504:
	s_andn2_b64 vcc, exec, s[6:7]
	s_cbranch_vccnz .LBB47_2506
; %bb.2505:
	global_load_ushort v7, v[10:11], off
	s_movk_i32 s6, 0x7fff
	s_waitcnt vmcnt(1)
	v_mov_b32_e32 v12, 0x7fc0
	s_waitcnt vmcnt(0)
	v_cvt_f32_f16_e32 v9, v7
	v_cmp_o_f16_e32 vcc, v7, v7
	v_bfe_u32 v13, v9, 16, 1
	v_add3_u32 v9, v9, v13, s6
	v_lshrrev_b32_e32 v9, 16, v9
	v_cndmask_b32_e32 v12, v12, v9, vcc
.LBB47_2506:
	s_mov_b64 s[6:7], 0
.LBB47_2507:
	s_andn2_b64 vcc, exec, s[6:7]
	s_cbranch_vccnz .LBB47_2527
; %bb.2508:
	v_mov_b32_e32 v7, 2
	v_cmp_lt_i16_sdwa s[6:7], s25, v7 src0_sel:BYTE_0 src1_sel:DWORD
	s_and_b64 vcc, exec, s[6:7]
	s_cbranch_vccnz .LBB47_2512
; %bb.2509:
	v_mov_b32_e32 v7, 3
	v_cmp_lt_i16_sdwa s[6:7], s25, v7 src0_sel:BYTE_0 src1_sel:DWORD
	s_and_b64 vcc, exec, s[6:7]
	s_cbranch_vccnz .LBB47_2513
; %bb.2510:
	v_cmp_gt_i16_sdwa s[6:7], s25, v7 src0_sel:BYTE_0 src1_sel:DWORD
	s_and_b64 vcc, exec, s[6:7]
	s_cbranch_vccz .LBB47_2514
; %bb.2511:
	global_load_dwordx2 v[12:13], v[10:11], off
	s_movk_i32 s6, 0x7fff
	s_waitcnt vmcnt(0)
	v_xor_b32_e32 v9, v12, v13
	v_ffbh_i32_e32 v7, v13
	v_ashrrev_i32_e32 v9, 31, v9
	v_add_u32_e32 v7, -1, v7
	v_add_u32_e32 v9, 32, v9
	v_min_u32_e32 v7, v7, v9
	v_lshlrev_b64 v[12:13], v7, v[12:13]
	v_min_u32_e32 v9, 1, v12
	v_or_b32_e32 v9, v13, v9
	v_cvt_f32_i32_e32 v9, v9
	v_sub_u32_e32 v7, 32, v7
	v_ldexp_f32 v7, v9, v7
	v_bfe_u32 v9, v7, 16, 1
	v_add3_u32 v7, v7, v9, s6
	v_lshrrev_b32_e32 v12, 16, v7
	s_mov_b64 s[6:7], 0
	s_branch .LBB47_2515
.LBB47_2512:
	s_mov_b64 s[6:7], -1
                                        ; implicit-def: $vgpr12
	s_branch .LBB47_2521
.LBB47_2513:
	s_mov_b64 s[6:7], -1
                                        ; implicit-def: $vgpr12
	s_branch .LBB47_2518
.LBB47_2514:
	s_mov_b64 s[6:7], -1
                                        ; implicit-def: $vgpr12
.LBB47_2515:
	s_andn2_b64 vcc, exec, s[6:7]
	s_cbranch_vccnz .LBB47_2517
; %bb.2516:
	global_load_dword v7, v[10:11], off
	s_movk_i32 s6, 0x7fff
	s_waitcnt vmcnt(0)
	v_cvt_f32_i32_e32 v7, v7
	v_bfe_u32 v9, v7, 16, 1
	v_add3_u32 v7, v7, v9, s6
	v_lshrrev_b32_e32 v12, 16, v7
.LBB47_2517:
	s_mov_b64 s[6:7], 0
.LBB47_2518:
	s_andn2_b64 vcc, exec, s[6:7]
	s_cbranch_vccnz .LBB47_2520
; %bb.2519:
	global_load_sshort v7, v[10:11], off
	s_movk_i32 s6, 0x7fff
	s_waitcnt vmcnt(0)
	v_cvt_f32_i32_e32 v7, v7
	v_bfe_u32 v9, v7, 16, 1
	v_add3_u32 v7, v7, v9, s6
	v_lshrrev_b32_e32 v12, 16, v7
.LBB47_2520:
	s_mov_b64 s[6:7], 0
.LBB47_2521:
	s_andn2_b64 vcc, exec, s[6:7]
	s_cbranch_vccnz .LBB47_2527
; %bb.2522:
	v_mov_b32_e32 v7, 0
	v_cmp_gt_i16_sdwa s[6:7], s25, v7 src0_sel:BYTE_0 src1_sel:DWORD
	s_and_b64 vcc, exec, s[6:7]
	s_cbranch_vccz .LBB47_2524
; %bb.2523:
	global_load_sbyte v7, v[10:11], off
	s_movk_i32 s6, 0x7fff
	s_waitcnt vmcnt(0)
	v_cvt_f32_i32_e32 v7, v7
	v_bfe_u32 v9, v7, 16, 1
	v_add3_u32 v7, v7, v9, s6
	v_lshrrev_b32_e32 v12, 16, v7
	s_mov_b64 s[6:7], 0
	s_branch .LBB47_2525
.LBB47_2524:
	s_mov_b64 s[6:7], -1
                                        ; implicit-def: $vgpr12
.LBB47_2525:
	s_andn2_b64 vcc, exec, s[6:7]
	s_cbranch_vccnz .LBB47_2527
; %bb.2526:
	global_load_ubyte v7, v[10:11], off
	s_movk_i32 s6, 0x7fff
	s_waitcnt vmcnt(0)
	v_cvt_f32_ubyte0_e32 v7, v7
	v_bfe_u32 v9, v7, 16, 1
	v_add3_u32 v7, v7, v9, s6
	v_lshrrev_b32_e32 v12, 16, v7
.LBB47_2527:
	s_mov_b64 s[16:17], -1
.LBB47_2528:
	s_andn2_b64 vcc, exec, s[16:17]
	s_cbranch_vccnz .LBB47_3112
; %bb.2529:
	v_mov_b32_e32 v7, s1
	v_add_co_u32_e32 v8, vcc, s0, v8
	v_addc_co_u32_e32 v9, vcc, 0, v7, vcc
	s_and_b64 vcc, exec, s[2:3]
	s_cbranch_vccnz .LBB47_2536
; %bb.2530:
	v_cmp_gt_i16_e64 s[0:1], s26, 25
	s_mov_b64 s[2:3], 0
	s_and_b64 vcc, exec, s[0:1]
	s_cbranch_vccz .LBB47_2537
; %bb.2531:
	v_cmp_gt_i16_e64 s[0:1], s26, 28
	s_and_b64 vcc, exec, s[0:1]
	s_cbranch_vccz .LBB47_2538
; %bb.2532:
	v_cmp_gt_i16_e64 s[0:1], s26, 43
	s_and_b64 vcc, exec, s[0:1]
	s_cbranch_vccz .LBB47_2539
; %bb.2533:
	v_cmp_gt_i16_e64 s[0:1], s26, 45
	s_and_b64 vcc, exec, s[0:1]
	s_cbranch_vccz .LBB47_2541
; %bb.2534:
	v_cmp_eq_u16_e64 s[0:1], s26, 46
	s_mov_b64 s[10:11], 0
	s_and_b64 vcc, exec, s[0:1]
	s_cbranch_vccz .LBB47_2542
; %bb.2535:
	global_load_dword v10, v[8:9], off
	s_mov_b64 s[0:1], 0
	s_mov_b64 s[6:7], -1
	s_branch .LBB47_2543
.LBB47_2536:
	s_mov_b64 s[0:1], -1
	s_mov_b64 s[6:7], 0
                                        ; implicit-def: $vgpr10
	s_branch .LBB47_2609
.LBB47_2537:
	s_mov_b64 s[10:11], -1
	s_mov_b64 s[6:7], 0
	s_mov_b64 s[0:1], 0
                                        ; implicit-def: $vgpr10
	s_branch .LBB47_2572
.LBB47_2538:
	s_mov_b64 s[10:11], -1
	s_mov_b64 s[6:7], 0
	s_mov_b64 s[0:1], 0
                                        ; implicit-def: $vgpr10
	s_branch .LBB47_2553
.LBB47_2539:
	s_mov_b64 s[10:11], -1
	s_mov_b64 s[6:7], 0
	s_mov_b64 s[0:1], 0
                                        ; implicit-def: $vgpr10
	s_branch .LBB47_2548
.LBB47_2540:
	s_trap 2
	s_or_b64 s[4:5], s[4:5], exec
                                        ; implicit-def: $vgpr12
	s_cbranch_execz .LBB47_2477
	s_branch .LBB47_2478
.LBB47_2541:
	s_mov_b64 s[10:11], -1
	s_mov_b64 s[6:7], 0
	s_mov_b64 s[0:1], 0
                                        ; implicit-def: $vgpr10
	s_branch .LBB47_2543
.LBB47_2542:
	s_mov_b64 s[0:1], -1
                                        ; implicit-def: $vgpr10
	s_mov_b64 s[6:7], 0
.LBB47_2543:
	s_and_b64 vcc, exec, s[10:11]
	s_cbranch_vccz .LBB47_2547
; %bb.2544:
	v_cmp_eq_u16_e64 s[0:1], s26, 44
	s_and_b64 vcc, exec, s[0:1]
	s_cbranch_vccz .LBB47_2546
; %bb.2545:
	global_load_ubyte v7, v[8:9], off
	s_movk_i32 s6, 0xff
	s_waitcnt vmcnt(1)
	v_mov_b32_e32 v10, 0x7f800001
	v_mov_b32_e32 v11, 0x400000
	;; [unrolled: 1-line block ×3, first 2 shown]
	s_mov_b64 s[0:1], 0
	s_waitcnt vmcnt(0)
	v_lshlrev_b32_e32 v15, 23, v7
	v_cmp_ne_u32_e32 vcc, s6, v7
	v_cndmask_b32_e32 v10, v10, v15, vcc
	v_cmp_ne_u32_e32 vcc, 0, v7
	v_cndmask_b32_e32 v7, v11, v10, vcc
	v_add_u32_e32 v10, 0x7fff, v7
	v_lshrrev_b32_e32 v10, 16, v10
	v_cmp_o_f32_e32 vcc, v7, v7
	v_cndmask_b32_e32 v10, v13, v10, vcc
	s_mov_b64 s[6:7], -1
	s_branch .LBB47_2547
.LBB47_2546:
	s_mov_b64 s[0:1], -1
                                        ; implicit-def: $vgpr10
.LBB47_2547:
	s_mov_b64 s[10:11], 0
.LBB47_2548:
	s_and_b64 vcc, exec, s[10:11]
	s_cbranch_vccz .LBB47_2552
; %bb.2549:
	v_cmp_eq_u16_e64 s[0:1], s26, 29
	s_and_b64 vcc, exec, s[0:1]
	s_cbranch_vccz .LBB47_2551
; %bb.2550:
	global_load_dwordx2 v[10:11], v[8:9], off
	s_movk_i32 s6, 0x7fff
	s_mov_b64 s[0:1], 0
	s_mov_b64 s[10:11], 0
	s_waitcnt vmcnt(0)
	v_ffbh_u32_e32 v7, v11
	v_min_u32_e32 v7, 32, v7
	v_lshlrev_b64 v[10:11], v7, v[10:11]
	v_min_u32_e32 v10, 1, v10
	v_or_b32_e32 v10, v11, v10
	v_cvt_f32_u32_e32 v10, v10
	v_sub_u32_e32 v7, 32, v7
	v_ldexp_f32 v7, v10, v7
	v_bfe_u32 v10, v7, 16, 1
	v_add3_u32 v7, v7, v10, s6
	v_lshrrev_b32_e32 v10, 16, v7
	s_mov_b64 s[6:7], -1
	s_branch .LBB47_2553
.LBB47_2551:
	s_mov_b64 s[0:1], -1
                                        ; implicit-def: $vgpr10
.LBB47_2552:
	s_mov_b64 s[10:11], 0
.LBB47_2553:
	s_and_b64 vcc, exec, s[10:11]
	s_cbranch_vccz .LBB47_2571
; %bb.2554:
	v_cmp_lt_i16_e64 s[6:7], s26, 27
	s_and_b64 vcc, exec, s[6:7]
	s_cbranch_vccnz .LBB47_2557
; %bb.2555:
	v_cmp_gt_i16_e64 s[6:7], s26, 27
	s_and_b64 vcc, exec, s[6:7]
	s_cbranch_vccz .LBB47_2558
; %bb.2556:
	global_load_dword v7, v[8:9], off
	s_movk_i32 s6, 0x7fff
	s_waitcnt vmcnt(0)
	v_cvt_f32_u32_e32 v7, v7
	v_bfe_u32 v10, v7, 16, 1
	v_add3_u32 v7, v7, v10, s6
	v_lshrrev_b32_e32 v10, 16, v7
	s_mov_b64 s[6:7], 0
	s_branch .LBB47_2559
.LBB47_2557:
	s_mov_b64 s[6:7], -1
                                        ; implicit-def: $vgpr10
	s_branch .LBB47_2562
.LBB47_2558:
	s_mov_b64 s[6:7], -1
                                        ; implicit-def: $vgpr10
.LBB47_2559:
	s_andn2_b64 vcc, exec, s[6:7]
	s_cbranch_vccnz .LBB47_2561
; %bb.2560:
	global_load_ushort v7, v[8:9], off
	s_movk_i32 s6, 0x7fff
	s_waitcnt vmcnt(0)
	v_cvt_f32_u32_e32 v7, v7
	v_bfe_u32 v10, v7, 16, 1
	v_add3_u32 v7, v7, v10, s6
	v_lshrrev_b32_e32 v10, 16, v7
.LBB47_2561:
	s_mov_b64 s[6:7], 0
.LBB47_2562:
	s_andn2_b64 vcc, exec, s[6:7]
	s_cbranch_vccnz .LBB47_2570
; %bb.2563:
	global_load_ubyte v7, v[8:9], off
	s_movk_i32 s6, 0x7f
                                        ; implicit-def: $sgpr18
	s_waitcnt vmcnt(0)
	v_cmp_lt_i16_e32 vcc, s6, v7
	s_mov_b64 s[6:7], 0
	s_and_saveexec_b64 s[10:11], vcc
	s_xor_b64 s[10:11], exec, s[10:11]
	s_cbranch_execz .LBB47_2584
; %bb.2564:
	s_movk_i32 s6, 0x80
	v_cmp_eq_u16_e32 vcc, s6, v7
	s_mov_b64 s[6:7], -1
                                        ; implicit-def: $sgpr18
	s_and_saveexec_b64 s[16:17], vcc
; %bb.2565:
	s_mov_b32 s18, 0x7f800001
	s_xor_b64 s[6:7], exec, -1
; %bb.2566:
	s_or_b64 exec, exec, s[16:17]
	s_and_b64 s[6:7], s[6:7], exec
	s_or_saveexec_b64 s[10:11], s[10:11]
	v_mov_b32_e32 v10, s18
	s_xor_b64 exec, exec, s[10:11]
	s_cbranch_execnz .LBB47_2585
.LBB47_2567:
	s_or_b64 exec, exec, s[10:11]
	s_and_saveexec_b64 s[10:11], s[6:7]
	s_cbranch_execz .LBB47_2569
.LBB47_2568:
	v_lshlrev_b32_e32 v10, 24, v7
	v_and_b32_e32 v7, 0xffff, v7
	v_and_b32_e32 v11, 7, v7
	v_ffbh_u32_e32 v15, v11
	v_min_u32_e32 v15, 32, v15
	v_subrev_u32_e32 v17, 28, v15
	v_bfe_u32 v13, v7, 3, 4
	v_lshlrev_b32_e32 v7, v17, v7
	v_sub_u32_e32 v15, 29, v15
	v_and_b32_e32 v7, 7, v7
	v_cmp_eq_u32_e32 vcc, 0, v13
	v_cndmask_b32_e32 v13, v13, v15, vcc
	v_cndmask_b32_e32 v7, v11, v7, vcc
	v_mov_b32_e32 v11, 0x3b800000
	v_lshlrev_b32_e32 v7, 20, v7
	v_and_b32_e32 v10, 0x80000000, v10
	v_lshl_add_u32 v11, v13, 23, v11
	v_or3_b32 v10, v10, v11, v7
.LBB47_2569:
	s_or_b64 exec, exec, s[10:11]
	v_bfe_u32 v7, v10, 16, 1
	s_movk_i32 s6, 0x7fff
	v_add3_u32 v7, v10, v7, s6
	v_lshrrev_b32_e32 v7, 16, v7
	v_mov_b32_e32 v11, 0x7fc0
	v_cmp_o_f32_e32 vcc, v10, v10
	v_cndmask_b32_e32 v10, v11, v7, vcc
.LBB47_2570:
	s_mov_b64 s[6:7], -1
.LBB47_2571:
	s_mov_b64 s[10:11], 0
.LBB47_2572:
	s_and_b64 vcc, exec, s[10:11]
	s_cbranch_vccz .LBB47_2605
; %bb.2573:
	v_cmp_gt_i16_e64 s[2:3], s26, 22
	s_and_b64 vcc, exec, s[2:3]
	s_cbranch_vccz .LBB47_2583
; %bb.2574:
	v_cmp_lt_i16_e64 s[2:3], s26, 24
	s_and_b64 vcc, exec, s[2:3]
	s_cbranch_vccnz .LBB47_2586
; %bb.2575:
	v_cmp_gt_i16_e64 s[2:3], s26, 24
	s_and_b64 vcc, exec, s[2:3]
	s_cbranch_vccz .LBB47_2587
; %bb.2576:
	global_load_ubyte v7, v[8:9], off
	s_movk_i32 s2, 0x7f
                                        ; implicit-def: $sgpr16
	s_waitcnt vmcnt(0)
	v_cmp_lt_i16_e32 vcc, s2, v7
	s_mov_b64 s[2:3], 0
	s_and_saveexec_b64 s[6:7], vcc
	s_xor_b64 s[6:7], exec, s[6:7]
	s_cbranch_execz .LBB47_2599
; %bb.2577:
	s_movk_i32 s2, 0x80
	v_cmp_eq_u16_e32 vcc, s2, v7
	s_mov_b64 s[2:3], -1
                                        ; implicit-def: $sgpr16
	s_and_saveexec_b64 s[10:11], vcc
; %bb.2578:
	s_mov_b32 s16, 0x7f800001
	s_xor_b64 s[2:3], exec, -1
; %bb.2579:
	s_or_b64 exec, exec, s[10:11]
	s_and_b64 s[2:3], s[2:3], exec
	s_or_saveexec_b64 s[6:7], s[6:7]
	v_mov_b32_e32 v10, s16
	s_xor_b64 exec, exec, s[6:7]
	s_cbranch_execnz .LBB47_2600
.LBB47_2580:
	s_or_b64 exec, exec, s[6:7]
	s_and_saveexec_b64 s[6:7], s[2:3]
	s_cbranch_execz .LBB47_2582
.LBB47_2581:
	v_lshlrev_b32_e32 v10, 24, v7
	v_and_b32_e32 v7, 0xffff, v7
	v_and_b32_e32 v11, 3, v7
	v_ffbh_u32_e32 v15, v11
	v_min_u32_e32 v15, 32, v15
	v_subrev_u32_e32 v17, 29, v15
	v_bfe_u32 v13, v7, 2, 5
	v_lshlrev_b32_e32 v7, v17, v7
	v_sub_u32_e32 v15, 30, v15
	v_and_b32_e32 v7, 3, v7
	v_cmp_eq_u32_e32 vcc, 0, v13
	v_cndmask_b32_e32 v13, v13, v15, vcc
	v_cndmask_b32_e32 v7, v11, v7, vcc
	v_mov_b32_e32 v11, 0x37800000
	v_lshlrev_b32_e32 v7, 21, v7
	v_and_b32_e32 v10, 0x80000000, v10
	v_lshl_add_u32 v11, v13, 23, v11
	v_or3_b32 v10, v10, v11, v7
.LBB47_2582:
	s_or_b64 exec, exec, s[6:7]
	v_bfe_u32 v7, v10, 16, 1
	s_movk_i32 s2, 0x7fff
	v_add3_u32 v7, v10, v7, s2
	v_lshrrev_b32_e32 v7, 16, v7
	v_mov_b32_e32 v11, 0x7fc0
	v_cmp_o_f32_e32 vcc, v10, v10
	v_cndmask_b32_e32 v10, v11, v7, vcc
	s_mov_b64 s[2:3], 0
	s_branch .LBB47_2588
.LBB47_2583:
	s_mov_b64 s[2:3], -1
                                        ; implicit-def: $vgpr10
	s_branch .LBB47_2594
.LBB47_2584:
	s_or_saveexec_b64 s[10:11], s[10:11]
	v_mov_b32_e32 v10, s18
	s_xor_b64 exec, exec, s[10:11]
	s_cbranch_execz .LBB47_2567
.LBB47_2585:
	v_cmp_ne_u16_e32 vcc, 0, v7
	s_andn2_b64 s[6:7], s[6:7], exec
	s_and_b64 s[16:17], vcc, exec
	v_mov_b32_e32 v10, 0
	s_or_b64 s[6:7], s[6:7], s[16:17]
	s_or_b64 exec, exec, s[10:11]
	s_and_saveexec_b64 s[10:11], s[6:7]
	s_cbranch_execnz .LBB47_2568
	s_branch .LBB47_2569
.LBB47_2586:
	s_mov_b64 s[2:3], -1
                                        ; implicit-def: $vgpr10
	s_branch .LBB47_2591
.LBB47_2587:
	s_mov_b64 s[2:3], -1
                                        ; implicit-def: $vgpr10
.LBB47_2588:
	s_and_b64 vcc, exec, s[2:3]
	s_cbranch_vccz .LBB47_2590
; %bb.2589:
	global_load_ubyte v7, v[8:9], off
	s_mov_b32 s2, 0x7f800000
	s_brev_b32 s3, 1
	s_movk_i32 s6, 0x7fff
	s_waitcnt vmcnt(1)
	v_mov_b32_e32 v10, 0x7fc0
	s_waitcnt vmcnt(0)
	v_lshlrev_b32_e32 v7, 24, v7
	v_and_b32_e32 v11, 0x7f000000, v7
	v_ffbh_u32_e32 v13, v11
	v_min_u32_e32 v13, 32, v13
	v_sub_u32_e64 v13, v13, 4 clamp
	v_lshlrev_b32_e32 v17, v13, v11
	v_lshlrev_b32_e32 v13, 23, v13
	v_lshrrev_b32_e32 v17, 4, v17
	v_add_u32_e32 v15, 0x1000000, v11
	v_sub_u32_e32 v13, v17, v13
	v_ashrrev_i32_e32 v15, 8, v15
	v_add_u32_e32 v13, 0x3c000000, v13
	v_and_or_b32 v13, v15, s2, v13
	v_cmp_ne_u32_e32 vcc, 0, v11
	v_cndmask_b32_e32 v11, 0, v13, vcc
	v_and_or_b32 v7, v7, s3, v11
	v_bfe_u32 v11, v11, 16, 1
	v_add3_u32 v11, v7, v11, s6
	v_lshrrev_b32_e32 v11, 16, v11
	v_cmp_o_f32_e32 vcc, v7, v7
	v_cndmask_b32_e32 v10, v10, v11, vcc
.LBB47_2590:
	s_mov_b64 s[2:3], 0
.LBB47_2591:
	s_andn2_b64 vcc, exec, s[2:3]
	s_cbranch_vccnz .LBB47_2593
; %bb.2592:
	global_load_ubyte v7, v[8:9], off
	s_movk_i32 s2, 0x7f00
	s_brev_b32 s3, 16
	s_brev_b32 s6, 1
	s_movk_i32 s7, 0x7fff
	s_waitcnt vmcnt(1)
	v_mov_b32_e32 v10, 0x7fc0
	s_waitcnt vmcnt(0)
	v_lshlrev_b16_e32 v11, 8, v7
	v_lshlrev_b32_e32 v7, 25, v7
	v_lshrrev_b32_e32 v13, 4, v7
	v_and_or_b32 v15, v11, s2, 0.5
	v_or_b32_e32 v13, 0x70000000, v13
	v_add_f32_e32 v15, -0.5, v15
	v_mul_f32_e32 v13, 0x7800000, v13
	v_cmp_gt_u32_e32 vcc, s3, v7
	v_bfe_i32 v11, v11, 0, 16
	v_cndmask_b32_e32 v7, v13, v15, vcc
	v_and_or_b32 v11, v11, s6, v7
	v_bfe_u32 v7, v7, 16, 1
	v_add3_u32 v7, v11, v7, s7
	v_lshrrev_b32_e32 v7, 16, v7
	v_cmp_o_f32_e32 vcc, v11, v11
	v_cndmask_b32_e32 v10, v10, v7, vcc
.LBB47_2593:
	s_mov_b64 s[2:3], 0
	s_mov_b64 s[6:7], -1
.LBB47_2594:
	s_andn2_b64 vcc, exec, s[2:3]
	s_mov_b64 s[2:3], 0
	s_cbranch_vccnz .LBB47_2605
; %bb.2595:
	v_cmp_gt_i16_e64 s[2:3], s26, 14
	s_and_b64 vcc, exec, s[2:3]
	s_cbranch_vccz .LBB47_2598
; %bb.2596:
	v_cmp_eq_u16_e64 s[0:1], s26, 15
	s_and_b64 vcc, exec, s[0:1]
	s_cbranch_vccz .LBB47_2601
; %bb.2597:
	global_load_ushort v10, v[8:9], off
	s_mov_b64 s[0:1], 0
	s_mov_b64 s[6:7], -1
	s_branch .LBB47_2602
.LBB47_2598:
	s_mov_b64 s[10:11], -1
                                        ; implicit-def: $vgpr10
	s_branch .LBB47_2603
.LBB47_2599:
	s_or_saveexec_b64 s[6:7], s[6:7]
	v_mov_b32_e32 v10, s16
	s_xor_b64 exec, exec, s[6:7]
	s_cbranch_execz .LBB47_2580
.LBB47_2600:
	v_cmp_ne_u16_e32 vcc, 0, v7
	s_andn2_b64 s[2:3], s[2:3], exec
	s_and_b64 s[10:11], vcc, exec
	v_mov_b32_e32 v10, 0
	s_or_b64 s[2:3], s[2:3], s[10:11]
	s_or_b64 exec, exec, s[6:7]
	s_and_saveexec_b64 s[6:7], s[2:3]
	s_cbranch_execnz .LBB47_2581
	s_branch .LBB47_2582
.LBB47_2601:
	s_mov_b64 s[0:1], -1
                                        ; implicit-def: $vgpr10
.LBB47_2602:
	s_mov_b64 s[10:11], 0
.LBB47_2603:
	s_mov_b64 s[2:3], 0
	s_and_b64 vcc, exec, s[10:11]
	s_cbranch_vccz .LBB47_2605
; %bb.2604:
	v_cmp_ne_u16_e64 s[0:1], s26, 11
	s_mov_b64 s[2:3], -1
                                        ; implicit-def: $vgpr10
.LBB47_2605:
	s_and_b64 vcc, exec, s[0:1]
	s_cbranch_vccnz .LBB47_2669
; %bb.2606:
	s_andn2_b64 vcc, exec, s[2:3]
	s_cbranch_vccnz .LBB47_2608
.LBB47_2607:
	global_load_ubyte v7, v[8:9], off
	s_mov_b64 s[6:7], -1
	s_waitcnt vmcnt(0)
	v_cmp_ne_u16_e32 vcc, 0, v7
	v_cndmask_b32_e64 v7, 0, 1.0, vcc
	v_lshrrev_b32_e32 v10, 16, v7
.LBB47_2608:
	s_mov_b64 s[0:1], 0
.LBB47_2609:
	s_and_b64 vcc, exec, s[0:1]
	s_cbranch_vccz .LBB47_2658
; %bb.2610:
	v_cmp_lt_i16_e64 s[0:1], s26, 5
	s_and_b64 vcc, exec, s[0:1]
	s_cbranch_vccnz .LBB47_2615
; %bb.2611:
	v_cmp_lt_i16_e64 s[0:1], s26, 8
	s_and_b64 vcc, exec, s[0:1]
	s_cbranch_vccnz .LBB47_2616
	;; [unrolled: 4-line block ×3, first 2 shown]
; %bb.2613:
	v_cmp_gt_i16_e64 s[0:1], s26, 9
	s_and_b64 vcc, exec, s[0:1]
	s_cbranch_vccz .LBB47_2618
; %bb.2614:
	global_load_dwordx2 v[10:11], v[8:9], off
	s_movk_i32 s0, 0x7fff
	v_mov_b32_e32 v7, 0x7fc0
	s_waitcnt vmcnt(0)
	v_cvt_f32_f64_e32 v10, v[10:11]
	v_bfe_u32 v11, v10, 16, 1
	v_add3_u32 v11, v10, v11, s0
	v_lshrrev_b32_e32 v11, 16, v11
	v_cmp_o_f32_e32 vcc, v10, v10
	v_cndmask_b32_e32 v10, v7, v11, vcc
	s_mov_b64 s[0:1], 0
	s_branch .LBB47_2619
.LBB47_2615:
	s_mov_b64 s[0:1], -1
                                        ; implicit-def: $vgpr10
	s_branch .LBB47_2637
.LBB47_2616:
	s_mov_b64 s[0:1], -1
                                        ; implicit-def: $vgpr10
	s_branch .LBB47_2625
.LBB47_2617:
	s_mov_b64 s[0:1], -1
                                        ; implicit-def: $vgpr10
	s_branch .LBB47_2622
.LBB47_2618:
	s_mov_b64 s[0:1], -1
                                        ; implicit-def: $vgpr10
.LBB47_2619:
	s_andn2_b64 vcc, exec, s[0:1]
	s_cbranch_vccnz .LBB47_2621
; %bb.2620:
	global_load_dword v7, v[8:9], off
	s_movk_i32 s0, 0x7fff
	s_waitcnt vmcnt(1)
	v_mov_b32_e32 v10, 0x7fc0
	s_waitcnt vmcnt(0)
	v_bfe_u32 v11, v7, 16, 1
	v_add3_u32 v11, v7, v11, s0
	v_lshrrev_b32_e32 v11, 16, v11
	v_cmp_o_f32_e32 vcc, v7, v7
	v_cndmask_b32_e32 v10, v10, v11, vcc
.LBB47_2621:
	s_mov_b64 s[0:1], 0
.LBB47_2622:
	s_andn2_b64 vcc, exec, s[0:1]
	s_cbranch_vccnz .LBB47_2624
; %bb.2623:
	global_load_dword v7, v[8:9], off
	s_movk_i32 s0, 0x7fff
	v_mov_b32_e32 v11, 0x7fc0
	s_waitcnt vmcnt(0)
	v_cvt_f32_f16_e32 v10, v7
	v_cmp_o_f16_e32 vcc, v7, v7
	v_bfe_u32 v13, v10, 16, 1
	v_add3_u32 v10, v10, v13, s0
	v_lshrrev_b32_e32 v10, 16, v10
	v_cndmask_b32_e32 v10, v11, v10, vcc
.LBB47_2624:
	s_mov_b64 s[0:1], 0
.LBB47_2625:
	s_andn2_b64 vcc, exec, s[0:1]
	s_cbranch_vccnz .LBB47_2636
; %bb.2626:
	v_cmp_lt_i16_e64 s[0:1], s26, 6
	s_and_b64 vcc, exec, s[0:1]
	s_cbranch_vccnz .LBB47_2629
; %bb.2627:
	v_cmp_gt_i16_e64 s[0:1], s26, 6
	s_and_b64 vcc, exec, s[0:1]
	s_cbranch_vccz .LBB47_2630
; %bb.2628:
	global_load_dwordx2 v[10:11], v[8:9], off
	s_movk_i32 s0, 0x7fff
	v_mov_b32_e32 v7, 0x7fc0
	s_waitcnt vmcnt(0)
	v_cvt_f32_f64_e32 v10, v[10:11]
	v_bfe_u32 v11, v10, 16, 1
	v_add3_u32 v11, v10, v11, s0
	v_lshrrev_b32_e32 v11, 16, v11
	v_cmp_o_f32_e32 vcc, v10, v10
	v_cndmask_b32_e32 v10, v7, v11, vcc
	s_mov_b64 s[0:1], 0
	s_branch .LBB47_2631
.LBB47_2629:
	s_mov_b64 s[0:1], -1
                                        ; implicit-def: $vgpr10
	s_branch .LBB47_2634
.LBB47_2630:
	s_mov_b64 s[0:1], -1
                                        ; implicit-def: $vgpr10
.LBB47_2631:
	s_andn2_b64 vcc, exec, s[0:1]
	s_cbranch_vccnz .LBB47_2633
; %bb.2632:
	global_load_dword v7, v[8:9], off
	s_movk_i32 s0, 0x7fff
	s_waitcnt vmcnt(1)
	v_mov_b32_e32 v10, 0x7fc0
	s_waitcnt vmcnt(0)
	v_bfe_u32 v11, v7, 16, 1
	v_add3_u32 v11, v7, v11, s0
	v_lshrrev_b32_e32 v11, 16, v11
	v_cmp_o_f32_e32 vcc, v7, v7
	v_cndmask_b32_e32 v10, v10, v11, vcc
.LBB47_2633:
	s_mov_b64 s[0:1], 0
.LBB47_2634:
	s_andn2_b64 vcc, exec, s[0:1]
	s_cbranch_vccnz .LBB47_2636
; %bb.2635:
	global_load_ushort v7, v[8:9], off
	s_movk_i32 s0, 0x7fff
	v_mov_b32_e32 v11, 0x7fc0
	s_waitcnt vmcnt(0)
	v_cvt_f32_f16_e32 v10, v7
	v_cmp_o_f16_e32 vcc, v7, v7
	v_bfe_u32 v13, v10, 16, 1
	v_add3_u32 v10, v10, v13, s0
	v_lshrrev_b32_e32 v10, 16, v10
	v_cndmask_b32_e32 v10, v11, v10, vcc
.LBB47_2636:
	s_mov_b64 s[0:1], 0
.LBB47_2637:
	s_andn2_b64 vcc, exec, s[0:1]
	s_cbranch_vccnz .LBB47_2657
; %bb.2638:
	v_cmp_lt_i16_e64 s[0:1], s26, 2
	s_and_b64 vcc, exec, s[0:1]
	s_cbranch_vccnz .LBB47_2642
; %bb.2639:
	v_cmp_lt_i16_e64 s[0:1], s26, 3
	s_and_b64 vcc, exec, s[0:1]
	s_cbranch_vccnz .LBB47_2643
; %bb.2640:
	v_cmp_gt_i16_e64 s[0:1], s26, 3
	s_and_b64 vcc, exec, s[0:1]
	s_cbranch_vccz .LBB47_2644
; %bb.2641:
	global_load_dwordx2 v[10:11], v[8:9], off
	s_movk_i32 s0, 0x7fff
	s_waitcnt vmcnt(0)
	v_xor_b32_e32 v13, v10, v11
	v_ffbh_i32_e32 v7, v11
	v_ashrrev_i32_e32 v13, 31, v13
	v_add_u32_e32 v7, -1, v7
	v_add_u32_e32 v13, 32, v13
	v_min_u32_e32 v7, v7, v13
	v_lshlrev_b64 v[10:11], v7, v[10:11]
	v_min_u32_e32 v10, 1, v10
	v_or_b32_e32 v10, v11, v10
	v_cvt_f32_i32_e32 v10, v10
	v_sub_u32_e32 v7, 32, v7
	v_ldexp_f32 v7, v10, v7
	v_bfe_u32 v10, v7, 16, 1
	v_add3_u32 v7, v7, v10, s0
	v_lshrrev_b32_e32 v10, 16, v7
	s_mov_b64 s[0:1], 0
	s_branch .LBB47_2645
.LBB47_2642:
	s_mov_b64 s[0:1], -1
                                        ; implicit-def: $vgpr10
	s_branch .LBB47_2651
.LBB47_2643:
	s_mov_b64 s[0:1], -1
                                        ; implicit-def: $vgpr10
	s_branch .LBB47_2648
.LBB47_2644:
	s_mov_b64 s[0:1], -1
                                        ; implicit-def: $vgpr10
.LBB47_2645:
	s_andn2_b64 vcc, exec, s[0:1]
	s_cbranch_vccnz .LBB47_2647
; %bb.2646:
	global_load_dword v7, v[8:9], off
	s_movk_i32 s0, 0x7fff
	s_waitcnt vmcnt(0)
	v_cvt_f32_i32_e32 v7, v7
	v_bfe_u32 v10, v7, 16, 1
	v_add3_u32 v7, v7, v10, s0
	v_lshrrev_b32_e32 v10, 16, v7
.LBB47_2647:
	s_mov_b64 s[0:1], 0
.LBB47_2648:
	s_andn2_b64 vcc, exec, s[0:1]
	s_cbranch_vccnz .LBB47_2650
; %bb.2649:
	global_load_sshort v7, v[8:9], off
	s_movk_i32 s0, 0x7fff
	s_waitcnt vmcnt(0)
	v_cvt_f32_i32_e32 v7, v7
	v_bfe_u32 v10, v7, 16, 1
	v_add3_u32 v7, v7, v10, s0
	v_lshrrev_b32_e32 v10, 16, v7
.LBB47_2650:
	s_mov_b64 s[0:1], 0
.LBB47_2651:
	s_andn2_b64 vcc, exec, s[0:1]
	s_cbranch_vccnz .LBB47_2657
; %bb.2652:
	v_cmp_gt_i16_e64 s[0:1], s26, 0
	s_and_b64 vcc, exec, s[0:1]
	s_cbranch_vccz .LBB47_2654
; %bb.2653:
	global_load_sbyte v7, v[8:9], off
	s_movk_i32 s0, 0x7fff
	s_waitcnt vmcnt(0)
	v_cvt_f32_i32_e32 v7, v7
	v_bfe_u32 v10, v7, 16, 1
	v_add3_u32 v7, v7, v10, s0
	v_lshrrev_b32_e32 v10, 16, v7
	s_mov_b64 s[0:1], 0
	s_branch .LBB47_2655
.LBB47_2654:
	s_mov_b64 s[0:1], -1
                                        ; implicit-def: $vgpr10
.LBB47_2655:
	s_andn2_b64 vcc, exec, s[0:1]
	s_cbranch_vccnz .LBB47_2657
; %bb.2656:
	global_load_ubyte v7, v[8:9], off
	s_movk_i32 s0, 0x7fff
	s_waitcnt vmcnt(0)
	v_cvt_f32_ubyte0_e32 v7, v7
	v_bfe_u32 v8, v7, 16, 1
	v_add3_u32 v7, v7, v8, s0
	v_lshrrev_b32_e32 v10, 16, v7
.LBB47_2657:
	s_mov_b64 s[6:7], -1
.LBB47_2658:
	s_andn2_b64 vcc, exec, s[6:7]
	s_cbranch_vccnz .LBB47_3112
; %bb.2659:
	s_waitcnt vmcnt(0)
	v_and_b32_e32 v8, 0x7fff, v1
	v_and_b32_e32 v1, 0xffff8000, v3
	v_mov_b32_e32 v3, s9
	v_add_co_u32_e32 v6, vcc, s8, v6
	s_lshr_b32 s18, s24, 8
	v_addc_co_u32_e32 v7, vcc, 0, v3, vcc
	v_mov_b32_e32 v3, 11
	v_cmp_lt_i16_sdwa s[0:1], s18, v3 src0_sel:BYTE_0 src1_sel:DWORD
	v_or_b32_e32 v1, v1, v8
	s_and_b64 vcc, exec, s[0:1]
	s_cbranch_vccnz .LBB47_2666
; %bb.2660:
	v_mov_b32_e32 v3, 25
	v_cmp_gt_i16_sdwa s[0:1], s18, v3 src0_sel:BYTE_0 src1_sel:DWORD
	s_mov_b64 s[10:11], -1
	s_mov_b64 s[2:3], 0
	s_and_b64 vcc, exec, s[0:1]
	s_mov_b64 s[6:7], 0
	s_mov_b64 s[0:1], 0
	s_cbranch_vccz .LBB47_2698
; %bb.2661:
	v_mov_b32_e32 v3, 28
	v_cmp_gt_i16_sdwa s[0:1], s18, v3 src0_sel:BYTE_0 src1_sel:DWORD
	s_and_b64 vcc, exec, s[0:1]
	s_cbranch_vccz .LBB47_2667
; %bb.2662:
	v_mov_b32_e32 v3, 43
	v_cmp_gt_i16_sdwa s[0:1], s18, v3 src0_sel:BYTE_0 src1_sel:DWORD
	s_and_b64 vcc, exec, s[0:1]
	;; [unrolled: 5-line block ×3, first 2 shown]
	s_cbranch_vccz .LBB47_2670
; %bb.2664:
	v_mov_b32_e32 v3, 46
	v_cmp_eq_u16_sdwa s[6:7], s18, v3 src0_sel:BYTE_0 src1_sel:DWORD
	s_mov_b64 s[0:1], -1
	s_mov_b64 s[10:11], 0
	s_and_b64 vcc, exec, s[6:7]
	s_mov_b64 s[6:7], 0
	s_cbranch_vccz .LBB47_2671
; %bb.2665:
	v_and_b32_e32 v3, 0xffff, v1
	global_store_dword v[6:7], v3, off
	s_mov_b64 s[0:1], 0
	s_mov_b64 s[6:7], -1
	s_branch .LBB47_2671
.LBB47_2666:
	s_mov_b64 s[0:1], -1
	s_mov_b64 s[6:7], 0
	s_branch .LBB47_2742
.LBB47_2667:
	s_mov_b64 s[0:1], 0
	s_branch .LBB47_2681
.LBB47_2668:
	s_mov_b64 s[0:1], 0
	s_branch .LBB47_2677
.LBB47_2669:
	s_trap 2
	s_or_b64 s[4:5], s[4:5], exec
                                        ; implicit-def: $vgpr10
	s_cbranch_execz .LBB47_2607
	s_branch .LBB47_2608
.LBB47_2670:
	s_mov_b64 s[0:1], 0
.LBB47_2671:
	s_and_b64 vcc, exec, s[10:11]
	s_cbranch_vccz .LBB47_2676
; %bb.2672:
	v_mov_b32_e32 v3, 44
	v_cmp_eq_u16_sdwa s[10:11], s18, v3 src0_sel:BYTE_0 src1_sel:DWORD
	s_mov_b64 s[0:1], -1
	s_and_b64 vcc, exec, s[10:11]
	s_cbranch_vccz .LBB47_2676
; %bb.2673:
	v_and_b32_e32 v9, 0xffff, v1
	v_bfe_u32 v3, v9, 7, 8
	s_movk_i32 s0, 0xff
	v_cmp_ne_u32_e32 vcc, s0, v3
	v_mov_b32_e32 v11, 0xff
	s_and_saveexec_b64 s[6:7], vcc
; %bb.2674:
	v_lshlrev_b32_e32 v13, 16, v9
	s_mov_b32 s0, 0x3f0000
	v_lshrrev_b32_e32 v11, 7, v9
	v_and_b32_e32 v9, 64, v9
	v_and_or_b32 v3, v13, s0, v3
	v_cmp_ne_u32_e32 vcc, 0, v9
	v_cmp_ne_u32_e64 s[0:1], 0, v3
	s_and_b64 s[0:1], vcc, s[0:1]
	v_cndmask_b32_e64 v3, 0, 1, s[0:1]
	v_add_u32_e32 v11, v11, v3
; %bb.2675:
	s_or_b64 exec, exec, s[6:7]
	s_mov_b64 s[0:1], 0
	s_mov_b64 s[6:7], -1
	global_store_byte v[6:7], v11, off
.LBB47_2676:
	s_mov_b64 s[10:11], 0
.LBB47_2677:
	s_and_b64 vcc, exec, s[10:11]
	s_cbranch_vccz .LBB47_2680
; %bb.2678:
	v_mov_b32_e32 v3, 29
	v_cmp_eq_u16_sdwa s[10:11], s18, v3 src0_sel:BYTE_0 src1_sel:DWORD
	s_mov_b64 s[0:1], -1
	s_and_b64 vcc, exec, s[10:11]
	s_cbranch_vccz .LBB47_2680
; %bb.2679:
	v_lshlrev_b32_e32 v3, 16, v1
	v_trunc_f32_e32 v3, v3
	v_mul_f32_e32 v9, 0x2f800000, v3
	v_floor_f32_e32 v9, v9
	v_fmac_f32_e32 v3, 0xcf800000, v9
	v_cvt_u32_f32_e32 v21, v9
	v_cvt_u32_f32_e32 v20, v3
	s_mov_b64 s[0:1], 0
	s_mov_b64 s[6:7], -1
	s_mov_b64 s[10:11], 0
	global_store_dwordx2 v[6:7], v[20:21], off
	s_branch .LBB47_2681
.LBB47_2680:
	s_mov_b64 s[10:11], 0
.LBB47_2681:
	s_and_b64 vcc, exec, s[10:11]
	s_cbranch_vccz .LBB47_2697
; %bb.2682:
	v_mov_b32_e32 v3, 27
	v_cmp_lt_i16_sdwa s[10:11], s18, v3 src0_sel:BYTE_0 src1_sel:DWORD
	s_mov_b64 s[6:7], -1
	s_and_b64 vcc, exec, s[10:11]
	s_cbranch_vccnz .LBB47_2688
; %bb.2683:
	v_cmp_gt_i16_sdwa s[10:11], s18, v3 src0_sel:BYTE_0 src1_sel:DWORD
	s_and_b64 vcc, exec, s[10:11]
	s_cbranch_vccz .LBB47_2685
; %bb.2684:
	v_lshlrev_b32_e32 v3, 16, v1
	v_cvt_u32_f32_e32 v3, v3
	s_mov_b64 s[6:7], 0
	global_store_dword v[6:7], v3, off
.LBB47_2685:
	s_andn2_b64 vcc, exec, s[6:7]
	s_cbranch_vccnz .LBB47_2687
; %bb.2686:
	v_lshlrev_b32_e32 v3, 16, v1
	v_cvt_u32_f32_e32 v3, v3
	global_store_short v[6:7], v3, off
.LBB47_2687:
	s_mov_b64 s[6:7], 0
.LBB47_2688:
	s_andn2_b64 vcc, exec, s[6:7]
	s_cbranch_vccnz .LBB47_2696
; %bb.2689:
	v_lshlrev_b32_e32 v11, 16, v1
	v_and_b32_e32 v9, 0x7fffffff, v11
	s_mov_b32 s6, 0x43800000
	v_cmp_gt_u32_e32 vcc, s6, v9
	v_mov_b32_e32 v13, 0x80
	s_and_saveexec_b64 s[6:7], vcc
	s_cbranch_execz .LBB47_2695
; %bb.2690:
	s_mov_b32 s10, 0x3bffffff
	v_and_b32_e32 v3, 0xffff, v1
	v_cmp_lt_u32_e32 vcc, s10, v9
	s_mov_b64 s[10:11], 0
                                        ; implicit-def: $vgpr9
	s_and_saveexec_b64 s[16:17], vcc
	s_xor_b64 s[16:17], exec, s[16:17]
	s_cbranch_execz .LBB47_2791
; %bb.2691:
	v_bfe_u32 v9, v3, 4, 1
	s_mov_b32 s19, 0x487ffff
	v_add3_u32 v9, v11, v9, s19
	s_mov_b64 s[10:11], exec
	v_lshrrev_b32_e32 v9, 20, v9
                                        ; implicit-def: $vgpr11
	s_or_saveexec_b64 s[16:17], s[16:17]
                                        ; implicit-def: $sgpr19
	s_xor_b64 exec, exec, s[16:17]
	s_cbranch_execnz .LBB47_2792
.LBB47_2692:
	s_or_b64 exec, exec, s[16:17]
	v_mov_b32_e32 v13, s19
	s_and_saveexec_b64 s[16:17], s[10:11]
.LBB47_2693:
	v_lshrrev_b32_e32 v3, 8, v3
	s_movk_i32 s10, 0x80
	v_and_or_b32 v13, v3, s10, v9
.LBB47_2694:
	s_or_b64 exec, exec, s[16:17]
.LBB47_2695:
	s_or_b64 exec, exec, s[6:7]
	global_store_byte v[6:7], v13, off
.LBB47_2696:
	s_mov_b64 s[6:7], -1
.LBB47_2697:
	s_mov_b64 s[10:11], 0
.LBB47_2698:
	s_and_b64 vcc, exec, s[10:11]
	s_cbranch_vccz .LBB47_2738
; %bb.2699:
	v_mov_b32_e32 v3, 22
	v_cmp_gt_i16_sdwa s[10:11], s18, v3 src0_sel:BYTE_0 src1_sel:DWORD
	s_mov_b64 s[2:3], -1
	s_and_b64 vcc, exec, s[10:11]
	s_cbranch_vccz .LBB47_2731
; %bb.2700:
	v_mov_b32_e32 v3, 24
	v_cmp_lt_i16_sdwa s[6:7], s18, v3 src0_sel:BYTE_0 src1_sel:DWORD
	s_and_b64 vcc, exec, s[6:7]
	s_cbranch_vccnz .LBB47_2720
; %bb.2701:
	v_cmp_gt_i16_sdwa s[6:7], s18, v3 src0_sel:BYTE_0 src1_sel:DWORD
	s_and_b64 vcc, exec, s[6:7]
	s_cbranch_vccz .LBB47_2709
; %bb.2702:
	v_lshlrev_b32_e32 v11, 16, v1
	v_and_b32_e32 v9, 0x7fffffff, v11
	s_mov_b32 s2, 0x47800000
	v_cmp_gt_u32_e32 vcc, s2, v9
	v_mov_b32_e32 v13, 0x80
	s_and_saveexec_b64 s[2:3], vcc
	s_cbranch_execz .LBB47_2708
; %bb.2703:
	s_mov_b32 s6, 0x37ffffff
	v_and_b32_e32 v3, 0xffff, v1
	v_cmp_lt_u32_e32 vcc, s6, v9
	s_mov_b64 s[6:7], 0
                                        ; implicit-def: $vgpr9
	s_and_saveexec_b64 s[10:11], vcc
	s_xor_b64 s[10:11], exec, s[10:11]
	s_cbranch_execz .LBB47_2795
; %bb.2704:
	v_bfe_u32 v9, v3, 5, 1
	s_mov_b32 s16, 0x88fffff
	v_add3_u32 v9, v11, v9, s16
	s_mov_b64 s[6:7], exec
	v_lshrrev_b32_e32 v9, 21, v9
                                        ; implicit-def: $vgpr11
	s_or_saveexec_b64 s[10:11], s[10:11]
                                        ; implicit-def: $sgpr16
	s_xor_b64 exec, exec, s[10:11]
	s_cbranch_execnz .LBB47_2796
.LBB47_2705:
	s_or_b64 exec, exec, s[10:11]
	v_mov_b32_e32 v13, s16
	s_and_saveexec_b64 s[10:11], s[6:7]
.LBB47_2706:
	v_lshrrev_b32_e32 v3, 8, v3
	s_movk_i32 s6, 0x80
	v_and_or_b32 v13, v3, s6, v9
.LBB47_2707:
	s_or_b64 exec, exec, s[10:11]
.LBB47_2708:
	s_or_b64 exec, exec, s[2:3]
	s_mov_b64 s[2:3], 0
	global_store_byte v[6:7], v13, off
.LBB47_2709:
	s_and_b64 vcc, exec, s[2:3]
	s_cbranch_vccz .LBB47_2719
; %bb.2710:
	v_lshlrev_b32_e32 v11, 16, v1
	v_and_b32_e32 v13, 0x7fffffff, v11
	s_mov_b32 s2, 0x43f00000
	v_and_b32_e32 v3, 0xffff, v1
	v_cmp_gt_u32_e32 vcc, s2, v13
                                        ; implicit-def: $vgpr9
	s_and_saveexec_b64 s[2:3], vcc
	s_xor_b64 s[2:3], exec, s[2:3]
	s_cbranch_execz .LBB47_2716
; %bb.2711:
	s_mov_b32 s6, 0x3c7fffff
	v_cmp_lt_u32_e32 vcc, s6, v13
                                        ; implicit-def: $vgpr9
	s_and_saveexec_b64 s[6:7], vcc
	s_xor_b64 s[6:7], exec, s[6:7]
; %bb.2712:
	v_bfe_u32 v9, v3, 4, 1
	s_mov_b32 s10, 0x407ffff
	v_add3_u32 v9, v11, v9, s10
	v_lshrrev_b32_e32 v11, 20, v9
	v_and_b32_e32 v9, 0xff00000, v9
	s_mov_b32 s10, 0x7f00000
	v_mov_b32_e32 v13, 0x7e
	v_cmp_ne_u32_e32 vcc, s10, v9
	v_cndmask_b32_e32 v9, v13, v11, vcc
                                        ; implicit-def: $vgpr11
; %bb.2713:
	s_andn2_saveexec_b64 s[6:7], s[6:7]
; %bb.2714:
	s_mov_b32 s10, 0x46800000
	v_add_f32_e64 v9, |v11|, s10
; %bb.2715:
	s_or_b64 exec, exec, s[6:7]
                                        ; implicit-def: $vgpr13
.LBB47_2716:
	s_andn2_saveexec_b64 s[2:3], s[2:3]
; %bb.2717:
	s_mov_b32 s6, 0x7f800000
	v_mov_b32_e32 v9, 0x7e
	v_mov_b32_e32 v11, 0x7f
	v_cmp_lt_u32_e32 vcc, s6, v13
	v_cndmask_b32_e32 v9, v9, v11, vcc
; %bb.2718:
	s_or_b64 exec, exec, s[2:3]
	v_lshrrev_b32_e32 v3, 8, v3
	s_movk_i32 s2, 0x80
	v_and_or_b32 v3, v3, s2, v9
	global_store_byte v[6:7], v3, off
.LBB47_2719:
	s_mov_b64 s[2:3], 0
.LBB47_2720:
	s_andn2_b64 vcc, exec, s[2:3]
	s_cbranch_vccnz .LBB47_2730
; %bb.2721:
	v_lshlrev_b32_e32 v11, 16, v1
	v_and_b32_e32 v13, 0x7fffffff, v11
	s_mov_b32 s2, 0x47800000
	v_and_b32_e32 v3, 0xffff, v1
	v_cmp_gt_u32_e32 vcc, s2, v13
                                        ; implicit-def: $vgpr9
	s_and_saveexec_b64 s[2:3], vcc
	s_xor_b64 s[2:3], exec, s[2:3]
	s_cbranch_execz .LBB47_2727
; %bb.2722:
	s_mov_b32 s6, 0x387fffff
	v_cmp_lt_u32_e32 vcc, s6, v13
                                        ; implicit-def: $vgpr9
	s_and_saveexec_b64 s[6:7], vcc
	s_xor_b64 s[6:7], exec, s[6:7]
; %bb.2723:
	v_bfe_u32 v9, v3, 5, 1
	s_mov_b32 s10, 0x80fffff
	v_add3_u32 v9, v11, v9, s10
	v_lshrrev_b32_e32 v9, 21, v9
                                        ; implicit-def: $vgpr11
; %bb.2724:
	s_andn2_saveexec_b64 s[6:7], s[6:7]
; %bb.2725:
	s_mov_b32 s10, 0x43000000
	v_add_f32_e64 v9, |v11|, s10
; %bb.2726:
	s_or_b64 exec, exec, s[6:7]
                                        ; implicit-def: $vgpr13
.LBB47_2727:
	s_andn2_saveexec_b64 s[2:3], s[2:3]
; %bb.2728:
	s_mov_b32 s6, 0x7f800000
	v_mov_b32_e32 v9, 0x7c
	v_mov_b32_e32 v11, 0x7f
	v_cmp_lt_u32_e32 vcc, s6, v13
	v_cndmask_b32_e32 v9, v9, v11, vcc
; %bb.2729:
	s_or_b64 exec, exec, s[2:3]
	v_lshrrev_b32_e32 v3, 8, v3
	s_movk_i32 s2, 0x80
	v_and_or_b32 v3, v3, s2, v9
	global_store_byte v[6:7], v3, off
.LBB47_2730:
	s_mov_b64 s[2:3], 0
	s_mov_b64 s[6:7], -1
.LBB47_2731:
	s_andn2_b64 vcc, exec, s[2:3]
	s_mov_b64 s[2:3], 0
	s_cbranch_vccnz .LBB47_2738
; %bb.2732:
	v_mov_b32_e32 v3, 14
	v_cmp_gt_i16_sdwa s[2:3], s18, v3 src0_sel:BYTE_0 src1_sel:DWORD
	s_mov_b64 s[10:11], -1
	s_and_b64 vcc, exec, s[2:3]
	s_cbranch_vccz .LBB47_2736
; %bb.2733:
	v_mov_b32_e32 v3, 15
	v_cmp_eq_u16_sdwa s[2:3], s18, v3 src0_sel:BYTE_0 src1_sel:DWORD
	s_mov_b64 s[0:1], -1
	s_and_b64 vcc, exec, s[2:3]
	s_cbranch_vccz .LBB47_2735
; %bb.2734:
	global_store_short v[6:7], v1, off
	s_mov_b64 s[0:1], 0
	s_mov_b64 s[6:7], -1
.LBB47_2735:
	s_mov_b64 s[10:11], 0
.LBB47_2736:
	s_mov_b64 s[2:3], 0
	s_and_b64 vcc, exec, s[10:11]
	s_cbranch_vccz .LBB47_2738
; %bb.2737:
	v_mov_b32_e32 v3, 11
	v_cmp_ne_u16_sdwa s[0:1], s18, v3 src0_sel:BYTE_0 src1_sel:DWORD
	s_mov_b64 s[2:3], -1
.LBB47_2738:
	s_and_b64 vcc, exec, s[0:1]
	s_cbranch_vccnz .LBB47_2794
; %bb.2739:
	s_andn2_b64 vcc, exec, s[2:3]
	s_cbranch_vccnz .LBB47_2741
.LBB47_2740:
	v_cmp_ne_u16_e32 vcc, 0, v8
	v_cndmask_b32_e64 v3, 0, 1, vcc
	s_mov_b64 s[6:7], -1
	global_store_byte v[6:7], v3, off
.LBB47_2741:
	s_mov_b64 s[0:1], 0
.LBB47_2742:
	s_and_b64 vcc, exec, s[0:1]
	s_cbranch_vccz .LBB47_2781
; %bb.2743:
	v_mov_b32_e32 v3, 5
	v_cmp_lt_i16_sdwa s[2:3], s18, v3 src0_sel:BYTE_0 src1_sel:DWORD
	s_mov_b64 s[0:1], -1
	s_and_b64 vcc, exec, s[2:3]
	s_cbranch_vccnz .LBB47_2764
; %bb.2744:
	v_mov_b32_e32 v3, 8
	v_cmp_lt_i16_sdwa s[2:3], s18, v3 src0_sel:BYTE_0 src1_sel:DWORD
	s_and_b64 vcc, exec, s[2:3]
	s_cbranch_vccnz .LBB47_2754
; %bb.2745:
	v_mov_b32_e32 v3, 9
	v_cmp_lt_i16_sdwa s[2:3], s18, v3 src0_sel:BYTE_0 src1_sel:DWORD
	s_and_b64 vcc, exec, s[2:3]
	s_cbranch_vccnz .LBB47_2751
; %bb.2746:
	v_cmp_gt_i16_sdwa s[2:3], s18, v3 src0_sel:BYTE_0 src1_sel:DWORD
	s_and_b64 vcc, exec, s[2:3]
	s_cbranch_vccz .LBB47_2748
; %bb.2747:
	v_lshlrev_b32_e32 v3, 16, v1
	v_mov_b32_e32 v22, 0
	v_cvt_f64_f32_e32 v[20:21], v3
	v_mov_b32_e32 v23, v22
	global_store_dwordx4 v[6:7], v[20:23], off
	s_mov_b64 s[0:1], 0
.LBB47_2748:
	s_andn2_b64 vcc, exec, s[0:1]
	s_cbranch_vccnz .LBB47_2750
; %bb.2749:
	v_lshlrev_b32_e32 v8, 16, v1
	v_mov_b32_e32 v9, 0
	global_store_dwordx2 v[6:7], v[8:9], off
.LBB47_2750:
	s_mov_b64 s[0:1], 0
.LBB47_2751:
	s_andn2_b64 vcc, exec, s[0:1]
	s_cbranch_vccnz .LBB47_2753
; %bb.2752:
	v_lshlrev_b32_e32 v3, 16, v1
	v_cvt_f16_f32_e32 v3, v3
	global_store_dword v[6:7], v3, off
.LBB47_2753:
	s_mov_b64 s[0:1], 0
.LBB47_2754:
	s_andn2_b64 vcc, exec, s[0:1]
	s_cbranch_vccnz .LBB47_2763
; %bb.2755:
	v_mov_b32_e32 v3, 6
	v_cmp_lt_i16_sdwa s[2:3], s18, v3 src0_sel:BYTE_0 src1_sel:DWORD
	s_mov_b64 s[0:1], -1
	s_and_b64 vcc, exec, s[2:3]
	s_cbranch_vccnz .LBB47_2761
; %bb.2756:
	v_cmp_gt_i16_sdwa s[2:3], s18, v3 src0_sel:BYTE_0 src1_sel:DWORD
	s_and_b64 vcc, exec, s[2:3]
	s_cbranch_vccz .LBB47_2758
; %bb.2757:
	v_lshlrev_b32_e32 v3, 16, v1
	v_cvt_f64_f32_e32 v[8:9], v3
	global_store_dwordx2 v[6:7], v[8:9], off
	s_mov_b64 s[0:1], 0
.LBB47_2758:
	s_andn2_b64 vcc, exec, s[0:1]
	s_cbranch_vccnz .LBB47_2760
; %bb.2759:
	v_lshlrev_b32_e32 v3, 16, v1
	global_store_dword v[6:7], v3, off
.LBB47_2760:
	s_mov_b64 s[0:1], 0
.LBB47_2761:
	s_andn2_b64 vcc, exec, s[0:1]
	s_cbranch_vccnz .LBB47_2763
; %bb.2762:
	v_lshlrev_b32_e32 v3, 16, v1
	v_cvt_f16_f32_e32 v3, v3
	global_store_short v[6:7], v3, off
.LBB47_2763:
	s_mov_b64 s[0:1], 0
.LBB47_2764:
	s_andn2_b64 vcc, exec, s[0:1]
	s_cbranch_vccnz .LBB47_2780
; %bb.2765:
	v_mov_b32_e32 v3, 2
	v_cmp_lt_i16_sdwa s[2:3], s18, v3 src0_sel:BYTE_0 src1_sel:DWORD
	s_mov_b64 s[0:1], -1
	s_and_b64 vcc, exec, s[2:3]
	s_cbranch_vccnz .LBB47_2775
; %bb.2766:
	v_mov_b32_e32 v3, 3
	v_cmp_lt_i16_sdwa s[2:3], s18, v3 src0_sel:BYTE_0 src1_sel:DWORD
	s_and_b64 vcc, exec, s[2:3]
	s_cbranch_vccnz .LBB47_2772
; %bb.2767:
	v_cmp_gt_i16_sdwa s[2:3], s18, v3 src0_sel:BYTE_0 src1_sel:DWORD
	s_and_b64 vcc, exec, s[2:3]
	s_cbranch_vccz .LBB47_2769
; %bb.2768:
	v_lshlrev_b32_e32 v3, 16, v1
	v_trunc_f32_e32 v3, v3
	s_mov_b32 s0, 0x2f800000
	v_mul_f32_e64 v8, |v3|, s0
	v_floor_f32_e32 v8, v8
	s_mov_b32 s0, 0xcf800000
	v_cvt_u32_f32_e32 v9, v8
	v_fma_f32 v8, v8, s0, |v3|
	v_cvt_u32_f32_e32 v8, v8
	v_ashrrev_i32_e32 v3, 31, v3
	v_xor_b32_e32 v9, v9, v3
	s_mov_b64 s[0:1], 0
	v_xor_b32_e32 v8, v8, v3
	v_sub_co_u32_e32 v8, vcc, v8, v3
	v_subb_co_u32_e32 v9, vcc, v9, v3, vcc
	global_store_dwordx2 v[6:7], v[8:9], off
.LBB47_2769:
	s_andn2_b64 vcc, exec, s[0:1]
	s_cbranch_vccnz .LBB47_2771
; %bb.2770:
	v_lshlrev_b32_e32 v3, 16, v1
	v_cvt_i32_f32_e32 v3, v3
	global_store_dword v[6:7], v3, off
.LBB47_2771:
	s_mov_b64 s[0:1], 0
.LBB47_2772:
	s_andn2_b64 vcc, exec, s[0:1]
	s_cbranch_vccnz .LBB47_2774
; %bb.2773:
	v_lshlrev_b32_e32 v3, 16, v1
	v_cvt_i32_f32_e32 v3, v3
	global_store_short v[6:7], v3, off
.LBB47_2774:
	s_mov_b64 s[0:1], 0
.LBB47_2775:
	s_andn2_b64 vcc, exec, s[0:1]
	s_cbranch_vccnz .LBB47_2780
; %bb.2776:
	v_mov_b32_e32 v3, 0
	v_cmp_gt_i16_sdwa s[2:3], s18, v3 src0_sel:BYTE_0 src1_sel:DWORD
	s_mov_b64 s[0:1], -1
	s_and_b64 vcc, exec, s[2:3]
	v_lshlrev_b32_e32 v1, 16, v1
	s_cbranch_vccz .LBB47_2778
; %bb.2777:
	v_cvt_i32_f32_e32 v3, v1
	s_mov_b64 s[0:1], 0
	global_store_byte v[6:7], v3, off
.LBB47_2778:
	s_andn2_b64 vcc, exec, s[0:1]
	s_cbranch_vccnz .LBB47_2780
; %bb.2779:
	v_trunc_f32_e32 v1, v1
	s_mov_b32 s0, 0x2f800000
	v_mul_f32_e64 v3, |v1|, s0
	v_floor_f32_e32 v3, v3
	s_mov_b32 s0, 0xcf800000
	v_fma_f32 v3, v3, s0, |v1|
	v_cvt_u32_f32_e32 v3, v3
	v_ashrrev_i32_e32 v1, 31, v1
	v_xor_b32_e32 v3, v3, v1
	v_sub_u32_e32 v1, v3, v1
	global_store_byte v[6:7], v1, off
.LBB47_2780:
	s_mov_b64 s[6:7], -1
.LBB47_2781:
	s_andn2_b64 vcc, exec, s[6:7]
	s_cbranch_vccnz .LBB47_3112
; %bb.2782:
	v_and_b32_e32 v3, 0x7fff, v5
	v_mov_b32_e32 v5, s9
	v_add_co_u32_e32 v4, vcc, s8, v4
	v_mov_b32_e32 v6, 11
	v_and_b32_e32 v1, 0xffff8000, v18
	v_addc_co_u32_e32 v5, vcc, 0, v5, vcc
	v_cmp_lt_i16_sdwa s[0:1], s18, v6 src0_sel:BYTE_0 src1_sel:DWORD
	v_or_b32_e32 v1, v1, v3
	s_and_b64 vcc, exec, s[0:1]
	s_cbranch_vccnz .LBB47_2789
; %bb.2783:
	v_mov_b32_e32 v6, 25
	v_cmp_gt_i16_sdwa s[0:1], s18, v6 src0_sel:BYTE_0 src1_sel:DWORD
	s_mov_b64 s[10:11], -1
	s_mov_b64 s[2:3], 0
	s_and_b64 vcc, exec, s[0:1]
	s_mov_b64 s[6:7], 0
	s_mov_b64 s[0:1], 0
	s_cbranch_vccz .LBB47_2825
; %bb.2784:
	v_mov_b32_e32 v6, 28
	v_cmp_gt_i16_sdwa s[0:1], s18, v6 src0_sel:BYTE_0 src1_sel:DWORD
	s_and_b64 vcc, exec, s[0:1]
	s_cbranch_vccz .LBB47_2790
; %bb.2785:
	v_mov_b32_e32 v6, 43
	v_cmp_gt_i16_sdwa s[0:1], s18, v6 src0_sel:BYTE_0 src1_sel:DWORD
	s_and_b64 vcc, exec, s[0:1]
	;; [unrolled: 5-line block ×3, first 2 shown]
	s_cbranch_vccz .LBB47_2797
; %bb.2787:
	v_mov_b32_e32 v6, 46
	v_cmp_eq_u16_sdwa s[6:7], s18, v6 src0_sel:BYTE_0 src1_sel:DWORD
	s_mov_b64 s[0:1], -1
	s_mov_b64 s[10:11], 0
	s_and_b64 vcc, exec, s[6:7]
	s_mov_b64 s[6:7], 0
	s_cbranch_vccz .LBB47_2798
; %bb.2788:
	v_and_b32_e32 v6, 0xffff, v1
	global_store_dword v[4:5], v6, off
	s_mov_b64 s[0:1], 0
	s_mov_b64 s[6:7], -1
	s_branch .LBB47_2798
.LBB47_2789:
	s_mov_b64 s[0:1], -1
	s_mov_b64 s[6:7], 0
	s_branch .LBB47_2869
.LBB47_2790:
	s_mov_b64 s[0:1], 0
	s_branch .LBB47_2808
.LBB47_2791:
	s_or_saveexec_b64 s[16:17], s[16:17]
                                        ; implicit-def: $sgpr19
	s_xor_b64 exec, exec, s[16:17]
	s_cbranch_execz .LBB47_2692
.LBB47_2792:
	s_mov_b32 s19, 0x46000000
	v_add_f32_e64 v9, |v11|, s19
	v_and_b32_e32 v9, 0xff, v9
	v_cmp_ne_u32_e32 vcc, 0, v9
	s_andn2_b64 s[10:11], s[10:11], exec
	s_and_b64 s[20:21], vcc, exec
	s_mov_b32 s19, 0
	s_or_b64 s[10:11], s[10:11], s[20:21]
	s_or_b64 exec, exec, s[16:17]
	v_mov_b32_e32 v13, s19
	s_and_saveexec_b64 s[16:17], s[10:11]
	s_cbranch_execnz .LBB47_2693
	s_branch .LBB47_2694
.LBB47_2793:
	s_mov_b64 s[0:1], 0
	s_branch .LBB47_2804
.LBB47_2794:
	s_trap 2
	s_or_b64 s[4:5], s[4:5], exec
	s_cbranch_execz .LBB47_2740
	s_branch .LBB47_2741
.LBB47_2795:
	s_or_saveexec_b64 s[10:11], s[10:11]
                                        ; implicit-def: $sgpr16
	s_xor_b64 exec, exec, s[10:11]
	s_cbranch_execz .LBB47_2705
.LBB47_2796:
	s_mov_b32 s16, 0x42800000
	v_add_f32_e64 v9, |v11|, s16
	v_and_b32_e32 v9, 0xff, v9
	v_cmp_ne_u32_e32 vcc, 0, v9
	s_andn2_b64 s[6:7], s[6:7], exec
	s_and_b64 s[20:21], vcc, exec
	s_mov_b32 s16, 0
	s_or_b64 s[6:7], s[6:7], s[20:21]
	s_or_b64 exec, exec, s[10:11]
	v_mov_b32_e32 v13, s16
	s_and_saveexec_b64 s[10:11], s[6:7]
	s_cbranch_execnz .LBB47_2706
	s_branch .LBB47_2707
.LBB47_2797:
	s_mov_b64 s[0:1], 0
.LBB47_2798:
	s_and_b64 vcc, exec, s[10:11]
	s_cbranch_vccz .LBB47_2803
; %bb.2799:
	v_mov_b32_e32 v6, 44
	v_cmp_eq_u16_sdwa s[10:11], s18, v6 src0_sel:BYTE_0 src1_sel:DWORD
	s_mov_b64 s[0:1], -1
	s_and_b64 vcc, exec, s[10:11]
	s_cbranch_vccz .LBB47_2803
; %bb.2800:
	v_and_b32_e32 v7, 0xffff, v1
	v_bfe_u32 v6, v7, 7, 8
	s_movk_i32 s0, 0xff
	v_cmp_ne_u32_e32 vcc, s0, v6
	v_mov_b32_e32 v8, 0xff
	s_and_saveexec_b64 s[6:7], vcc
; %bb.2801:
	v_lshlrev_b32_e32 v9, 16, v7
	s_mov_b32 s0, 0x3f0000
	v_lshrrev_b32_e32 v8, 7, v7
	v_and_b32_e32 v7, 64, v7
	v_and_or_b32 v6, v9, s0, v6
	v_cmp_ne_u32_e32 vcc, 0, v7
	v_cmp_ne_u32_e64 s[0:1], 0, v6
	s_and_b64 s[0:1], vcc, s[0:1]
	v_cndmask_b32_e64 v6, 0, 1, s[0:1]
	v_add_u32_e32 v8, v8, v6
; %bb.2802:
	s_or_b64 exec, exec, s[6:7]
	s_mov_b64 s[0:1], 0
	s_mov_b64 s[6:7], -1
	global_store_byte v[4:5], v8, off
.LBB47_2803:
	s_mov_b64 s[10:11], 0
.LBB47_2804:
	s_and_b64 vcc, exec, s[10:11]
	s_cbranch_vccz .LBB47_2807
; %bb.2805:
	v_mov_b32_e32 v6, 29
	v_cmp_eq_u16_sdwa s[10:11], s18, v6 src0_sel:BYTE_0 src1_sel:DWORD
	s_mov_b64 s[0:1], -1
	s_and_b64 vcc, exec, s[10:11]
	s_cbranch_vccz .LBB47_2807
; %bb.2806:
	v_lshlrev_b32_e32 v6, 16, v1
	v_trunc_f32_e32 v6, v6
	v_mul_f32_e32 v7, 0x2f800000, v6
	v_floor_f32_e32 v8, v7
	v_fmac_f32_e32 v6, 0xcf800000, v8
	v_cvt_u32_f32_e32 v7, v8
	v_cvt_u32_f32_e32 v6, v6
	s_mov_b64 s[0:1], 0
	s_mov_b64 s[6:7], -1
	s_mov_b64 s[10:11], 0
	global_store_dwordx2 v[4:5], v[6:7], off
	s_branch .LBB47_2808
.LBB47_2807:
	s_mov_b64 s[10:11], 0
.LBB47_2808:
	s_and_b64 vcc, exec, s[10:11]
	s_cbranch_vccz .LBB47_2824
; %bb.2809:
	v_mov_b32_e32 v6, 27
	v_cmp_lt_i16_sdwa s[10:11], s18, v6 src0_sel:BYTE_0 src1_sel:DWORD
	s_mov_b64 s[6:7], -1
	s_and_b64 vcc, exec, s[10:11]
	s_cbranch_vccnz .LBB47_2815
; %bb.2810:
	v_cmp_gt_i16_sdwa s[10:11], s18, v6 src0_sel:BYTE_0 src1_sel:DWORD
	s_and_b64 vcc, exec, s[10:11]
	s_cbranch_vccz .LBB47_2812
; %bb.2811:
	v_lshlrev_b32_e32 v6, 16, v1
	v_cvt_u32_f32_e32 v6, v6
	s_mov_b64 s[6:7], 0
	global_store_dword v[4:5], v6, off
.LBB47_2812:
	s_andn2_b64 vcc, exec, s[6:7]
	s_cbranch_vccnz .LBB47_2814
; %bb.2813:
	v_lshlrev_b32_e32 v6, 16, v1
	v_cvt_u32_f32_e32 v6, v6
	global_store_short v[4:5], v6, off
.LBB47_2814:
	s_mov_b64 s[6:7], 0
.LBB47_2815:
	s_andn2_b64 vcc, exec, s[6:7]
	s_cbranch_vccnz .LBB47_2823
; %bb.2816:
	v_lshlrev_b32_e32 v8, 16, v1
	v_and_b32_e32 v7, 0x7fffffff, v8
	s_mov_b32 s6, 0x43800000
	v_cmp_gt_u32_e32 vcc, s6, v7
	v_mov_b32_e32 v9, 0x80
	s_and_saveexec_b64 s[6:7], vcc
	s_cbranch_execz .LBB47_2822
; %bb.2817:
	s_mov_b32 s10, 0x3bffffff
	v_and_b32_e32 v6, 0xffff, v1
	v_cmp_lt_u32_e32 vcc, s10, v7
	s_mov_b64 s[10:11], 0
                                        ; implicit-def: $vgpr7
	s_and_saveexec_b64 s[16:17], vcc
	s_xor_b64 s[16:17], exec, s[16:17]
	s_cbranch_execz .LBB47_2918
; %bb.2818:
	v_bfe_u32 v7, v6, 4, 1
	s_mov_b32 s19, 0x487ffff
	v_add3_u32 v7, v8, v7, s19
	s_mov_b64 s[10:11], exec
	v_lshrrev_b32_e32 v7, 20, v7
                                        ; implicit-def: $vgpr8
	s_or_saveexec_b64 s[16:17], s[16:17]
                                        ; implicit-def: $sgpr19
	s_xor_b64 exec, exec, s[16:17]
	s_cbranch_execnz .LBB47_2919
.LBB47_2819:
	s_or_b64 exec, exec, s[16:17]
	v_mov_b32_e32 v9, s19
	s_and_saveexec_b64 s[16:17], s[10:11]
.LBB47_2820:
	v_lshrrev_b32_e32 v6, 8, v6
	s_movk_i32 s10, 0x80
	v_and_or_b32 v9, v6, s10, v7
.LBB47_2821:
	s_or_b64 exec, exec, s[16:17]
.LBB47_2822:
	s_or_b64 exec, exec, s[6:7]
	global_store_byte v[4:5], v9, off
.LBB47_2823:
	s_mov_b64 s[6:7], -1
.LBB47_2824:
	s_mov_b64 s[10:11], 0
.LBB47_2825:
	s_and_b64 vcc, exec, s[10:11]
	s_cbranch_vccz .LBB47_2865
; %bb.2826:
	v_mov_b32_e32 v6, 22
	v_cmp_gt_i16_sdwa s[10:11], s18, v6 src0_sel:BYTE_0 src1_sel:DWORD
	s_mov_b64 s[2:3], -1
	s_and_b64 vcc, exec, s[10:11]
	s_cbranch_vccz .LBB47_2858
; %bb.2827:
	v_mov_b32_e32 v6, 24
	v_cmp_lt_i16_sdwa s[6:7], s18, v6 src0_sel:BYTE_0 src1_sel:DWORD
	s_and_b64 vcc, exec, s[6:7]
	s_cbranch_vccnz .LBB47_2847
; %bb.2828:
	v_cmp_gt_i16_sdwa s[6:7], s18, v6 src0_sel:BYTE_0 src1_sel:DWORD
	s_and_b64 vcc, exec, s[6:7]
	s_cbranch_vccz .LBB47_2836
; %bb.2829:
	v_lshlrev_b32_e32 v8, 16, v1
	v_and_b32_e32 v7, 0x7fffffff, v8
	s_mov_b32 s2, 0x47800000
	v_cmp_gt_u32_e32 vcc, s2, v7
	v_mov_b32_e32 v9, 0x80
	s_and_saveexec_b64 s[2:3], vcc
	s_cbranch_execz .LBB47_2835
; %bb.2830:
	s_mov_b32 s6, 0x37ffffff
	v_and_b32_e32 v6, 0xffff, v1
	v_cmp_lt_u32_e32 vcc, s6, v7
	s_mov_b64 s[6:7], 0
                                        ; implicit-def: $vgpr7
	s_and_saveexec_b64 s[10:11], vcc
	s_xor_b64 s[10:11], exec, s[10:11]
	s_cbranch_execz .LBB47_2922
; %bb.2831:
	v_bfe_u32 v7, v6, 5, 1
	s_mov_b32 s16, 0x88fffff
	v_add3_u32 v7, v8, v7, s16
	s_mov_b64 s[6:7], exec
	v_lshrrev_b32_e32 v7, 21, v7
                                        ; implicit-def: $vgpr8
	s_or_saveexec_b64 s[10:11], s[10:11]
                                        ; implicit-def: $sgpr16
	s_xor_b64 exec, exec, s[10:11]
	s_cbranch_execnz .LBB47_2923
.LBB47_2832:
	s_or_b64 exec, exec, s[10:11]
	v_mov_b32_e32 v9, s16
	s_and_saveexec_b64 s[10:11], s[6:7]
.LBB47_2833:
	v_lshrrev_b32_e32 v6, 8, v6
	s_movk_i32 s6, 0x80
	v_and_or_b32 v9, v6, s6, v7
.LBB47_2834:
	s_or_b64 exec, exec, s[10:11]
.LBB47_2835:
	s_or_b64 exec, exec, s[2:3]
	s_mov_b64 s[2:3], 0
	global_store_byte v[4:5], v9, off
.LBB47_2836:
	s_and_b64 vcc, exec, s[2:3]
	s_cbranch_vccz .LBB47_2846
; %bb.2837:
	v_lshlrev_b32_e32 v8, 16, v1
	v_and_b32_e32 v9, 0x7fffffff, v8
	s_mov_b32 s2, 0x43f00000
	v_and_b32_e32 v6, 0xffff, v1
	v_cmp_gt_u32_e32 vcc, s2, v9
                                        ; implicit-def: $vgpr7
	s_and_saveexec_b64 s[2:3], vcc
	s_xor_b64 s[2:3], exec, s[2:3]
	s_cbranch_execz .LBB47_2843
; %bb.2838:
	s_mov_b32 s6, 0x3c7fffff
	v_cmp_lt_u32_e32 vcc, s6, v9
                                        ; implicit-def: $vgpr7
	s_and_saveexec_b64 s[6:7], vcc
	s_xor_b64 s[6:7], exec, s[6:7]
; %bb.2839:
	v_bfe_u32 v7, v6, 4, 1
	s_mov_b32 s10, 0x407ffff
	v_add3_u32 v7, v8, v7, s10
	v_lshrrev_b32_e32 v8, 20, v7
	v_and_b32_e32 v7, 0xff00000, v7
	s_mov_b32 s10, 0x7f00000
	v_mov_b32_e32 v9, 0x7e
	v_cmp_ne_u32_e32 vcc, s10, v7
	v_cndmask_b32_e32 v7, v9, v8, vcc
                                        ; implicit-def: $vgpr8
; %bb.2840:
	s_andn2_saveexec_b64 s[6:7], s[6:7]
; %bb.2841:
	s_mov_b32 s10, 0x46800000
	v_add_f32_e64 v7, |v8|, s10
; %bb.2842:
	s_or_b64 exec, exec, s[6:7]
                                        ; implicit-def: $vgpr9
.LBB47_2843:
	s_andn2_saveexec_b64 s[2:3], s[2:3]
; %bb.2844:
	s_mov_b32 s6, 0x7f800000
	v_mov_b32_e32 v7, 0x7e
	v_mov_b32_e32 v8, 0x7f
	v_cmp_lt_u32_e32 vcc, s6, v9
	v_cndmask_b32_e32 v7, v7, v8, vcc
; %bb.2845:
	s_or_b64 exec, exec, s[2:3]
	v_lshrrev_b32_e32 v6, 8, v6
	s_movk_i32 s2, 0x80
	v_and_or_b32 v6, v6, s2, v7
	global_store_byte v[4:5], v6, off
.LBB47_2846:
	s_mov_b64 s[2:3], 0
.LBB47_2847:
	s_andn2_b64 vcc, exec, s[2:3]
	s_cbranch_vccnz .LBB47_2857
; %bb.2848:
	v_lshlrev_b32_e32 v8, 16, v1
	v_and_b32_e32 v9, 0x7fffffff, v8
	s_mov_b32 s2, 0x47800000
	v_and_b32_e32 v6, 0xffff, v1
	v_cmp_gt_u32_e32 vcc, s2, v9
                                        ; implicit-def: $vgpr7
	s_and_saveexec_b64 s[2:3], vcc
	s_xor_b64 s[2:3], exec, s[2:3]
	s_cbranch_execz .LBB47_2854
; %bb.2849:
	s_mov_b32 s6, 0x387fffff
	v_cmp_lt_u32_e32 vcc, s6, v9
                                        ; implicit-def: $vgpr7
	s_and_saveexec_b64 s[6:7], vcc
	s_xor_b64 s[6:7], exec, s[6:7]
; %bb.2850:
	v_bfe_u32 v7, v6, 5, 1
	s_mov_b32 s10, 0x80fffff
	v_add3_u32 v7, v8, v7, s10
	v_lshrrev_b32_e32 v7, 21, v7
                                        ; implicit-def: $vgpr8
; %bb.2851:
	s_andn2_saveexec_b64 s[6:7], s[6:7]
; %bb.2852:
	s_mov_b32 s10, 0x43000000
	v_add_f32_e64 v7, |v8|, s10
; %bb.2853:
	s_or_b64 exec, exec, s[6:7]
                                        ; implicit-def: $vgpr9
.LBB47_2854:
	s_andn2_saveexec_b64 s[2:3], s[2:3]
; %bb.2855:
	s_mov_b32 s6, 0x7f800000
	v_mov_b32_e32 v7, 0x7c
	v_mov_b32_e32 v8, 0x7f
	v_cmp_lt_u32_e32 vcc, s6, v9
	v_cndmask_b32_e32 v7, v7, v8, vcc
; %bb.2856:
	s_or_b64 exec, exec, s[2:3]
	v_lshrrev_b32_e32 v6, 8, v6
	s_movk_i32 s2, 0x80
	v_and_or_b32 v6, v6, s2, v7
	global_store_byte v[4:5], v6, off
.LBB47_2857:
	s_mov_b64 s[2:3], 0
	s_mov_b64 s[6:7], -1
.LBB47_2858:
	s_andn2_b64 vcc, exec, s[2:3]
	s_mov_b64 s[2:3], 0
	s_cbranch_vccnz .LBB47_2865
; %bb.2859:
	v_mov_b32_e32 v6, 14
	v_cmp_gt_i16_sdwa s[2:3], s18, v6 src0_sel:BYTE_0 src1_sel:DWORD
	s_mov_b64 s[10:11], -1
	s_and_b64 vcc, exec, s[2:3]
	s_cbranch_vccz .LBB47_2863
; %bb.2860:
	v_mov_b32_e32 v6, 15
	v_cmp_eq_u16_sdwa s[2:3], s18, v6 src0_sel:BYTE_0 src1_sel:DWORD
	s_mov_b64 s[0:1], -1
	s_and_b64 vcc, exec, s[2:3]
	s_cbranch_vccz .LBB47_2862
; %bb.2861:
	global_store_short v[4:5], v1, off
	s_mov_b64 s[0:1], 0
	s_mov_b64 s[6:7], -1
.LBB47_2862:
	s_mov_b64 s[10:11], 0
.LBB47_2863:
	s_mov_b64 s[2:3], 0
	s_and_b64 vcc, exec, s[10:11]
	s_cbranch_vccz .LBB47_2865
; %bb.2864:
	v_mov_b32_e32 v6, 11
	v_cmp_ne_u16_sdwa s[0:1], s18, v6 src0_sel:BYTE_0 src1_sel:DWORD
	s_mov_b64 s[2:3], -1
.LBB47_2865:
	s_and_b64 vcc, exec, s[0:1]
	s_cbranch_vccnz .LBB47_2921
; %bb.2866:
	s_andn2_b64 vcc, exec, s[2:3]
	s_cbranch_vccnz .LBB47_2868
.LBB47_2867:
	v_cmp_ne_u16_e32 vcc, 0, v3
	v_cndmask_b32_e64 v3, 0, 1, vcc
	s_mov_b64 s[6:7], -1
	global_store_byte v[4:5], v3, off
.LBB47_2868:
	s_mov_b64 s[0:1], 0
.LBB47_2869:
	s_and_b64 vcc, exec, s[0:1]
	s_cbranch_vccz .LBB47_2908
; %bb.2870:
	v_mov_b32_e32 v3, 5
	v_cmp_lt_i16_sdwa s[2:3], s18, v3 src0_sel:BYTE_0 src1_sel:DWORD
	s_mov_b64 s[0:1], -1
	s_and_b64 vcc, exec, s[2:3]
	s_cbranch_vccnz .LBB47_2891
; %bb.2871:
	v_mov_b32_e32 v3, 8
	v_cmp_lt_i16_sdwa s[2:3], s18, v3 src0_sel:BYTE_0 src1_sel:DWORD
	s_and_b64 vcc, exec, s[2:3]
	s_cbranch_vccnz .LBB47_2881
; %bb.2872:
	v_mov_b32_e32 v3, 9
	v_cmp_lt_i16_sdwa s[2:3], s18, v3 src0_sel:BYTE_0 src1_sel:DWORD
	s_and_b64 vcc, exec, s[2:3]
	s_cbranch_vccnz .LBB47_2878
; %bb.2873:
	v_cmp_gt_i16_sdwa s[2:3], s18, v3 src0_sel:BYTE_0 src1_sel:DWORD
	s_and_b64 vcc, exec, s[2:3]
	s_cbranch_vccz .LBB47_2875
; %bb.2874:
	v_lshlrev_b32_e32 v3, 16, v1
	v_mov_b32_e32 v8, 0
	v_cvt_f64_f32_e32 v[6:7], v3
	v_mov_b32_e32 v9, v8
	global_store_dwordx4 v[4:5], v[6:9], off
	s_mov_b64 s[0:1], 0
.LBB47_2875:
	s_andn2_b64 vcc, exec, s[0:1]
	s_cbranch_vccnz .LBB47_2877
; %bb.2876:
	v_lshlrev_b32_e32 v6, 16, v1
	v_mov_b32_e32 v7, 0
	global_store_dwordx2 v[4:5], v[6:7], off
.LBB47_2877:
	s_mov_b64 s[0:1], 0
.LBB47_2878:
	s_andn2_b64 vcc, exec, s[0:1]
	s_cbranch_vccnz .LBB47_2880
; %bb.2879:
	v_lshlrev_b32_e32 v3, 16, v1
	v_cvt_f16_f32_e32 v3, v3
	global_store_dword v[4:5], v3, off
.LBB47_2880:
	s_mov_b64 s[0:1], 0
.LBB47_2881:
	s_andn2_b64 vcc, exec, s[0:1]
	s_cbranch_vccnz .LBB47_2890
; %bb.2882:
	v_mov_b32_e32 v3, 6
	v_cmp_lt_i16_sdwa s[2:3], s18, v3 src0_sel:BYTE_0 src1_sel:DWORD
	s_mov_b64 s[0:1], -1
	s_and_b64 vcc, exec, s[2:3]
	s_cbranch_vccnz .LBB47_2888
; %bb.2883:
	v_cmp_gt_i16_sdwa s[2:3], s18, v3 src0_sel:BYTE_0 src1_sel:DWORD
	s_and_b64 vcc, exec, s[2:3]
	s_cbranch_vccz .LBB47_2885
; %bb.2884:
	v_lshlrev_b32_e32 v3, 16, v1
	v_cvt_f64_f32_e32 v[6:7], v3
	global_store_dwordx2 v[4:5], v[6:7], off
	s_mov_b64 s[0:1], 0
.LBB47_2885:
	s_andn2_b64 vcc, exec, s[0:1]
	s_cbranch_vccnz .LBB47_2887
; %bb.2886:
	v_lshlrev_b32_e32 v3, 16, v1
	global_store_dword v[4:5], v3, off
.LBB47_2887:
	s_mov_b64 s[0:1], 0
.LBB47_2888:
	s_andn2_b64 vcc, exec, s[0:1]
	s_cbranch_vccnz .LBB47_2890
; %bb.2889:
	v_lshlrev_b32_e32 v3, 16, v1
	v_cvt_f16_f32_e32 v3, v3
	global_store_short v[4:5], v3, off
.LBB47_2890:
	s_mov_b64 s[0:1], 0
.LBB47_2891:
	s_andn2_b64 vcc, exec, s[0:1]
	s_cbranch_vccnz .LBB47_2907
; %bb.2892:
	v_mov_b32_e32 v3, 2
	v_cmp_lt_i16_sdwa s[2:3], s18, v3 src0_sel:BYTE_0 src1_sel:DWORD
	s_mov_b64 s[0:1], -1
	s_and_b64 vcc, exec, s[2:3]
	s_cbranch_vccnz .LBB47_2902
; %bb.2893:
	v_mov_b32_e32 v3, 3
	v_cmp_lt_i16_sdwa s[2:3], s18, v3 src0_sel:BYTE_0 src1_sel:DWORD
	s_and_b64 vcc, exec, s[2:3]
	s_cbranch_vccnz .LBB47_2899
; %bb.2894:
	v_cmp_gt_i16_sdwa s[2:3], s18, v3 src0_sel:BYTE_0 src1_sel:DWORD
	s_and_b64 vcc, exec, s[2:3]
	s_cbranch_vccz .LBB47_2896
; %bb.2895:
	v_lshlrev_b32_e32 v3, 16, v1
	v_trunc_f32_e32 v3, v3
	s_mov_b32 s0, 0x2f800000
	v_mul_f32_e64 v6, |v3|, s0
	v_floor_f32_e32 v6, v6
	s_mov_b32 s0, 0xcf800000
	v_cvt_u32_f32_e32 v7, v6
	v_fma_f32 v6, v6, s0, |v3|
	v_cvt_u32_f32_e32 v6, v6
	v_ashrrev_i32_e32 v3, 31, v3
	v_xor_b32_e32 v7, v7, v3
	s_mov_b64 s[0:1], 0
	v_xor_b32_e32 v6, v6, v3
	v_sub_co_u32_e32 v6, vcc, v6, v3
	v_subb_co_u32_e32 v7, vcc, v7, v3, vcc
	global_store_dwordx2 v[4:5], v[6:7], off
.LBB47_2896:
	s_andn2_b64 vcc, exec, s[0:1]
	s_cbranch_vccnz .LBB47_2898
; %bb.2897:
	v_lshlrev_b32_e32 v3, 16, v1
	v_cvt_i32_f32_e32 v3, v3
	global_store_dword v[4:5], v3, off
.LBB47_2898:
	s_mov_b64 s[0:1], 0
.LBB47_2899:
	s_andn2_b64 vcc, exec, s[0:1]
	s_cbranch_vccnz .LBB47_2901
; %bb.2900:
	v_lshlrev_b32_e32 v3, 16, v1
	v_cvt_i32_f32_e32 v3, v3
	global_store_short v[4:5], v3, off
.LBB47_2901:
	s_mov_b64 s[0:1], 0
.LBB47_2902:
	s_andn2_b64 vcc, exec, s[0:1]
	s_cbranch_vccnz .LBB47_2907
; %bb.2903:
	v_mov_b32_e32 v3, 0
	v_cmp_gt_i16_sdwa s[2:3], s18, v3 src0_sel:BYTE_0 src1_sel:DWORD
	s_mov_b64 s[0:1], -1
	s_and_b64 vcc, exec, s[2:3]
	v_lshlrev_b32_e32 v1, 16, v1
	s_cbranch_vccz .LBB47_2905
; %bb.2904:
	v_cvt_i32_f32_e32 v3, v1
	s_mov_b64 s[0:1], 0
	global_store_byte v[4:5], v3, off
.LBB47_2905:
	s_andn2_b64 vcc, exec, s[0:1]
	s_cbranch_vccnz .LBB47_2907
; %bb.2906:
	v_trunc_f32_e32 v1, v1
	s_mov_b32 s0, 0x2f800000
	v_mul_f32_e64 v3, |v1|, s0
	v_floor_f32_e32 v3, v3
	s_mov_b32 s0, 0xcf800000
	v_fma_f32 v3, v3, s0, |v1|
	v_cvt_u32_f32_e32 v3, v3
	v_ashrrev_i32_e32 v1, 31, v1
	v_xor_b32_e32 v3, v3, v1
	v_sub_u32_e32 v1, v3, v1
	global_store_byte v[4:5], v1, off
.LBB47_2907:
	s_mov_b64 s[6:7], -1
.LBB47_2908:
	s_andn2_b64 vcc, exec, s[6:7]
	s_cbranch_vccnz .LBB47_3112
; %bb.2909:
	v_mov_b32_e32 v3, s9
	v_add_co_u32_e32 v2, vcc, s8, v2
	v_mov_b32_e32 v5, 11
	v_and_b32_e32 v4, 0x7fff, v16
	v_and_b32_e32 v1, 0xffff8000, v14
	v_addc_co_u32_e32 v3, vcc, 0, v3, vcc
	v_cmp_lt_i16_sdwa s[0:1], s18, v5 src0_sel:BYTE_0 src1_sel:DWORD
	v_or_b32_e32 v1, v1, v4
	s_and_b64 vcc, exec, s[0:1]
	s_cbranch_vccnz .LBB47_2916
; %bb.2910:
	v_mov_b32_e32 v5, 25
	v_cmp_gt_i16_sdwa s[0:1], s18, v5 src0_sel:BYTE_0 src1_sel:DWORD
	s_mov_b64 s[10:11], -1
	s_mov_b64 s[2:3], 0
	s_and_b64 vcc, exec, s[0:1]
	s_mov_b64 s[6:7], 0
	s_mov_b64 s[0:1], 0
	s_cbranch_vccz .LBB47_2952
; %bb.2911:
	v_mov_b32_e32 v5, 28
	v_cmp_gt_i16_sdwa s[0:1], s18, v5 src0_sel:BYTE_0 src1_sel:DWORD
	s_and_b64 vcc, exec, s[0:1]
	s_cbranch_vccz .LBB47_2917
; %bb.2912:
	v_mov_b32_e32 v5, 43
	v_cmp_gt_i16_sdwa s[0:1], s18, v5 src0_sel:BYTE_0 src1_sel:DWORD
	s_and_b64 vcc, exec, s[0:1]
	;; [unrolled: 5-line block ×3, first 2 shown]
	s_cbranch_vccz .LBB47_2924
; %bb.2914:
	v_mov_b32_e32 v5, 46
	v_cmp_eq_u16_sdwa s[6:7], s18, v5 src0_sel:BYTE_0 src1_sel:DWORD
	s_mov_b64 s[0:1], -1
	s_mov_b64 s[10:11], 0
	s_and_b64 vcc, exec, s[6:7]
	s_mov_b64 s[6:7], 0
	s_cbranch_vccz .LBB47_2925
; %bb.2915:
	v_and_b32_e32 v5, 0xffff, v1
	global_store_dword v[2:3], v5, off
	s_mov_b64 s[0:1], 0
	s_mov_b64 s[6:7], -1
	s_branch .LBB47_2925
.LBB47_2916:
	s_mov_b64 s[0:1], -1
	s_mov_b64 s[6:7], 0
	s_branch .LBB47_2996
.LBB47_2917:
	s_mov_b64 s[0:1], 0
	s_branch .LBB47_2935
.LBB47_2918:
	s_or_saveexec_b64 s[16:17], s[16:17]
                                        ; implicit-def: $sgpr19
	s_xor_b64 exec, exec, s[16:17]
	s_cbranch_execz .LBB47_2819
.LBB47_2919:
	s_mov_b32 s19, 0x46000000
	v_add_f32_e64 v7, |v8|, s19
	v_and_b32_e32 v7, 0xff, v7
	v_cmp_ne_u32_e32 vcc, 0, v7
	s_andn2_b64 s[10:11], s[10:11], exec
	s_and_b64 s[20:21], vcc, exec
	s_mov_b32 s19, 0
	s_or_b64 s[10:11], s[10:11], s[20:21]
	s_or_b64 exec, exec, s[16:17]
	v_mov_b32_e32 v9, s19
	s_and_saveexec_b64 s[16:17], s[10:11]
	s_cbranch_execnz .LBB47_2820
	s_branch .LBB47_2821
.LBB47_2920:
	s_mov_b64 s[0:1], 0
	s_branch .LBB47_2931
.LBB47_2921:
	s_trap 2
	s_or_b64 s[4:5], s[4:5], exec
	s_cbranch_execz .LBB47_2867
	s_branch .LBB47_2868
.LBB47_2922:
	s_or_saveexec_b64 s[10:11], s[10:11]
                                        ; implicit-def: $sgpr16
	s_xor_b64 exec, exec, s[10:11]
	s_cbranch_execz .LBB47_2832
.LBB47_2923:
	s_mov_b32 s16, 0x42800000
	v_add_f32_e64 v7, |v8|, s16
	v_and_b32_e32 v7, 0xff, v7
	v_cmp_ne_u32_e32 vcc, 0, v7
	s_andn2_b64 s[6:7], s[6:7], exec
	s_and_b64 s[20:21], vcc, exec
	s_mov_b32 s16, 0
	s_or_b64 s[6:7], s[6:7], s[20:21]
	s_or_b64 exec, exec, s[10:11]
	v_mov_b32_e32 v9, s16
	s_and_saveexec_b64 s[10:11], s[6:7]
	s_cbranch_execnz .LBB47_2833
	s_branch .LBB47_2834
.LBB47_2924:
	s_mov_b64 s[0:1], 0
.LBB47_2925:
	s_and_b64 vcc, exec, s[10:11]
	s_cbranch_vccz .LBB47_2930
; %bb.2926:
	v_mov_b32_e32 v5, 44
	v_cmp_eq_u16_sdwa s[10:11], s18, v5 src0_sel:BYTE_0 src1_sel:DWORD
	s_mov_b64 s[0:1], -1
	s_and_b64 vcc, exec, s[10:11]
	s_cbranch_vccz .LBB47_2930
; %bb.2927:
	v_and_b32_e32 v6, 0xffff, v1
	v_bfe_u32 v5, v6, 7, 8
	s_movk_i32 s0, 0xff
	v_cmp_ne_u32_e32 vcc, s0, v5
	v_mov_b32_e32 v7, 0xff
	s_and_saveexec_b64 s[6:7], vcc
; %bb.2928:
	v_lshlrev_b32_e32 v8, 16, v6
	s_mov_b32 s0, 0x3f0000
	v_lshrrev_b32_e32 v7, 7, v6
	v_and_b32_e32 v6, 64, v6
	v_and_or_b32 v5, v8, s0, v5
	v_cmp_ne_u32_e32 vcc, 0, v6
	v_cmp_ne_u32_e64 s[0:1], 0, v5
	s_and_b64 s[0:1], vcc, s[0:1]
	v_cndmask_b32_e64 v5, 0, 1, s[0:1]
	v_add_u32_e32 v7, v7, v5
; %bb.2929:
	s_or_b64 exec, exec, s[6:7]
	s_mov_b64 s[0:1], 0
	s_mov_b64 s[6:7], -1
	global_store_byte v[2:3], v7, off
.LBB47_2930:
	s_mov_b64 s[10:11], 0
.LBB47_2931:
	s_and_b64 vcc, exec, s[10:11]
	s_cbranch_vccz .LBB47_2934
; %bb.2932:
	v_mov_b32_e32 v5, 29
	v_cmp_eq_u16_sdwa s[10:11], s18, v5 src0_sel:BYTE_0 src1_sel:DWORD
	s_mov_b64 s[0:1], -1
	s_and_b64 vcc, exec, s[10:11]
	s_cbranch_vccz .LBB47_2934
; %bb.2933:
	v_lshlrev_b32_e32 v5, 16, v1
	v_trunc_f32_e32 v5, v5
	v_mul_f32_e32 v6, 0x2f800000, v5
	v_floor_f32_e32 v6, v6
	v_fmac_f32_e32 v5, 0xcf800000, v6
	v_cvt_u32_f32_e32 v7, v6
	v_cvt_u32_f32_e32 v6, v5
	s_mov_b64 s[0:1], 0
	s_mov_b64 s[6:7], -1
	s_mov_b64 s[10:11], 0
	global_store_dwordx2 v[2:3], v[6:7], off
	s_branch .LBB47_2935
.LBB47_2934:
	s_mov_b64 s[10:11], 0
.LBB47_2935:
	s_and_b64 vcc, exec, s[10:11]
	s_cbranch_vccz .LBB47_2951
; %bb.2936:
	v_mov_b32_e32 v5, 27
	v_cmp_lt_i16_sdwa s[10:11], s18, v5 src0_sel:BYTE_0 src1_sel:DWORD
	s_mov_b64 s[6:7], -1
	s_and_b64 vcc, exec, s[10:11]
	s_cbranch_vccnz .LBB47_2942
; %bb.2937:
	v_cmp_gt_i16_sdwa s[10:11], s18, v5 src0_sel:BYTE_0 src1_sel:DWORD
	s_and_b64 vcc, exec, s[10:11]
	s_cbranch_vccz .LBB47_2939
; %bb.2938:
	v_lshlrev_b32_e32 v5, 16, v1
	v_cvt_u32_f32_e32 v5, v5
	s_mov_b64 s[6:7], 0
	global_store_dword v[2:3], v5, off
.LBB47_2939:
	s_andn2_b64 vcc, exec, s[6:7]
	s_cbranch_vccnz .LBB47_2941
; %bb.2940:
	v_lshlrev_b32_e32 v5, 16, v1
	v_cvt_u32_f32_e32 v5, v5
	global_store_short v[2:3], v5, off
.LBB47_2941:
	s_mov_b64 s[6:7], 0
.LBB47_2942:
	s_andn2_b64 vcc, exec, s[6:7]
	s_cbranch_vccnz .LBB47_2950
; %bb.2943:
	v_lshlrev_b32_e32 v7, 16, v1
	v_and_b32_e32 v6, 0x7fffffff, v7
	s_mov_b32 s6, 0x43800000
	v_cmp_gt_u32_e32 vcc, s6, v6
	v_mov_b32_e32 v8, 0x80
	s_and_saveexec_b64 s[6:7], vcc
	s_cbranch_execz .LBB47_2949
; %bb.2944:
	s_mov_b32 s10, 0x3bffffff
	v_and_b32_e32 v5, 0xffff, v1
	v_cmp_lt_u32_e32 vcc, s10, v6
	s_mov_b64 s[10:11], 0
                                        ; implicit-def: $vgpr6
	s_and_saveexec_b64 s[16:17], vcc
	s_xor_b64 s[16:17], exec, s[16:17]
	s_cbranch_execz .LBB47_3158
; %bb.2945:
	v_bfe_u32 v6, v5, 4, 1
	s_mov_b32 s19, 0x487ffff
	v_add3_u32 v6, v7, v6, s19
	s_mov_b64 s[10:11], exec
	v_lshrrev_b32_e32 v6, 20, v6
                                        ; implicit-def: $vgpr7
	s_or_saveexec_b64 s[16:17], s[16:17]
                                        ; implicit-def: $sgpr19
	s_xor_b64 exec, exec, s[16:17]
	s_cbranch_execnz .LBB47_3159
.LBB47_2946:
	s_or_b64 exec, exec, s[16:17]
	v_mov_b32_e32 v8, s19
	s_and_saveexec_b64 s[16:17], s[10:11]
.LBB47_2947:
	v_lshrrev_b32_e32 v5, 8, v5
	s_movk_i32 s10, 0x80
	v_and_or_b32 v8, v5, s10, v6
.LBB47_2948:
	s_or_b64 exec, exec, s[16:17]
.LBB47_2949:
	s_or_b64 exec, exec, s[6:7]
	global_store_byte v[2:3], v8, off
.LBB47_2950:
	s_mov_b64 s[6:7], -1
.LBB47_2951:
	s_mov_b64 s[10:11], 0
.LBB47_2952:
	s_and_b64 vcc, exec, s[10:11]
	s_cbranch_vccz .LBB47_2992
; %bb.2953:
	v_mov_b32_e32 v5, 22
	v_cmp_gt_i16_sdwa s[10:11], s18, v5 src0_sel:BYTE_0 src1_sel:DWORD
	s_mov_b64 s[2:3], -1
	s_and_b64 vcc, exec, s[10:11]
	s_cbranch_vccz .LBB47_2985
; %bb.2954:
	v_mov_b32_e32 v5, 24
	v_cmp_lt_i16_sdwa s[6:7], s18, v5 src0_sel:BYTE_0 src1_sel:DWORD
	s_and_b64 vcc, exec, s[6:7]
	s_cbranch_vccnz .LBB47_2974
; %bb.2955:
	v_cmp_gt_i16_sdwa s[6:7], s18, v5 src0_sel:BYTE_0 src1_sel:DWORD
	s_and_b64 vcc, exec, s[6:7]
	s_cbranch_vccz .LBB47_2963
; %bb.2956:
	v_lshlrev_b32_e32 v7, 16, v1
	v_and_b32_e32 v6, 0x7fffffff, v7
	s_mov_b32 s2, 0x47800000
	v_cmp_gt_u32_e32 vcc, s2, v6
	v_mov_b32_e32 v8, 0x80
	s_and_saveexec_b64 s[2:3], vcc
	s_cbranch_execz .LBB47_2962
; %bb.2957:
	s_mov_b32 s6, 0x37ffffff
	v_and_b32_e32 v5, 0xffff, v1
	v_cmp_lt_u32_e32 vcc, s6, v6
	s_mov_b64 s[6:7], 0
                                        ; implicit-def: $vgpr6
	s_and_saveexec_b64 s[10:11], vcc
	s_xor_b64 s[10:11], exec, s[10:11]
	s_cbranch_execz .LBB47_3161
; %bb.2958:
	v_bfe_u32 v6, v5, 5, 1
	s_mov_b32 s16, 0x88fffff
	v_add3_u32 v6, v7, v6, s16
	s_mov_b64 s[6:7], exec
	v_lshrrev_b32_e32 v6, 21, v6
                                        ; implicit-def: $vgpr7
	s_or_saveexec_b64 s[10:11], s[10:11]
                                        ; implicit-def: $sgpr16
	s_xor_b64 exec, exec, s[10:11]
	s_cbranch_execnz .LBB47_3162
.LBB47_2959:
	s_or_b64 exec, exec, s[10:11]
	v_mov_b32_e32 v8, s16
	s_and_saveexec_b64 s[10:11], s[6:7]
.LBB47_2960:
	v_lshrrev_b32_e32 v5, 8, v5
	s_movk_i32 s6, 0x80
	v_and_or_b32 v8, v5, s6, v6
.LBB47_2961:
	s_or_b64 exec, exec, s[10:11]
.LBB47_2962:
	s_or_b64 exec, exec, s[2:3]
	s_mov_b64 s[2:3], 0
	global_store_byte v[2:3], v8, off
.LBB47_2963:
	s_and_b64 vcc, exec, s[2:3]
	s_cbranch_vccz .LBB47_2973
; %bb.2964:
	v_lshlrev_b32_e32 v7, 16, v1
	v_and_b32_e32 v8, 0x7fffffff, v7
	s_mov_b32 s2, 0x43f00000
	v_and_b32_e32 v5, 0xffff, v1
	v_cmp_gt_u32_e32 vcc, s2, v8
                                        ; implicit-def: $vgpr6
	s_and_saveexec_b64 s[2:3], vcc
	s_xor_b64 s[2:3], exec, s[2:3]
	s_cbranch_execz .LBB47_2970
; %bb.2965:
	s_mov_b32 s6, 0x3c7fffff
	v_cmp_lt_u32_e32 vcc, s6, v8
                                        ; implicit-def: $vgpr6
	s_and_saveexec_b64 s[6:7], vcc
	s_xor_b64 s[6:7], exec, s[6:7]
; %bb.2966:
	v_bfe_u32 v6, v5, 4, 1
	s_mov_b32 s10, 0x407ffff
	v_add3_u32 v6, v7, v6, s10
	v_lshrrev_b32_e32 v7, 20, v6
	v_and_b32_e32 v6, 0xff00000, v6
	s_mov_b32 s10, 0x7f00000
	v_mov_b32_e32 v8, 0x7e
	v_cmp_ne_u32_e32 vcc, s10, v6
	v_cndmask_b32_e32 v6, v8, v7, vcc
                                        ; implicit-def: $vgpr7
; %bb.2967:
	s_andn2_saveexec_b64 s[6:7], s[6:7]
; %bb.2968:
	s_mov_b32 s10, 0x46800000
	v_add_f32_e64 v6, |v7|, s10
; %bb.2969:
	s_or_b64 exec, exec, s[6:7]
                                        ; implicit-def: $vgpr8
.LBB47_2970:
	s_andn2_saveexec_b64 s[2:3], s[2:3]
; %bb.2971:
	s_mov_b32 s6, 0x7f800000
	v_mov_b32_e32 v6, 0x7e
	v_mov_b32_e32 v7, 0x7f
	v_cmp_lt_u32_e32 vcc, s6, v8
	v_cndmask_b32_e32 v6, v6, v7, vcc
; %bb.2972:
	s_or_b64 exec, exec, s[2:3]
	v_lshrrev_b32_e32 v5, 8, v5
	s_movk_i32 s2, 0x80
	v_and_or_b32 v5, v5, s2, v6
	global_store_byte v[2:3], v5, off
.LBB47_2973:
	s_mov_b64 s[2:3], 0
.LBB47_2974:
	s_andn2_b64 vcc, exec, s[2:3]
	s_cbranch_vccnz .LBB47_2984
; %bb.2975:
	v_lshlrev_b32_e32 v7, 16, v1
	v_and_b32_e32 v8, 0x7fffffff, v7
	s_mov_b32 s2, 0x47800000
	v_and_b32_e32 v5, 0xffff, v1
	v_cmp_gt_u32_e32 vcc, s2, v8
                                        ; implicit-def: $vgpr6
	s_and_saveexec_b64 s[2:3], vcc
	s_xor_b64 s[2:3], exec, s[2:3]
	s_cbranch_execz .LBB47_2981
; %bb.2976:
	s_mov_b32 s6, 0x387fffff
	v_cmp_lt_u32_e32 vcc, s6, v8
                                        ; implicit-def: $vgpr6
	s_and_saveexec_b64 s[6:7], vcc
	s_xor_b64 s[6:7], exec, s[6:7]
; %bb.2977:
	v_bfe_u32 v6, v5, 5, 1
	s_mov_b32 s10, 0x80fffff
	v_add3_u32 v6, v7, v6, s10
	v_lshrrev_b32_e32 v6, 21, v6
                                        ; implicit-def: $vgpr7
; %bb.2978:
	s_andn2_saveexec_b64 s[6:7], s[6:7]
; %bb.2979:
	s_mov_b32 s10, 0x43000000
	v_add_f32_e64 v6, |v7|, s10
; %bb.2980:
	s_or_b64 exec, exec, s[6:7]
                                        ; implicit-def: $vgpr8
.LBB47_2981:
	s_andn2_saveexec_b64 s[2:3], s[2:3]
; %bb.2982:
	s_mov_b32 s6, 0x7f800000
	v_mov_b32_e32 v6, 0x7c
	v_mov_b32_e32 v7, 0x7f
	v_cmp_lt_u32_e32 vcc, s6, v8
	v_cndmask_b32_e32 v6, v6, v7, vcc
; %bb.2983:
	s_or_b64 exec, exec, s[2:3]
	v_lshrrev_b32_e32 v5, 8, v5
	s_movk_i32 s2, 0x80
	v_and_or_b32 v5, v5, s2, v6
	global_store_byte v[2:3], v5, off
.LBB47_2984:
	s_mov_b64 s[2:3], 0
	s_mov_b64 s[6:7], -1
.LBB47_2985:
	s_andn2_b64 vcc, exec, s[2:3]
	s_mov_b64 s[2:3], 0
	s_cbranch_vccnz .LBB47_2992
; %bb.2986:
	v_mov_b32_e32 v5, 14
	v_cmp_gt_i16_sdwa s[2:3], s18, v5 src0_sel:BYTE_0 src1_sel:DWORD
	s_mov_b64 s[10:11], -1
	s_and_b64 vcc, exec, s[2:3]
	s_cbranch_vccz .LBB47_2990
; %bb.2987:
	v_mov_b32_e32 v5, 15
	v_cmp_eq_u16_sdwa s[2:3], s18, v5 src0_sel:BYTE_0 src1_sel:DWORD
	s_mov_b64 s[0:1], -1
	s_and_b64 vcc, exec, s[2:3]
	s_cbranch_vccz .LBB47_2989
; %bb.2988:
	global_store_short v[2:3], v1, off
	s_mov_b64 s[0:1], 0
	s_mov_b64 s[6:7], -1
.LBB47_2989:
	s_mov_b64 s[10:11], 0
.LBB47_2990:
	s_mov_b64 s[2:3], 0
	s_and_b64 vcc, exec, s[10:11]
	s_cbranch_vccz .LBB47_2992
; %bb.2991:
	v_mov_b32_e32 v5, 11
	v_cmp_ne_u16_sdwa s[0:1], s18, v5 src0_sel:BYTE_0 src1_sel:DWORD
	s_mov_b64 s[2:3], -1
.LBB47_2992:
	s_and_b64 vcc, exec, s[0:1]
	s_cbranch_vccnz .LBB47_3160
; %bb.2993:
	s_andn2_b64 vcc, exec, s[2:3]
	s_cbranch_vccnz .LBB47_2995
.LBB47_2994:
	v_cmp_ne_u16_e32 vcc, 0, v4
	v_cndmask_b32_e64 v4, 0, 1, vcc
	s_mov_b64 s[6:7], -1
	global_store_byte v[2:3], v4, off
.LBB47_2995:
	s_mov_b64 s[0:1], 0
.LBB47_2996:
	s_and_b64 vcc, exec, s[0:1]
	s_cbranch_vccz .LBB47_3035
; %bb.2997:
	v_mov_b32_e32 v4, 5
	v_cmp_lt_i16_sdwa s[2:3], s18, v4 src0_sel:BYTE_0 src1_sel:DWORD
	s_mov_b64 s[0:1], -1
	s_and_b64 vcc, exec, s[2:3]
	s_cbranch_vccnz .LBB47_3018
; %bb.2998:
	v_mov_b32_e32 v4, 8
	v_cmp_lt_i16_sdwa s[2:3], s18, v4 src0_sel:BYTE_0 src1_sel:DWORD
	s_and_b64 vcc, exec, s[2:3]
	s_cbranch_vccnz .LBB47_3008
; %bb.2999:
	v_mov_b32_e32 v4, 9
	v_cmp_lt_i16_sdwa s[2:3], s18, v4 src0_sel:BYTE_0 src1_sel:DWORD
	s_and_b64 vcc, exec, s[2:3]
	s_cbranch_vccnz .LBB47_3005
; %bb.3000:
	v_cmp_gt_i16_sdwa s[2:3], s18, v4 src0_sel:BYTE_0 src1_sel:DWORD
	s_and_b64 vcc, exec, s[2:3]
	s_cbranch_vccz .LBB47_3002
; %bb.3001:
	v_lshlrev_b32_e32 v4, 16, v1
	v_mov_b32_e32 v6, 0
	v_cvt_f64_f32_e32 v[4:5], v4
	v_mov_b32_e32 v7, v6
	global_store_dwordx4 v[2:3], v[4:7], off
	s_mov_b64 s[0:1], 0
.LBB47_3002:
	s_andn2_b64 vcc, exec, s[0:1]
	s_cbranch_vccnz .LBB47_3004
; %bb.3003:
	v_lshlrev_b32_e32 v4, 16, v1
	v_mov_b32_e32 v5, 0
	global_store_dwordx2 v[2:3], v[4:5], off
.LBB47_3004:
	s_mov_b64 s[0:1], 0
.LBB47_3005:
	s_andn2_b64 vcc, exec, s[0:1]
	s_cbranch_vccnz .LBB47_3007
; %bb.3006:
	v_lshlrev_b32_e32 v4, 16, v1
	v_cvt_f16_f32_e32 v4, v4
	global_store_dword v[2:3], v4, off
.LBB47_3007:
	s_mov_b64 s[0:1], 0
.LBB47_3008:
	s_andn2_b64 vcc, exec, s[0:1]
	s_cbranch_vccnz .LBB47_3017
; %bb.3009:
	v_mov_b32_e32 v4, 6
	v_cmp_lt_i16_sdwa s[2:3], s18, v4 src0_sel:BYTE_0 src1_sel:DWORD
	s_mov_b64 s[0:1], -1
	s_and_b64 vcc, exec, s[2:3]
	s_cbranch_vccnz .LBB47_3015
; %bb.3010:
	v_cmp_gt_i16_sdwa s[2:3], s18, v4 src0_sel:BYTE_0 src1_sel:DWORD
	s_and_b64 vcc, exec, s[2:3]
	s_cbranch_vccz .LBB47_3012
; %bb.3011:
	v_lshlrev_b32_e32 v4, 16, v1
	v_cvt_f64_f32_e32 v[4:5], v4
	global_store_dwordx2 v[2:3], v[4:5], off
	s_mov_b64 s[0:1], 0
.LBB47_3012:
	s_andn2_b64 vcc, exec, s[0:1]
	s_cbranch_vccnz .LBB47_3014
; %bb.3013:
	v_lshlrev_b32_e32 v4, 16, v1
	global_store_dword v[2:3], v4, off
.LBB47_3014:
	s_mov_b64 s[0:1], 0
.LBB47_3015:
	s_andn2_b64 vcc, exec, s[0:1]
	s_cbranch_vccnz .LBB47_3017
; %bb.3016:
	v_lshlrev_b32_e32 v4, 16, v1
	v_cvt_f16_f32_e32 v4, v4
	global_store_short v[2:3], v4, off
.LBB47_3017:
	s_mov_b64 s[0:1], 0
.LBB47_3018:
	s_andn2_b64 vcc, exec, s[0:1]
	s_cbranch_vccnz .LBB47_3034
; %bb.3019:
	v_mov_b32_e32 v4, 2
	v_cmp_lt_i16_sdwa s[2:3], s18, v4 src0_sel:BYTE_0 src1_sel:DWORD
	s_mov_b64 s[0:1], -1
	s_and_b64 vcc, exec, s[2:3]
	s_cbranch_vccnz .LBB47_3029
; %bb.3020:
	v_mov_b32_e32 v4, 3
	v_cmp_lt_i16_sdwa s[2:3], s18, v4 src0_sel:BYTE_0 src1_sel:DWORD
	s_and_b64 vcc, exec, s[2:3]
	s_cbranch_vccnz .LBB47_3026
; %bb.3021:
	v_cmp_gt_i16_sdwa s[2:3], s18, v4 src0_sel:BYTE_0 src1_sel:DWORD
	s_and_b64 vcc, exec, s[2:3]
	s_cbranch_vccz .LBB47_3023
; %bb.3022:
	v_lshlrev_b32_e32 v4, 16, v1
	v_trunc_f32_e32 v4, v4
	s_mov_b32 s0, 0x2f800000
	v_mul_f32_e64 v5, |v4|, s0
	v_floor_f32_e32 v5, v5
	s_mov_b32 s0, 0xcf800000
	v_cvt_u32_f32_e32 v6, v5
	v_fma_f32 v5, v5, s0, |v4|
	v_cvt_u32_f32_e32 v5, v5
	v_ashrrev_i32_e32 v7, 31, v4
	v_xor_b32_e32 v6, v6, v7
	s_mov_b64 s[0:1], 0
	v_xor_b32_e32 v4, v5, v7
	v_sub_co_u32_e32 v4, vcc, v4, v7
	v_subb_co_u32_e32 v5, vcc, v6, v7, vcc
	global_store_dwordx2 v[2:3], v[4:5], off
.LBB47_3023:
	s_andn2_b64 vcc, exec, s[0:1]
	s_cbranch_vccnz .LBB47_3025
; %bb.3024:
	v_lshlrev_b32_e32 v4, 16, v1
	v_cvt_i32_f32_e32 v4, v4
	global_store_dword v[2:3], v4, off
.LBB47_3025:
	s_mov_b64 s[0:1], 0
.LBB47_3026:
	s_andn2_b64 vcc, exec, s[0:1]
	s_cbranch_vccnz .LBB47_3028
; %bb.3027:
	v_lshlrev_b32_e32 v4, 16, v1
	v_cvt_i32_f32_e32 v4, v4
	global_store_short v[2:3], v4, off
.LBB47_3028:
	s_mov_b64 s[0:1], 0
.LBB47_3029:
	s_andn2_b64 vcc, exec, s[0:1]
	s_cbranch_vccnz .LBB47_3034
; %bb.3030:
	v_mov_b32_e32 v4, 0
	v_cmp_gt_i16_sdwa s[2:3], s18, v4 src0_sel:BYTE_0 src1_sel:DWORD
	s_mov_b64 s[0:1], -1
	s_and_b64 vcc, exec, s[2:3]
	s_cbranch_vccz .LBB47_3032
; %bb.3031:
	v_lshlrev_b32_e32 v4, 16, v1
	v_cvt_i32_f32_e32 v4, v4
	s_mov_b64 s[0:1], 0
	global_store_byte v[2:3], v4, off
.LBB47_3032:
	s_andn2_b64 vcc, exec, s[0:1]
	s_cbranch_vccnz .LBB47_3034
; %bb.3033:
	v_lshlrev_b32_e32 v1, 16, v1
	v_trunc_f32_e32 v1, v1
	s_mov_b32 s0, 0x2f800000
	v_mul_f32_e64 v4, |v1|, s0
	v_floor_f32_e32 v4, v4
	s_mov_b32 s0, 0xcf800000
	v_fma_f32 v4, v4, s0, |v1|
	v_cvt_u32_f32_e32 v4, v4
	v_ashrrev_i32_e32 v1, 31, v1
	v_xor_b32_e32 v4, v4, v1
	v_sub_u32_e32 v1, v4, v1
	global_store_byte v[2:3], v1, off
.LBB47_3034:
	s_mov_b64 s[6:7], -1
.LBB47_3035:
	s_andn2_b64 vcc, exec, s[6:7]
	s_cbranch_vccnz .LBB47_3112
; %bb.3036:
	v_and_b32_e32 v4, 0x7fff, v12
	v_and_b32_e32 v1, 0xffff8000, v10
	v_or_b32_e32 v2, v1, v4
	v_mov_b32_e32 v1, 0xff
	v_and_b32_e32 v3, s18, v1
	v_mov_b32_e32 v1, s9
	v_add_co_u32_e32 v0, vcc, s8, v0
	v_addc_co_u32_e32 v1, vcc, 0, v1, vcc
	v_cmp_gt_i16_e32 vcc, 11, v3
	s_cbranch_vccnz .LBB47_3157
; %bb.3037:
	v_cmp_lt_i16_e32 vcc, 25, v3
	s_mov_b64 s[6:7], -1
	s_mov_b64 s[2:3], 0
	s_mov_b64 s[0:1], 0
	s_cbranch_vccz .LBB47_3070
; %bb.3038:
	v_cmp_lt_i16_e32 vcc, 28, v3
	s_cbranch_vccz .LBB47_3054
; %bb.3039:
	v_cmp_lt_i16_e32 vcc, 43, v3
	;; [unrolled: 3-line block ×3, first 2 shown]
	s_cbranch_vccz .LBB47_3044
; %bb.3041:
	v_cmp_eq_u16_e32 vcc, 46, v3
	s_mov_b64 s[0:1], -1
	s_cbranch_vccz .LBB47_3043
; %bb.3042:
	v_and_b32_e32 v5, 0xffff, v2
	global_store_dword v[0:1], v5, off
	s_mov_b64 s[0:1], 0
.LBB47_3043:
	s_mov_b64 s[6:7], 0
.LBB47_3044:
	s_and_b64 vcc, exec, s[6:7]
	s_cbranch_vccz .LBB47_3049
; %bb.3045:
	v_cmp_eq_u16_e32 vcc, 44, v3
	s_mov_b64 s[0:1], -1
	s_cbranch_vccz .LBB47_3049
; %bb.3046:
	v_and_b32_e32 v6, 0xffff, v2
	v_bfe_u32 v5, v6, 7, 8
	s_movk_i32 s0, 0xff
	v_cmp_ne_u32_e32 vcc, s0, v5
	v_mov_b32_e32 v7, 0xff
	s_and_saveexec_b64 s[6:7], vcc
; %bb.3047:
	v_lshlrev_b32_e32 v8, 16, v6
	s_mov_b32 s0, 0x3f0000
	v_lshrrev_b32_e32 v7, 7, v6
	v_and_b32_e32 v6, 64, v6
	v_and_or_b32 v5, v8, s0, v5
	v_cmp_ne_u32_e32 vcc, 0, v6
	v_cmp_ne_u32_e64 s[0:1], 0, v5
	s_and_b64 s[0:1], vcc, s[0:1]
	v_cndmask_b32_e64 v5, 0, 1, s[0:1]
	v_add_u32_e32 v7, v7, v5
; %bb.3048:
	s_or_b64 exec, exec, s[6:7]
	s_mov_b64 s[0:1], 0
	global_store_byte v[0:1], v7, off
.LBB47_3049:
	s_mov_b64 s[6:7], 0
.LBB47_3050:
	s_and_b64 vcc, exec, s[6:7]
	s_cbranch_vccz .LBB47_3053
; %bb.3051:
	v_cmp_eq_u16_e32 vcc, 29, v3
	s_mov_b64 s[0:1], -1
	s_cbranch_vccz .LBB47_3053
; %bb.3052:
	v_lshlrev_b32_e32 v5, 16, v2
	v_trunc_f32_e32 v5, v5
	v_mul_f32_e32 v6, 0x2f800000, v5
	v_floor_f32_e32 v6, v6
	v_fmac_f32_e32 v5, 0xcf800000, v6
	v_cvt_u32_f32_e32 v7, v6
	v_cvt_u32_f32_e32 v6, v5
	s_mov_b64 s[0:1], 0
	global_store_dwordx2 v[0:1], v[6:7], off
.LBB47_3053:
	s_mov_b64 s[6:7], 0
.LBB47_3054:
	s_and_b64 vcc, exec, s[6:7]
	s_cbranch_vccz .LBB47_3069
; %bb.3055:
	v_cmp_gt_i16_e32 vcc, 27, v3
	s_mov_b64 s[6:7], -1
	s_cbranch_vccnz .LBB47_3061
; %bb.3056:
	v_cmp_lt_i16_e32 vcc, 27, v3
	s_cbranch_vccz .LBB47_3058
; %bb.3057:
	v_lshlrev_b32_e32 v5, 16, v2
	v_cvt_u32_f32_e32 v5, v5
	s_mov_b64 s[6:7], 0
	global_store_dword v[0:1], v5, off
.LBB47_3058:
	s_andn2_b64 vcc, exec, s[6:7]
	s_cbranch_vccnz .LBB47_3060
; %bb.3059:
	v_lshlrev_b32_e32 v5, 16, v2
	v_cvt_u32_f32_e32 v5, v5
	global_store_short v[0:1], v5, off
.LBB47_3060:
	s_mov_b64 s[6:7], 0
.LBB47_3061:
	s_andn2_b64 vcc, exec, s[6:7]
	s_cbranch_vccnz .LBB47_3069
; %bb.3062:
	v_lshlrev_b32_e32 v7, 16, v2
	v_and_b32_e32 v6, 0x7fffffff, v7
	s_mov_b32 s6, 0x43800000
	v_cmp_gt_u32_e32 vcc, s6, v6
	v_mov_b32_e32 v8, 0x80
	s_and_saveexec_b64 s[6:7], vcc
	s_cbranch_execz .LBB47_3068
; %bb.3063:
	s_mov_b32 s8, 0x3bffffff
	v_and_b32_e32 v5, 0xffff, v2
	v_cmp_lt_u32_e32 vcc, s8, v6
	s_mov_b64 s[8:9], 0
                                        ; implicit-def: $vgpr6
	s_and_saveexec_b64 s[10:11], vcc
	s_xor_b64 s[10:11], exec, s[10:11]
	s_cbranch_execz .LBB47_3163
; %bb.3064:
	v_bfe_u32 v6, v5, 4, 1
	s_mov_b32 s16, 0x487ffff
	v_add3_u32 v6, v7, v6, s16
	s_mov_b64 s[8:9], exec
	v_lshrrev_b32_e32 v6, 20, v6
                                        ; implicit-def: $vgpr7
	s_or_saveexec_b64 s[10:11], s[10:11]
                                        ; implicit-def: $sgpr16
	s_xor_b64 exec, exec, s[10:11]
	s_cbranch_execnz .LBB47_3164
.LBB47_3065:
	s_or_b64 exec, exec, s[10:11]
	v_mov_b32_e32 v8, s16
	s_and_saveexec_b64 s[10:11], s[8:9]
.LBB47_3066:
	v_lshrrev_b32_e32 v5, 8, v5
	s_movk_i32 s8, 0x80
	v_and_or_b32 v8, v5, s8, v6
.LBB47_3067:
	s_or_b64 exec, exec, s[10:11]
.LBB47_3068:
	s_or_b64 exec, exec, s[6:7]
	global_store_byte v[0:1], v8, off
.LBB47_3069:
	s_mov_b64 s[6:7], 0
.LBB47_3070:
	s_and_b64 vcc, exec, s[6:7]
	s_cbranch_vccz .LBB47_3110
; %bb.3071:
	v_cmp_lt_i16_e32 vcc, 22, v3
	s_mov_b64 s[2:3], -1
	s_cbranch_vccz .LBB47_3103
; %bb.3072:
	v_cmp_gt_i16_e32 vcc, 24, v3
	s_cbranch_vccnz .LBB47_3092
; %bb.3073:
	v_cmp_lt_i16_e32 vcc, 24, v3
	s_cbranch_vccz .LBB47_3081
; %bb.3074:
	v_lshlrev_b32_e32 v7, 16, v2
	v_and_b32_e32 v6, 0x7fffffff, v7
	s_mov_b32 s2, 0x47800000
	v_cmp_gt_u32_e32 vcc, s2, v6
	v_mov_b32_e32 v8, 0x80
	s_and_saveexec_b64 s[2:3], vcc
	s_cbranch_execz .LBB47_3080
; %bb.3075:
	s_mov_b32 s6, 0x37ffffff
	v_and_b32_e32 v5, 0xffff, v2
	v_cmp_lt_u32_e32 vcc, s6, v6
	s_mov_b64 s[6:7], 0
                                        ; implicit-def: $vgpr6
	s_and_saveexec_b64 s[8:9], vcc
	s_xor_b64 s[8:9], exec, s[8:9]
	s_cbranch_execz .LBB47_3166
; %bb.3076:
	v_bfe_u32 v6, v5, 5, 1
	s_mov_b32 s10, 0x88fffff
	v_add3_u32 v6, v7, v6, s10
	s_mov_b64 s[6:7], exec
	v_lshrrev_b32_e32 v6, 21, v6
                                        ; implicit-def: $vgpr7
	s_or_saveexec_b64 s[8:9], s[8:9]
                                        ; implicit-def: $sgpr10
	s_xor_b64 exec, exec, s[8:9]
	s_cbranch_execnz .LBB47_3167
.LBB47_3077:
	s_or_b64 exec, exec, s[8:9]
	v_mov_b32_e32 v8, s10
	s_and_saveexec_b64 s[8:9], s[6:7]
.LBB47_3078:
	v_lshrrev_b32_e32 v5, 8, v5
	s_movk_i32 s6, 0x80
	v_and_or_b32 v8, v5, s6, v6
.LBB47_3079:
	s_or_b64 exec, exec, s[8:9]
.LBB47_3080:
	s_or_b64 exec, exec, s[2:3]
	s_mov_b64 s[2:3], 0
	global_store_byte v[0:1], v8, off
.LBB47_3081:
	s_and_b64 vcc, exec, s[2:3]
	s_cbranch_vccz .LBB47_3091
; %bb.3082:
	v_lshlrev_b32_e32 v7, 16, v2
	v_and_b32_e32 v8, 0x7fffffff, v7
	s_mov_b32 s2, 0x43f00000
	v_and_b32_e32 v5, 0xffff, v2
	v_cmp_gt_u32_e32 vcc, s2, v8
                                        ; implicit-def: $vgpr6
	s_and_saveexec_b64 s[2:3], vcc
	s_xor_b64 s[2:3], exec, s[2:3]
	s_cbranch_execz .LBB47_3088
; %bb.3083:
	s_mov_b32 s6, 0x3c7fffff
	v_cmp_lt_u32_e32 vcc, s6, v8
                                        ; implicit-def: $vgpr6
	s_and_saveexec_b64 s[6:7], vcc
	s_xor_b64 s[6:7], exec, s[6:7]
; %bb.3084:
	v_bfe_u32 v6, v5, 4, 1
	s_mov_b32 s8, 0x407ffff
	v_add3_u32 v6, v7, v6, s8
	v_lshrrev_b32_e32 v7, 20, v6
	v_and_b32_e32 v6, 0xff00000, v6
	s_mov_b32 s8, 0x7f00000
	v_mov_b32_e32 v8, 0x7e
	v_cmp_ne_u32_e32 vcc, s8, v6
	v_cndmask_b32_e32 v6, v8, v7, vcc
                                        ; implicit-def: $vgpr7
; %bb.3085:
	s_andn2_saveexec_b64 s[6:7], s[6:7]
; %bb.3086:
	s_mov_b32 s8, 0x46800000
	v_add_f32_e64 v6, |v7|, s8
; %bb.3087:
	s_or_b64 exec, exec, s[6:7]
                                        ; implicit-def: $vgpr8
.LBB47_3088:
	s_andn2_saveexec_b64 s[2:3], s[2:3]
; %bb.3089:
	s_mov_b32 s6, 0x7f800000
	v_mov_b32_e32 v6, 0x7e
	v_mov_b32_e32 v7, 0x7f
	v_cmp_lt_u32_e32 vcc, s6, v8
	v_cndmask_b32_e32 v6, v6, v7, vcc
; %bb.3090:
	s_or_b64 exec, exec, s[2:3]
	v_lshrrev_b32_e32 v5, 8, v5
	s_movk_i32 s2, 0x80
	v_and_or_b32 v5, v5, s2, v6
	global_store_byte v[0:1], v5, off
.LBB47_3091:
	s_mov_b64 s[2:3], 0
.LBB47_3092:
	s_andn2_b64 vcc, exec, s[2:3]
	s_cbranch_vccnz .LBB47_3102
; %bb.3093:
	v_lshlrev_b32_e32 v7, 16, v2
	v_and_b32_e32 v8, 0x7fffffff, v7
	s_mov_b32 s2, 0x47800000
	v_and_b32_e32 v5, 0xffff, v2
	v_cmp_gt_u32_e32 vcc, s2, v8
                                        ; implicit-def: $vgpr6
	s_and_saveexec_b64 s[2:3], vcc
	s_xor_b64 s[2:3], exec, s[2:3]
	s_cbranch_execz .LBB47_3099
; %bb.3094:
	s_mov_b32 s6, 0x387fffff
	v_cmp_lt_u32_e32 vcc, s6, v8
                                        ; implicit-def: $vgpr6
	s_and_saveexec_b64 s[6:7], vcc
	s_xor_b64 s[6:7], exec, s[6:7]
; %bb.3095:
	v_bfe_u32 v6, v5, 5, 1
	s_mov_b32 s8, 0x80fffff
	v_add3_u32 v6, v7, v6, s8
	v_lshrrev_b32_e32 v6, 21, v6
                                        ; implicit-def: $vgpr7
; %bb.3096:
	s_andn2_saveexec_b64 s[6:7], s[6:7]
; %bb.3097:
	s_mov_b32 s8, 0x43000000
	v_add_f32_e64 v6, |v7|, s8
; %bb.3098:
	s_or_b64 exec, exec, s[6:7]
                                        ; implicit-def: $vgpr8
.LBB47_3099:
	s_andn2_saveexec_b64 s[2:3], s[2:3]
; %bb.3100:
	s_mov_b32 s6, 0x7f800000
	v_mov_b32_e32 v6, 0x7c
	v_mov_b32_e32 v7, 0x7f
	v_cmp_lt_u32_e32 vcc, s6, v8
	v_cndmask_b32_e32 v6, v6, v7, vcc
; %bb.3101:
	s_or_b64 exec, exec, s[2:3]
	v_lshrrev_b32_e32 v5, 8, v5
	s_movk_i32 s2, 0x80
	v_and_or_b32 v5, v5, s2, v6
	global_store_byte v[0:1], v5, off
.LBB47_3102:
	s_mov_b64 s[2:3], 0
.LBB47_3103:
	s_andn2_b64 vcc, exec, s[2:3]
	s_mov_b64 s[2:3], 0
	s_cbranch_vccnz .LBB47_3110
; %bb.3104:
	v_cmp_lt_i16_e32 vcc, 14, v3
	s_mov_b64 s[6:7], -1
	s_cbranch_vccz .LBB47_3108
; %bb.3105:
	v_cmp_eq_u16_e32 vcc, 15, v3
	s_mov_b64 s[0:1], -1
	s_cbranch_vccz .LBB47_3107
; %bb.3106:
	global_store_short v[0:1], v2, off
	s_mov_b64 s[0:1], 0
.LBB47_3107:
	s_mov_b64 s[6:7], 0
.LBB47_3108:
	s_and_b64 vcc, exec, s[6:7]
	s_cbranch_vccz .LBB47_3110
; %bb.3109:
	v_cmp_ne_u16_e64 s[0:1], 11, v3
	s_mov_b64 s[2:3], -1
.LBB47_3110:
	s_and_b64 vcc, exec, s[0:1]
	s_cbranch_vccnz .LBB47_3165
.LBB47_3111:
	s_mov_b64 s[0:1], 0
	s_branch .LBB47_3113
.LBB47_3112:
	s_mov_b64 s[0:1], 0
	s_mov_b64 s[2:3], 0
                                        ; implicit-def: $vgpr0_vgpr1
                                        ; implicit-def: $vgpr3
                                        ; implicit-def: $vgpr2
                                        ; implicit-def: $vgpr4
.LBB47_3113:
	s_and_b64 s[6:7], s[2:3], exec
	s_andn2_b64 s[2:3], s[12:13], exec
	s_and_b64 s[4:5], s[4:5], exec
	s_and_b64 s[0:1], s[0:1], exec
	s_or_b64 s[12:13], s[2:3], s[4:5]
.LBB47_3114:
	s_or_b64 exec, exec, s[14:15]
	s_and_saveexec_b64 s[2:3], s[12:13]
	s_cbranch_execz .LBB47_3117
; %bb.3115:
	; divergent unreachable
	s_or_b64 exec, exec, s[2:3]
	s_and_saveexec_b64 s[2:3], s[6:7]
	s_xor_b64 s[2:3], exec, s[2:3]
	s_cbranch_execnz .LBB47_3118
.LBB47_3116:
	s_or_b64 exec, exec, s[2:3]
	s_and_saveexec_b64 s[2:3], s[0:1]
	s_cbranch_execnz .LBB47_3119
	s_branch .LBB47_3156
.LBB47_3117:
	s_or_b64 exec, exec, s[2:3]
	s_and_saveexec_b64 s[2:3], s[6:7]
	s_xor_b64 s[2:3], exec, s[2:3]
	s_cbranch_execz .LBB47_3116
.LBB47_3118:
	s_waitcnt vmcnt(0)
	v_cmp_ne_u16_e32 vcc, 0, v4
	v_cndmask_b32_e64 v4, 0, 1, vcc
	global_store_byte v[0:1], v4, off
	s_or_b64 exec, exec, s[2:3]
	s_and_saveexec_b64 s[2:3], s[0:1]
	s_cbranch_execz .LBB47_3156
.LBB47_3119:
	s_waitcnt vmcnt(0)
	v_cmp_gt_i16_e32 vcc, 5, v3
	s_mov_b64 s[0:1], -1
	s_cbranch_vccnz .LBB47_3140
; %bb.3120:
	v_cmp_gt_i16_e32 vcc, 8, v3
	s_cbranch_vccnz .LBB47_3130
; %bb.3121:
	v_cmp_gt_i16_e32 vcc, 9, v3
	s_cbranch_vccnz .LBB47_3127
; %bb.3122:
	v_cmp_lt_i16_e32 vcc, 9, v3
	s_cbranch_vccz .LBB47_3124
; %bb.3123:
	v_lshlrev_b32_e32 v4, 16, v2
	v_mov_b32_e32 v6, 0
	v_cvt_f64_f32_e32 v[4:5], v4
	v_mov_b32_e32 v7, v6
	global_store_dwordx4 v[0:1], v[4:7], off
	s_mov_b64 s[0:1], 0
.LBB47_3124:
	s_andn2_b64 vcc, exec, s[0:1]
	s_cbranch_vccnz .LBB47_3126
; %bb.3125:
	v_lshlrev_b32_e32 v4, 16, v2
	v_mov_b32_e32 v5, 0
	global_store_dwordx2 v[0:1], v[4:5], off
.LBB47_3126:
	s_mov_b64 s[0:1], 0
.LBB47_3127:
	s_andn2_b64 vcc, exec, s[0:1]
	s_cbranch_vccnz .LBB47_3129
; %bb.3128:
	v_lshlrev_b32_e32 v4, 16, v2
	v_cvt_f16_f32_e32 v4, v4
	global_store_dword v[0:1], v4, off
.LBB47_3129:
	s_mov_b64 s[0:1], 0
.LBB47_3130:
	s_andn2_b64 vcc, exec, s[0:1]
	s_cbranch_vccnz .LBB47_3139
; %bb.3131:
	v_cmp_gt_i16_e32 vcc, 6, v3
	s_mov_b64 s[0:1], -1
	s_cbranch_vccnz .LBB47_3137
; %bb.3132:
	v_cmp_lt_i16_e32 vcc, 6, v3
	s_cbranch_vccz .LBB47_3134
; %bb.3133:
	v_lshlrev_b32_e32 v4, 16, v2
	v_cvt_f64_f32_e32 v[4:5], v4
	global_store_dwordx2 v[0:1], v[4:5], off
	s_mov_b64 s[0:1], 0
.LBB47_3134:
	s_andn2_b64 vcc, exec, s[0:1]
	s_cbranch_vccnz .LBB47_3136
; %bb.3135:
	v_lshlrev_b32_e32 v4, 16, v2
	global_store_dword v[0:1], v4, off
.LBB47_3136:
	s_mov_b64 s[0:1], 0
.LBB47_3137:
	s_andn2_b64 vcc, exec, s[0:1]
	s_cbranch_vccnz .LBB47_3139
; %bb.3138:
	v_lshlrev_b32_e32 v4, 16, v2
	v_cvt_f16_f32_e32 v4, v4
	global_store_short v[0:1], v4, off
.LBB47_3139:
	s_mov_b64 s[0:1], 0
.LBB47_3140:
	s_andn2_b64 vcc, exec, s[0:1]
	s_cbranch_vccnz .LBB47_3156
; %bb.3141:
	v_cmp_gt_i16_e32 vcc, 2, v3
	s_mov_b64 s[0:1], -1
	s_cbranch_vccnz .LBB47_3151
; %bb.3142:
	v_cmp_gt_i16_e32 vcc, 3, v3
	s_cbranch_vccnz .LBB47_3148
; %bb.3143:
	v_cmp_lt_i16_e32 vcc, 3, v3
	s_cbranch_vccz .LBB47_3145
; %bb.3144:
	v_lshlrev_b32_e32 v4, 16, v2
	v_trunc_f32_e32 v4, v4
	s_mov_b32 s0, 0x2f800000
	v_mul_f32_e64 v5, |v4|, s0
	v_floor_f32_e32 v5, v5
	s_mov_b32 s0, 0xcf800000
	v_cvt_u32_f32_e32 v6, v5
	v_fma_f32 v5, v5, s0, |v4|
	v_cvt_u32_f32_e32 v5, v5
	v_ashrrev_i32_e32 v7, 31, v4
	v_xor_b32_e32 v6, v6, v7
	s_mov_b64 s[0:1], 0
	v_xor_b32_e32 v4, v5, v7
	v_sub_co_u32_e32 v4, vcc, v4, v7
	v_subb_co_u32_e32 v5, vcc, v6, v7, vcc
	global_store_dwordx2 v[0:1], v[4:5], off
.LBB47_3145:
	s_andn2_b64 vcc, exec, s[0:1]
	s_cbranch_vccnz .LBB47_3147
; %bb.3146:
	v_lshlrev_b32_e32 v4, 16, v2
	v_cvt_i32_f32_e32 v4, v4
	global_store_dword v[0:1], v4, off
.LBB47_3147:
	s_mov_b64 s[0:1], 0
.LBB47_3148:
	s_andn2_b64 vcc, exec, s[0:1]
	s_cbranch_vccnz .LBB47_3150
; %bb.3149:
	v_lshlrev_b32_e32 v4, 16, v2
	v_cvt_i32_f32_e32 v4, v4
	global_store_short v[0:1], v4, off
.LBB47_3150:
	s_mov_b64 s[0:1], 0
.LBB47_3151:
	s_andn2_b64 vcc, exec, s[0:1]
	s_cbranch_vccnz .LBB47_3156
; %bb.3152:
	v_cmp_lt_i16_e32 vcc, 0, v3
	s_mov_b64 s[0:1], -1
	s_cbranch_vccz .LBB47_3154
; %bb.3153:
	v_lshlrev_b32_e32 v3, 16, v2
	v_cvt_i32_f32_e32 v3, v3
	s_mov_b64 s[0:1], 0
	global_store_byte v[0:1], v3, off
.LBB47_3154:
	s_andn2_b64 vcc, exec, s[0:1]
	s_cbranch_vccnz .LBB47_3156
; %bb.3155:
	v_lshlrev_b32_e32 v2, 16, v2
	v_trunc_f32_e32 v2, v2
	s_mov_b32 s0, 0x2f800000
	v_mul_f32_e64 v3, |v2|, s0
	v_floor_f32_e32 v3, v3
	s_mov_b32 s0, 0xcf800000
	v_fma_f32 v3, v3, s0, |v2|
	v_cvt_u32_f32_e32 v3, v3
	v_ashrrev_i32_e32 v2, 31, v2
	v_xor_b32_e32 v3, v3, v2
	v_sub_u32_e32 v2, v3, v2
	global_store_byte v[0:1], v2, off
	s_endpgm
.LBB47_3156:
	s_endpgm
.LBB47_3157:
	s_mov_b64 s[2:3], 0
	s_mov_b64 s[0:1], -1
	s_branch .LBB47_3113
.LBB47_3158:
	s_or_saveexec_b64 s[16:17], s[16:17]
                                        ; implicit-def: $sgpr19
	s_xor_b64 exec, exec, s[16:17]
	s_cbranch_execz .LBB47_2946
.LBB47_3159:
	s_mov_b32 s19, 0x46000000
	v_add_f32_e64 v6, |v7|, s19
	v_and_b32_e32 v6, 0xff, v6
	v_cmp_ne_u32_e32 vcc, 0, v6
	s_andn2_b64 s[10:11], s[10:11], exec
	s_and_b64 s[20:21], vcc, exec
	s_mov_b32 s19, 0
	s_or_b64 s[10:11], s[10:11], s[20:21]
	s_or_b64 exec, exec, s[16:17]
	v_mov_b32_e32 v8, s19
	s_and_saveexec_b64 s[16:17], s[10:11]
	s_cbranch_execnz .LBB47_2947
	s_branch .LBB47_2948
.LBB47_3160:
	s_trap 2
	s_or_b64 s[4:5], s[4:5], exec
	s_cbranch_execz .LBB47_2994
	s_branch .LBB47_2995
.LBB47_3161:
	s_or_saveexec_b64 s[10:11], s[10:11]
                                        ; implicit-def: $sgpr16
	s_xor_b64 exec, exec, s[10:11]
	s_cbranch_execz .LBB47_2959
.LBB47_3162:
	s_mov_b32 s16, 0x42800000
	v_add_f32_e64 v6, |v7|, s16
	v_and_b32_e32 v6, 0xff, v6
	v_cmp_ne_u32_e32 vcc, 0, v6
	s_andn2_b64 s[6:7], s[6:7], exec
	s_and_b64 s[20:21], vcc, exec
	s_mov_b32 s16, 0
	s_or_b64 s[6:7], s[6:7], s[20:21]
	s_or_b64 exec, exec, s[10:11]
	v_mov_b32_e32 v8, s16
	s_and_saveexec_b64 s[10:11], s[6:7]
	s_cbranch_execnz .LBB47_2960
	s_branch .LBB47_2961
.LBB47_3163:
	s_or_saveexec_b64 s[10:11], s[10:11]
                                        ; implicit-def: $sgpr16
	s_xor_b64 exec, exec, s[10:11]
	s_cbranch_execz .LBB47_3065
.LBB47_3164:
	s_mov_b32 s16, 0x46000000
	v_add_f32_e64 v6, |v7|, s16
	v_and_b32_e32 v6, 0xff, v6
	v_cmp_ne_u32_e32 vcc, 0, v6
	s_andn2_b64 s[8:9], s[8:9], exec
	s_and_b64 s[18:19], vcc, exec
	s_mov_b32 s16, 0
	s_or_b64 s[8:9], s[8:9], s[18:19]
	s_or_b64 exec, exec, s[10:11]
	v_mov_b32_e32 v8, s16
	s_and_saveexec_b64 s[10:11], s[8:9]
	s_cbranch_execnz .LBB47_3066
	s_branch .LBB47_3067
.LBB47_3165:
	s_mov_b64 s[2:3], 0
	s_or_b64 s[4:5], s[4:5], exec
	s_trap 2
	s_branch .LBB47_3111
.LBB47_3166:
	s_or_saveexec_b64 s[8:9], s[8:9]
                                        ; implicit-def: $sgpr10
	s_xor_b64 exec, exec, s[8:9]
	s_cbranch_execz .LBB47_3077
.LBB47_3167:
	s_mov_b32 s10, 0x42800000
	v_add_f32_e64 v6, |v7|, s10
	v_and_b32_e32 v6, 0xff, v6
	v_cmp_ne_u32_e32 vcc, 0, v6
	s_andn2_b64 s[6:7], s[6:7], exec
	s_and_b64 s[16:17], vcc, exec
	s_mov_b32 s10, 0
	s_or_b64 s[6:7], s[6:7], s[16:17]
	s_or_b64 exec, exec, s[8:9]
	v_mov_b32_e32 v8, s10
	s_and_saveexec_b64 s[8:9], s[6:7]
	s_cbranch_execnz .LBB47_3078
	s_branch .LBB47_3079
	.section	.rodata,"a",@progbits
	.p2align	6, 0x0
	.amdhsa_kernel _ZN2at6native32elementwise_kernel_manual_unrollILi128ELi4EZNS0_15gpu_kernel_implINS0_13BinaryFunctorIN3c108BFloat16ES5_S5_ZNS0_20copysign_kernel_cudaERNS_18TensorIteratorBaseEEUlS5_S5_E_EEEEvS7_RKT_EUlibE0_EEviT1_
		.amdhsa_group_segment_fixed_size 0
		.amdhsa_private_segment_fixed_size 0
		.amdhsa_kernarg_size 432
		.amdhsa_user_sgpr_count 6
		.amdhsa_user_sgpr_private_segment_buffer 1
		.amdhsa_user_sgpr_dispatch_ptr 0
		.amdhsa_user_sgpr_queue_ptr 0
		.amdhsa_user_sgpr_kernarg_segment_ptr 1
		.amdhsa_user_sgpr_dispatch_id 0
		.amdhsa_user_sgpr_flat_scratch_init 0
		.amdhsa_user_sgpr_kernarg_preload_length 0
		.amdhsa_user_sgpr_kernarg_preload_offset 0
		.amdhsa_user_sgpr_private_segment_size 0
		.amdhsa_uses_dynamic_stack 0
		.amdhsa_system_sgpr_private_segment_wavefront_offset 0
		.amdhsa_system_sgpr_workgroup_id_x 1
		.amdhsa_system_sgpr_workgroup_id_y 0
		.amdhsa_system_sgpr_workgroup_id_z 0
		.amdhsa_system_sgpr_workgroup_info 0
		.amdhsa_system_vgpr_workitem_id 0
		.amdhsa_next_free_vgpr 26
		.amdhsa_next_free_sgpr 78
		.amdhsa_accum_offset 28
		.amdhsa_reserve_vcc 1
		.amdhsa_reserve_flat_scratch 0
		.amdhsa_float_round_mode_32 0
		.amdhsa_float_round_mode_16_64 0
		.amdhsa_float_denorm_mode_32 3
		.amdhsa_float_denorm_mode_16_64 3
		.amdhsa_dx10_clamp 1
		.amdhsa_ieee_mode 1
		.amdhsa_fp16_overflow 0
		.amdhsa_tg_split 0
		.amdhsa_exception_fp_ieee_invalid_op 0
		.amdhsa_exception_fp_denorm_src 0
		.amdhsa_exception_fp_ieee_div_zero 0
		.amdhsa_exception_fp_ieee_overflow 0
		.amdhsa_exception_fp_ieee_underflow 0
		.amdhsa_exception_fp_ieee_inexact 0
		.amdhsa_exception_int_div_zero 0
	.end_amdhsa_kernel
	.section	.text._ZN2at6native32elementwise_kernel_manual_unrollILi128ELi4EZNS0_15gpu_kernel_implINS0_13BinaryFunctorIN3c108BFloat16ES5_S5_ZNS0_20copysign_kernel_cudaERNS_18TensorIteratorBaseEEUlS5_S5_E_EEEEvS7_RKT_EUlibE0_EEviT1_,"axG",@progbits,_ZN2at6native32elementwise_kernel_manual_unrollILi128ELi4EZNS0_15gpu_kernel_implINS0_13BinaryFunctorIN3c108BFloat16ES5_S5_ZNS0_20copysign_kernel_cudaERNS_18TensorIteratorBaseEEUlS5_S5_E_EEEEvS7_RKT_EUlibE0_EEviT1_,comdat
.Lfunc_end47:
	.size	_ZN2at6native32elementwise_kernel_manual_unrollILi128ELi4EZNS0_15gpu_kernel_implINS0_13BinaryFunctorIN3c108BFloat16ES5_S5_ZNS0_20copysign_kernel_cudaERNS_18TensorIteratorBaseEEUlS5_S5_E_EEEEvS7_RKT_EUlibE0_EEviT1_, .Lfunc_end47-_ZN2at6native32elementwise_kernel_manual_unrollILi128ELi4EZNS0_15gpu_kernel_implINS0_13BinaryFunctorIN3c108BFloat16ES5_S5_ZNS0_20copysign_kernel_cudaERNS_18TensorIteratorBaseEEUlS5_S5_E_EEEEvS7_RKT_EUlibE0_EEviT1_
                                        ; -- End function
	.section	.AMDGPU.csdata,"",@progbits
; Kernel info:
; codeLenInByte = 67992
; NumSgprs: 82
; NumVgprs: 26
; NumAgprs: 0
; TotalNumVgprs: 26
; ScratchSize: 0
; MemoryBound: 0
; FloatMode: 240
; IeeeMode: 1
; LDSByteSize: 0 bytes/workgroup (compile time only)
; SGPRBlocks: 10
; VGPRBlocks: 3
; NumSGPRsForWavesPerEU: 82
; NumVGPRsForWavesPerEU: 26
; AccumOffset: 28
; Occupancy: 8
; WaveLimiterHint : 1
; COMPUTE_PGM_RSRC2:SCRATCH_EN: 0
; COMPUTE_PGM_RSRC2:USER_SGPR: 6
; COMPUTE_PGM_RSRC2:TRAP_HANDLER: 0
; COMPUTE_PGM_RSRC2:TGID_X_EN: 1
; COMPUTE_PGM_RSRC2:TGID_Y_EN: 0
; COMPUTE_PGM_RSRC2:TGID_Z_EN: 0
; COMPUTE_PGM_RSRC2:TIDIG_COMP_CNT: 0
; COMPUTE_PGM_RSRC3_GFX90A:ACCUM_OFFSET: 6
; COMPUTE_PGM_RSRC3_GFX90A:TG_SPLIT: 0
	.section	.text._ZN2at6native29vectorized_elementwise_kernelILi16ENS0_13AUnaryFunctorIdddZZZNS0_20copysign_kernel_cudaERNS_18TensorIteratorBaseEENKUlvE_clEvENKUlvE_clEvEUlddE_EESt5arrayIPcLm2EEEEviT0_T1_,"axG",@progbits,_ZN2at6native29vectorized_elementwise_kernelILi16ENS0_13AUnaryFunctorIdddZZZNS0_20copysign_kernel_cudaERNS_18TensorIteratorBaseEENKUlvE_clEvENKUlvE_clEvEUlddE_EESt5arrayIPcLm2EEEEviT0_T1_,comdat
	.globl	_ZN2at6native29vectorized_elementwise_kernelILi16ENS0_13AUnaryFunctorIdddZZZNS0_20copysign_kernel_cudaERNS_18TensorIteratorBaseEENKUlvE_clEvENKUlvE_clEvEUlddE_EESt5arrayIPcLm2EEEEviT0_T1_ ; -- Begin function _ZN2at6native29vectorized_elementwise_kernelILi16ENS0_13AUnaryFunctorIdddZZZNS0_20copysign_kernel_cudaERNS_18TensorIteratorBaseEENKUlvE_clEvENKUlvE_clEvEUlddE_EESt5arrayIPcLm2EEEEviT0_T1_
	.p2align	8
	.type	_ZN2at6native29vectorized_elementwise_kernelILi16ENS0_13AUnaryFunctorIdddZZZNS0_20copysign_kernel_cudaERNS_18TensorIteratorBaseEENKUlvE_clEvENKUlvE_clEvEUlddE_EESt5arrayIPcLm2EEEEviT0_T1_,@function
_ZN2at6native29vectorized_elementwise_kernelILi16ENS0_13AUnaryFunctorIdddZZZNS0_20copysign_kernel_cudaERNS_18TensorIteratorBaseEENKUlvE_clEvENKUlvE_clEvEUlddE_EESt5arrayIPcLm2EEEEviT0_T1_: ; @_ZN2at6native29vectorized_elementwise_kernelILi16ENS0_13AUnaryFunctorIdddZZZNS0_20copysign_kernel_cudaERNS_18TensorIteratorBaseEENKUlvE_clEvENKUlvE_clEvEUlddE_EESt5arrayIPcLm2EEEEviT0_T1_
; %bb.0:
	s_load_dword s0, s[4:5], 0x0
	s_load_dwordx4 s[8:11], s[4:5], 0x10
	s_load_dwordx2 s[12:13], s[4:5], 0x20
	s_lshl_b32 s2, s6, 10
	s_waitcnt lgkmcnt(0)
	s_sub_i32 s6, s0, s2
	s_cmpk_gt_i32 s6, 0x3ff
	s_mov_b64 s[0:1], -1
	s_cbranch_scc0 .LBB48_2
; %bb.1:
	s_ashr_i32 s3, s2, 31
	s_lshl_b64 s[0:1], s[2:3], 3
	s_add_u32 s4, s12, s0
	s_addc_u32 s5, s13, s1
	v_lshlrev_b32_e32 v1, 5, v0
	global_load_dwordx4 v[2:5], v1, s[4:5]
	global_load_dwordx4 v[6:9], v1, s[4:5] offset:16
	s_brev_b32 s3, -2
	s_waitcnt vmcnt(0)
	v_mov_b32_e32 v6, s9
	s_add_u32 s0, s10, s0
	v_mov_b32_e32 v2, s8
	v_mov_b32_e32 v4, s8
	s_addc_u32 s1, s11, s1
	v_bfi_b32 v3, s3, v6, v3
	v_bfi_b32 v5, s3, v6, v5
	;; [unrolled: 1-line block ×4, first 2 shown]
	global_store_dwordx4 v1, v[2:5], s[0:1]
	s_nop 0
	v_mov_b32_e32 v3, v7
	v_mov_b32_e32 v5, v6
	global_store_dwordx4 v1, v[2:5], s[0:1] offset:16
	s_mov_b64 s[0:1], 0
.LBB48_2:
	s_andn2_b64 vcc, exec, s[0:1]
	s_cbranch_vccnz .LBB48_16
; %bb.3:
	v_pk_mov_b32 v[4:5], 0, 0
	v_cmp_gt_i32_e32 vcc, s6, v0
	v_or_b32_e32 v2, s2, v0
	v_pk_mov_b32 v[6:7], v[4:5], v[4:5] op_sel:[0,1]
	v_mov_b32_e32 v1, v0
	s_and_saveexec_b64 s[4:5], vcc
	s_cbranch_execz .LBB48_5
; %bb.4:
	v_mov_b32_e32 v3, 0
	v_lshlrev_b64 v[6:7], 3, v[2:3]
	v_mov_b32_e32 v1, s13
	v_add_co_u32_e64 v6, s[0:1], s12, v6
	v_addc_co_u32_e64 v7, s[0:1], v1, v7, s[0:1]
	global_load_dwordx2 v[6:7], v[6:7], off
	v_or_b32_e32 v1, 0x100, v0
.LBB48_5:
	s_or_b64 exec, exec, s[4:5]
	v_cmp_gt_i32_e64 s[0:1], s6, v1
	s_and_saveexec_b64 s[4:5], s[0:1]
	s_cbranch_execz .LBB48_7
; %bb.6:
	v_add_u32_e32 v4, s2, v1
	v_mov_b32_e32 v5, 0
	v_lshlrev_b64 v[4:5], 3, v[4:5]
	v_mov_b32_e32 v3, s13
	v_add_co_u32_e64 v4, s[0:1], s12, v4
	v_addc_co_u32_e64 v5, s[0:1], v3, v5, s[0:1]
	global_load_dwordx2 v[4:5], v[4:5], off
	v_add_u32_e32 v1, 0x100, v1
.LBB48_7:
	s_or_b64 exec, exec, s[4:5]
	v_pk_mov_b32 v[10:11], 0, 0
	v_cmp_gt_i32_e64 s[0:1], s6, v1
	v_pk_mov_b32 v[12:13], v[10:11], v[10:11] op_sel:[0,1]
	s_and_saveexec_b64 s[4:5], s[0:1]
	s_cbranch_execz .LBB48_9
; %bb.8:
	v_add_u32_e32 v8, s2, v1
	v_mov_b32_e32 v9, 0
	v_lshlrev_b64 v[8:9], 3, v[8:9]
	v_mov_b32_e32 v3, s13
	v_add_co_u32_e64 v8, s[0:1], s12, v8
	v_addc_co_u32_e64 v9, s[0:1], v3, v9, s[0:1]
	global_load_dwordx2 v[12:13], v[8:9], off
	v_add_u32_e32 v1, 0x100, v1
.LBB48_9:
	s_or_b64 exec, exec, s[4:5]
	v_cmp_gt_i32_e64 s[0:1], s6, v1
	s_and_saveexec_b64 s[4:5], s[0:1]
	s_cbranch_execz .LBB48_11
; %bb.10:
	v_add_u32_e32 v8, s2, v1
	v_mov_b32_e32 v9, 0
	v_lshlrev_b64 v[8:9], 3, v[8:9]
	v_mov_b32_e32 v1, s13
	v_add_co_u32_e64 v8, s[0:1], s12, v8
	v_addc_co_u32_e64 v9, s[0:1], v1, v9, s[0:1]
	global_load_dwordx2 v[10:11], v[8:9], off
.LBB48_11:
	s_or_b64 exec, exec, s[4:5]
	s_brev_b32 s3, -2
	v_mov_b32_e32 v3, s9
	s_waitcnt vmcnt(0)
	v_or_b32_e32 v4, 0x100, v0
	v_bfi_b32 v1, s3, v3, v7
	v_bfi_b32 v5, s3, v3, v5
	v_cmp_gt_i32_e64 s[0:1], s6, v4
	v_cndmask_b32_e64 v9, v1, v5, s[0:1]
	v_or_b32_e32 v5, 0x200, v0
	v_bfi_b32 v6, s3, v3, v13
	v_cmp_gt_i32_e64 s[0:1], s6, v5
	v_or_b32_e32 v5, 0x300, v0
	v_cndmask_b32_e64 v7, v1, v6, s[0:1]
	v_bfi_b32 v3, s3, v3, v11
	v_cmp_gt_i32_e64 s[0:1], s6, v5
	v_cndmask_b32_e64 v5, v1, v3, s[0:1]
	s_and_saveexec_b64 s[0:1], vcc
	s_cbranch_execnz .LBB48_17
; %bb.12:
	s_or_b64 exec, exec, s[0:1]
	v_cmp_gt_i32_e32 vcc, s6, v0
	s_and_saveexec_b64 s[0:1], vcc
	s_cbranch_execnz .LBB48_18
.LBB48_13:
	s_or_b64 exec, exec, s[0:1]
	v_cmp_gt_i32_e32 vcc, s6, v0
	s_and_saveexec_b64 s[0:1], vcc
	s_cbranch_execnz .LBB48_19
.LBB48_14:
	s_or_b64 exec, exec, s[0:1]
	v_cmp_gt_i32_e32 vcc, s6, v0
	s_and_saveexec_b64 s[0:1], vcc
	s_cbranch_execz .LBB48_16
.LBB48_15:
	v_add_u32_e32 v0, s2, v0
	v_mov_b32_e32 v1, 0
	v_lshlrev_b64 v[0:1], 3, v[0:1]
	v_mov_b32_e32 v2, s11
	v_add_co_u32_e32 v0, vcc, s10, v0
	v_mov_b32_e32 v4, s8
	v_addc_co_u32_e32 v1, vcc, v2, v1, vcc
	global_store_dwordx2 v[0:1], v[4:5], off
.LBB48_16:
	s_endpgm
.LBB48_17:
	v_mov_b32_e32 v3, 0
	v_lshlrev_b64 v[2:3], 3, v[2:3]
	v_mov_b32_e32 v6, s11
	v_add_co_u32_e32 v2, vcc, s10, v2
	v_mov_b32_e32 v0, s8
	v_addc_co_u32_e32 v3, vcc, v6, v3, vcc
	global_store_dwordx2 v[2:3], v[0:1], off
	v_mov_b32_e32 v0, v4
	s_or_b64 exec, exec, s[0:1]
	v_cmp_gt_i32_e32 vcc, s6, v0
	s_and_saveexec_b64 s[0:1], vcc
	s_cbranch_execz .LBB48_13
.LBB48_18:
	v_add_u32_e32 v2, s2, v0
	v_mov_b32_e32 v3, 0
	v_lshlrev_b64 v[2:3], 3, v[2:3]
	v_mov_b32_e32 v1, s11
	v_add_co_u32_e32 v2, vcc, s10, v2
	v_mov_b32_e32 v8, s8
	v_addc_co_u32_e32 v3, vcc, v1, v3, vcc
	v_add_u32_e32 v0, 0x100, v0
	global_store_dwordx2 v[2:3], v[8:9], off
	s_or_b64 exec, exec, s[0:1]
	v_cmp_gt_i32_e32 vcc, s6, v0
	s_and_saveexec_b64 s[0:1], vcc
	s_cbranch_execz .LBB48_14
.LBB48_19:
	v_add_u32_e32 v2, s2, v0
	v_mov_b32_e32 v3, 0
	v_lshlrev_b64 v[2:3], 3, v[2:3]
	v_mov_b32_e32 v1, s11
	v_add_co_u32_e32 v2, vcc, s10, v2
	v_mov_b32_e32 v6, s8
	v_addc_co_u32_e32 v3, vcc, v1, v3, vcc
	v_add_u32_e32 v0, 0x100, v0
	global_store_dwordx2 v[2:3], v[6:7], off
	s_or_b64 exec, exec, s[0:1]
	v_cmp_gt_i32_e32 vcc, s6, v0
	s_and_saveexec_b64 s[0:1], vcc
	s_cbranch_execnz .LBB48_15
	s_branch .LBB48_16
	.section	.rodata,"a",@progbits
	.p2align	6, 0x0
	.amdhsa_kernel _ZN2at6native29vectorized_elementwise_kernelILi16ENS0_13AUnaryFunctorIdddZZZNS0_20copysign_kernel_cudaERNS_18TensorIteratorBaseEENKUlvE_clEvENKUlvE_clEvEUlddE_EESt5arrayIPcLm2EEEEviT0_T1_
		.amdhsa_group_segment_fixed_size 0
		.amdhsa_private_segment_fixed_size 0
		.amdhsa_kernarg_size 40
		.amdhsa_user_sgpr_count 6
		.amdhsa_user_sgpr_private_segment_buffer 1
		.amdhsa_user_sgpr_dispatch_ptr 0
		.amdhsa_user_sgpr_queue_ptr 0
		.amdhsa_user_sgpr_kernarg_segment_ptr 1
		.amdhsa_user_sgpr_dispatch_id 0
		.amdhsa_user_sgpr_flat_scratch_init 0
		.amdhsa_user_sgpr_kernarg_preload_length 0
		.amdhsa_user_sgpr_kernarg_preload_offset 0
		.amdhsa_user_sgpr_private_segment_size 0
		.amdhsa_uses_dynamic_stack 0
		.amdhsa_system_sgpr_private_segment_wavefront_offset 0
		.amdhsa_system_sgpr_workgroup_id_x 1
		.amdhsa_system_sgpr_workgroup_id_y 0
		.amdhsa_system_sgpr_workgroup_id_z 0
		.amdhsa_system_sgpr_workgroup_info 0
		.amdhsa_system_vgpr_workitem_id 0
		.amdhsa_next_free_vgpr 14
		.amdhsa_next_free_sgpr 14
		.amdhsa_accum_offset 16
		.amdhsa_reserve_vcc 1
		.amdhsa_reserve_flat_scratch 0
		.amdhsa_float_round_mode_32 0
		.amdhsa_float_round_mode_16_64 0
		.amdhsa_float_denorm_mode_32 3
		.amdhsa_float_denorm_mode_16_64 3
		.amdhsa_dx10_clamp 1
		.amdhsa_ieee_mode 1
		.amdhsa_fp16_overflow 0
		.amdhsa_tg_split 0
		.amdhsa_exception_fp_ieee_invalid_op 0
		.amdhsa_exception_fp_denorm_src 0
		.amdhsa_exception_fp_ieee_div_zero 0
		.amdhsa_exception_fp_ieee_overflow 0
		.amdhsa_exception_fp_ieee_underflow 0
		.amdhsa_exception_fp_ieee_inexact 0
		.amdhsa_exception_int_div_zero 0
	.end_amdhsa_kernel
	.section	.text._ZN2at6native29vectorized_elementwise_kernelILi16ENS0_13AUnaryFunctorIdddZZZNS0_20copysign_kernel_cudaERNS_18TensorIteratorBaseEENKUlvE_clEvENKUlvE_clEvEUlddE_EESt5arrayIPcLm2EEEEviT0_T1_,"axG",@progbits,_ZN2at6native29vectorized_elementwise_kernelILi16ENS0_13AUnaryFunctorIdddZZZNS0_20copysign_kernel_cudaERNS_18TensorIteratorBaseEENKUlvE_clEvENKUlvE_clEvEUlddE_EESt5arrayIPcLm2EEEEviT0_T1_,comdat
.Lfunc_end48:
	.size	_ZN2at6native29vectorized_elementwise_kernelILi16ENS0_13AUnaryFunctorIdddZZZNS0_20copysign_kernel_cudaERNS_18TensorIteratorBaseEENKUlvE_clEvENKUlvE_clEvEUlddE_EESt5arrayIPcLm2EEEEviT0_T1_, .Lfunc_end48-_ZN2at6native29vectorized_elementwise_kernelILi16ENS0_13AUnaryFunctorIdddZZZNS0_20copysign_kernel_cudaERNS_18TensorIteratorBaseEENKUlvE_clEvENKUlvE_clEvEUlddE_EESt5arrayIPcLm2EEEEviT0_T1_
                                        ; -- End function
	.section	.AMDGPU.csdata,"",@progbits
; Kernel info:
; codeLenInByte = 900
; NumSgprs: 18
; NumVgprs: 14
; NumAgprs: 0
; TotalNumVgprs: 14
; ScratchSize: 0
; MemoryBound: 0
; FloatMode: 240
; IeeeMode: 1
; LDSByteSize: 0 bytes/workgroup (compile time only)
; SGPRBlocks: 2
; VGPRBlocks: 1
; NumSGPRsForWavesPerEU: 18
; NumVGPRsForWavesPerEU: 14
; AccumOffset: 16
; Occupancy: 8
; WaveLimiterHint : 0
; COMPUTE_PGM_RSRC2:SCRATCH_EN: 0
; COMPUTE_PGM_RSRC2:USER_SGPR: 6
; COMPUTE_PGM_RSRC2:TRAP_HANDLER: 0
; COMPUTE_PGM_RSRC2:TGID_X_EN: 1
; COMPUTE_PGM_RSRC2:TGID_Y_EN: 0
; COMPUTE_PGM_RSRC2:TGID_Z_EN: 0
; COMPUTE_PGM_RSRC2:TIDIG_COMP_CNT: 0
; COMPUTE_PGM_RSRC3_GFX90A:ACCUM_OFFSET: 3
; COMPUTE_PGM_RSRC3_GFX90A:TG_SPLIT: 0
	.section	.text._ZN2at6native29vectorized_elementwise_kernelILi8ENS0_13AUnaryFunctorIdddZZZNS0_20copysign_kernel_cudaERNS_18TensorIteratorBaseEENKUlvE_clEvENKUlvE_clEvEUlddE_EESt5arrayIPcLm2EEEEviT0_T1_,"axG",@progbits,_ZN2at6native29vectorized_elementwise_kernelILi8ENS0_13AUnaryFunctorIdddZZZNS0_20copysign_kernel_cudaERNS_18TensorIteratorBaseEENKUlvE_clEvENKUlvE_clEvEUlddE_EESt5arrayIPcLm2EEEEviT0_T1_,comdat
	.globl	_ZN2at6native29vectorized_elementwise_kernelILi8ENS0_13AUnaryFunctorIdddZZZNS0_20copysign_kernel_cudaERNS_18TensorIteratorBaseEENKUlvE_clEvENKUlvE_clEvEUlddE_EESt5arrayIPcLm2EEEEviT0_T1_ ; -- Begin function _ZN2at6native29vectorized_elementwise_kernelILi8ENS0_13AUnaryFunctorIdddZZZNS0_20copysign_kernel_cudaERNS_18TensorIteratorBaseEENKUlvE_clEvENKUlvE_clEvEUlddE_EESt5arrayIPcLm2EEEEviT0_T1_
	.p2align	8
	.type	_ZN2at6native29vectorized_elementwise_kernelILi8ENS0_13AUnaryFunctorIdddZZZNS0_20copysign_kernel_cudaERNS_18TensorIteratorBaseEENKUlvE_clEvENKUlvE_clEvEUlddE_EESt5arrayIPcLm2EEEEviT0_T1_,@function
_ZN2at6native29vectorized_elementwise_kernelILi8ENS0_13AUnaryFunctorIdddZZZNS0_20copysign_kernel_cudaERNS_18TensorIteratorBaseEENKUlvE_clEvENKUlvE_clEvEUlddE_EESt5arrayIPcLm2EEEEviT0_T1_: ; @_ZN2at6native29vectorized_elementwise_kernelILi8ENS0_13AUnaryFunctorIdddZZZNS0_20copysign_kernel_cudaERNS_18TensorIteratorBaseEENKUlvE_clEvENKUlvE_clEvEUlddE_EESt5arrayIPcLm2EEEEviT0_T1_
; %bb.0:
	s_load_dword s0, s[4:5], 0x0
	s_load_dwordx4 s[8:11], s[4:5], 0x10
	s_load_dwordx2 s[12:13], s[4:5], 0x20
	s_lshl_b32 s2, s6, 10
	s_waitcnt lgkmcnt(0)
	s_sub_i32 s6, s0, s2
	s_cmpk_gt_i32 s6, 0x3ff
	s_mov_b64 s[0:1], -1
	s_cbranch_scc0 .LBB49_2
; %bb.1:
	s_ashr_i32 s3, s2, 31
	s_lshl_b64 s[0:1], s[2:3], 3
	s_add_u32 s4, s12, s0
	s_addc_u32 s5, s13, s1
	v_lshlrev_b32_e32 v1, 5, v0
	global_load_dwordx4 v[2:5], v1, s[4:5]
	global_load_dwordx4 v[6:9], v1, s[4:5] offset:16
	s_brev_b32 s3, -2
	s_waitcnt vmcnt(0)
	v_mov_b32_e32 v6, s9
	s_add_u32 s0, s10, s0
	v_mov_b32_e32 v2, s8
	v_mov_b32_e32 v4, s8
	s_addc_u32 s1, s11, s1
	v_bfi_b32 v3, s3, v6, v3
	v_bfi_b32 v5, s3, v6, v5
	;; [unrolled: 1-line block ×4, first 2 shown]
	global_store_dwordx4 v1, v[2:5], s[0:1]
	s_nop 0
	v_mov_b32_e32 v3, v7
	v_mov_b32_e32 v5, v6
	global_store_dwordx4 v1, v[2:5], s[0:1] offset:16
	s_mov_b64 s[0:1], 0
.LBB49_2:
	s_andn2_b64 vcc, exec, s[0:1]
	s_cbranch_vccnz .LBB49_16
; %bb.3:
	v_pk_mov_b32 v[4:5], 0, 0
	v_cmp_gt_i32_e32 vcc, s6, v0
	v_or_b32_e32 v2, s2, v0
	v_pk_mov_b32 v[6:7], v[4:5], v[4:5] op_sel:[0,1]
	v_mov_b32_e32 v1, v0
	s_and_saveexec_b64 s[4:5], vcc
	s_cbranch_execz .LBB49_5
; %bb.4:
	v_mov_b32_e32 v3, 0
	v_lshlrev_b64 v[6:7], 3, v[2:3]
	v_mov_b32_e32 v1, s13
	v_add_co_u32_e64 v6, s[0:1], s12, v6
	v_addc_co_u32_e64 v7, s[0:1], v1, v7, s[0:1]
	global_load_dwordx2 v[6:7], v[6:7], off
	v_or_b32_e32 v1, 0x100, v0
.LBB49_5:
	s_or_b64 exec, exec, s[4:5]
	v_cmp_gt_i32_e64 s[0:1], s6, v1
	s_and_saveexec_b64 s[4:5], s[0:1]
	s_cbranch_execz .LBB49_7
; %bb.6:
	v_add_u32_e32 v4, s2, v1
	v_mov_b32_e32 v5, 0
	v_lshlrev_b64 v[4:5], 3, v[4:5]
	v_mov_b32_e32 v3, s13
	v_add_co_u32_e64 v4, s[0:1], s12, v4
	v_addc_co_u32_e64 v5, s[0:1], v3, v5, s[0:1]
	global_load_dwordx2 v[4:5], v[4:5], off
	v_add_u32_e32 v1, 0x100, v1
.LBB49_7:
	s_or_b64 exec, exec, s[4:5]
	v_pk_mov_b32 v[10:11], 0, 0
	v_cmp_gt_i32_e64 s[0:1], s6, v1
	v_pk_mov_b32 v[12:13], v[10:11], v[10:11] op_sel:[0,1]
	s_and_saveexec_b64 s[4:5], s[0:1]
	s_cbranch_execz .LBB49_9
; %bb.8:
	v_add_u32_e32 v8, s2, v1
	v_mov_b32_e32 v9, 0
	v_lshlrev_b64 v[8:9], 3, v[8:9]
	v_mov_b32_e32 v3, s13
	v_add_co_u32_e64 v8, s[0:1], s12, v8
	v_addc_co_u32_e64 v9, s[0:1], v3, v9, s[0:1]
	global_load_dwordx2 v[12:13], v[8:9], off
	v_add_u32_e32 v1, 0x100, v1
.LBB49_9:
	s_or_b64 exec, exec, s[4:5]
	v_cmp_gt_i32_e64 s[0:1], s6, v1
	s_and_saveexec_b64 s[4:5], s[0:1]
	s_cbranch_execz .LBB49_11
; %bb.10:
	v_add_u32_e32 v8, s2, v1
	v_mov_b32_e32 v9, 0
	v_lshlrev_b64 v[8:9], 3, v[8:9]
	v_mov_b32_e32 v1, s13
	v_add_co_u32_e64 v8, s[0:1], s12, v8
	v_addc_co_u32_e64 v9, s[0:1], v1, v9, s[0:1]
	global_load_dwordx2 v[10:11], v[8:9], off
.LBB49_11:
	s_or_b64 exec, exec, s[4:5]
	s_brev_b32 s3, -2
	v_mov_b32_e32 v3, s9
	s_waitcnt vmcnt(0)
	v_or_b32_e32 v4, 0x100, v0
	v_bfi_b32 v1, s3, v3, v7
	v_bfi_b32 v5, s3, v3, v5
	v_cmp_gt_i32_e64 s[0:1], s6, v4
	v_cndmask_b32_e64 v9, v1, v5, s[0:1]
	v_or_b32_e32 v5, 0x200, v0
	v_bfi_b32 v6, s3, v3, v13
	v_cmp_gt_i32_e64 s[0:1], s6, v5
	v_or_b32_e32 v5, 0x300, v0
	v_cndmask_b32_e64 v7, v1, v6, s[0:1]
	v_bfi_b32 v3, s3, v3, v11
	v_cmp_gt_i32_e64 s[0:1], s6, v5
	v_cndmask_b32_e64 v5, v1, v3, s[0:1]
	s_and_saveexec_b64 s[0:1], vcc
	s_cbranch_execnz .LBB49_17
; %bb.12:
	s_or_b64 exec, exec, s[0:1]
	v_cmp_gt_i32_e32 vcc, s6, v0
	s_and_saveexec_b64 s[0:1], vcc
	s_cbranch_execnz .LBB49_18
.LBB49_13:
	s_or_b64 exec, exec, s[0:1]
	v_cmp_gt_i32_e32 vcc, s6, v0
	s_and_saveexec_b64 s[0:1], vcc
	s_cbranch_execnz .LBB49_19
.LBB49_14:
	s_or_b64 exec, exec, s[0:1]
	v_cmp_gt_i32_e32 vcc, s6, v0
	s_and_saveexec_b64 s[0:1], vcc
	s_cbranch_execz .LBB49_16
.LBB49_15:
	v_add_u32_e32 v0, s2, v0
	v_mov_b32_e32 v1, 0
	v_lshlrev_b64 v[0:1], 3, v[0:1]
	v_mov_b32_e32 v2, s11
	v_add_co_u32_e32 v0, vcc, s10, v0
	v_mov_b32_e32 v4, s8
	v_addc_co_u32_e32 v1, vcc, v2, v1, vcc
	global_store_dwordx2 v[0:1], v[4:5], off
.LBB49_16:
	s_endpgm
.LBB49_17:
	v_mov_b32_e32 v3, 0
	v_lshlrev_b64 v[2:3], 3, v[2:3]
	v_mov_b32_e32 v6, s11
	v_add_co_u32_e32 v2, vcc, s10, v2
	v_mov_b32_e32 v0, s8
	v_addc_co_u32_e32 v3, vcc, v6, v3, vcc
	global_store_dwordx2 v[2:3], v[0:1], off
	v_mov_b32_e32 v0, v4
	s_or_b64 exec, exec, s[0:1]
	v_cmp_gt_i32_e32 vcc, s6, v0
	s_and_saveexec_b64 s[0:1], vcc
	s_cbranch_execz .LBB49_13
.LBB49_18:
	v_add_u32_e32 v2, s2, v0
	v_mov_b32_e32 v3, 0
	v_lshlrev_b64 v[2:3], 3, v[2:3]
	v_mov_b32_e32 v1, s11
	v_add_co_u32_e32 v2, vcc, s10, v2
	v_mov_b32_e32 v8, s8
	v_addc_co_u32_e32 v3, vcc, v1, v3, vcc
	v_add_u32_e32 v0, 0x100, v0
	global_store_dwordx2 v[2:3], v[8:9], off
	s_or_b64 exec, exec, s[0:1]
	v_cmp_gt_i32_e32 vcc, s6, v0
	s_and_saveexec_b64 s[0:1], vcc
	s_cbranch_execz .LBB49_14
.LBB49_19:
	v_add_u32_e32 v2, s2, v0
	v_mov_b32_e32 v3, 0
	v_lshlrev_b64 v[2:3], 3, v[2:3]
	v_mov_b32_e32 v1, s11
	v_add_co_u32_e32 v2, vcc, s10, v2
	v_mov_b32_e32 v6, s8
	v_addc_co_u32_e32 v3, vcc, v1, v3, vcc
	v_add_u32_e32 v0, 0x100, v0
	global_store_dwordx2 v[2:3], v[6:7], off
	s_or_b64 exec, exec, s[0:1]
	v_cmp_gt_i32_e32 vcc, s6, v0
	s_and_saveexec_b64 s[0:1], vcc
	s_cbranch_execnz .LBB49_15
	s_branch .LBB49_16
	.section	.rodata,"a",@progbits
	.p2align	6, 0x0
	.amdhsa_kernel _ZN2at6native29vectorized_elementwise_kernelILi8ENS0_13AUnaryFunctorIdddZZZNS0_20copysign_kernel_cudaERNS_18TensorIteratorBaseEENKUlvE_clEvENKUlvE_clEvEUlddE_EESt5arrayIPcLm2EEEEviT0_T1_
		.amdhsa_group_segment_fixed_size 0
		.amdhsa_private_segment_fixed_size 0
		.amdhsa_kernarg_size 40
		.amdhsa_user_sgpr_count 6
		.amdhsa_user_sgpr_private_segment_buffer 1
		.amdhsa_user_sgpr_dispatch_ptr 0
		.amdhsa_user_sgpr_queue_ptr 0
		.amdhsa_user_sgpr_kernarg_segment_ptr 1
		.amdhsa_user_sgpr_dispatch_id 0
		.amdhsa_user_sgpr_flat_scratch_init 0
		.amdhsa_user_sgpr_kernarg_preload_length 0
		.amdhsa_user_sgpr_kernarg_preload_offset 0
		.amdhsa_user_sgpr_private_segment_size 0
		.amdhsa_uses_dynamic_stack 0
		.amdhsa_system_sgpr_private_segment_wavefront_offset 0
		.amdhsa_system_sgpr_workgroup_id_x 1
		.amdhsa_system_sgpr_workgroup_id_y 0
		.amdhsa_system_sgpr_workgroup_id_z 0
		.amdhsa_system_sgpr_workgroup_info 0
		.amdhsa_system_vgpr_workitem_id 0
		.amdhsa_next_free_vgpr 14
		.amdhsa_next_free_sgpr 14
		.amdhsa_accum_offset 16
		.amdhsa_reserve_vcc 1
		.amdhsa_reserve_flat_scratch 0
		.amdhsa_float_round_mode_32 0
		.amdhsa_float_round_mode_16_64 0
		.amdhsa_float_denorm_mode_32 3
		.amdhsa_float_denorm_mode_16_64 3
		.amdhsa_dx10_clamp 1
		.amdhsa_ieee_mode 1
		.amdhsa_fp16_overflow 0
		.amdhsa_tg_split 0
		.amdhsa_exception_fp_ieee_invalid_op 0
		.amdhsa_exception_fp_denorm_src 0
		.amdhsa_exception_fp_ieee_div_zero 0
		.amdhsa_exception_fp_ieee_overflow 0
		.amdhsa_exception_fp_ieee_underflow 0
		.amdhsa_exception_fp_ieee_inexact 0
		.amdhsa_exception_int_div_zero 0
	.end_amdhsa_kernel
	.section	.text._ZN2at6native29vectorized_elementwise_kernelILi8ENS0_13AUnaryFunctorIdddZZZNS0_20copysign_kernel_cudaERNS_18TensorIteratorBaseEENKUlvE_clEvENKUlvE_clEvEUlddE_EESt5arrayIPcLm2EEEEviT0_T1_,"axG",@progbits,_ZN2at6native29vectorized_elementwise_kernelILi8ENS0_13AUnaryFunctorIdddZZZNS0_20copysign_kernel_cudaERNS_18TensorIteratorBaseEENKUlvE_clEvENKUlvE_clEvEUlddE_EESt5arrayIPcLm2EEEEviT0_T1_,comdat
.Lfunc_end49:
	.size	_ZN2at6native29vectorized_elementwise_kernelILi8ENS0_13AUnaryFunctorIdddZZZNS0_20copysign_kernel_cudaERNS_18TensorIteratorBaseEENKUlvE_clEvENKUlvE_clEvEUlddE_EESt5arrayIPcLm2EEEEviT0_T1_, .Lfunc_end49-_ZN2at6native29vectorized_elementwise_kernelILi8ENS0_13AUnaryFunctorIdddZZZNS0_20copysign_kernel_cudaERNS_18TensorIteratorBaseEENKUlvE_clEvENKUlvE_clEvEUlddE_EESt5arrayIPcLm2EEEEviT0_T1_
                                        ; -- End function
	.section	.AMDGPU.csdata,"",@progbits
; Kernel info:
; codeLenInByte = 900
; NumSgprs: 18
; NumVgprs: 14
; NumAgprs: 0
; TotalNumVgprs: 14
; ScratchSize: 0
; MemoryBound: 0
; FloatMode: 240
; IeeeMode: 1
; LDSByteSize: 0 bytes/workgroup (compile time only)
; SGPRBlocks: 2
; VGPRBlocks: 1
; NumSGPRsForWavesPerEU: 18
; NumVGPRsForWavesPerEU: 14
; AccumOffset: 16
; Occupancy: 8
; WaveLimiterHint : 0
; COMPUTE_PGM_RSRC2:SCRATCH_EN: 0
; COMPUTE_PGM_RSRC2:USER_SGPR: 6
; COMPUTE_PGM_RSRC2:TRAP_HANDLER: 0
; COMPUTE_PGM_RSRC2:TGID_X_EN: 1
; COMPUTE_PGM_RSRC2:TGID_Y_EN: 0
; COMPUTE_PGM_RSRC2:TGID_Z_EN: 0
; COMPUTE_PGM_RSRC2:TIDIG_COMP_CNT: 0
; COMPUTE_PGM_RSRC3_GFX90A:ACCUM_OFFSET: 3
; COMPUTE_PGM_RSRC3_GFX90A:TG_SPLIT: 0
	.section	.text._ZN2at6native29vectorized_elementwise_kernelILi4ENS0_13AUnaryFunctorIdddZZZNS0_20copysign_kernel_cudaERNS_18TensorIteratorBaseEENKUlvE_clEvENKUlvE_clEvEUlddE_EESt5arrayIPcLm2EEEEviT0_T1_,"axG",@progbits,_ZN2at6native29vectorized_elementwise_kernelILi4ENS0_13AUnaryFunctorIdddZZZNS0_20copysign_kernel_cudaERNS_18TensorIteratorBaseEENKUlvE_clEvENKUlvE_clEvEUlddE_EESt5arrayIPcLm2EEEEviT0_T1_,comdat
	.globl	_ZN2at6native29vectorized_elementwise_kernelILi4ENS0_13AUnaryFunctorIdddZZZNS0_20copysign_kernel_cudaERNS_18TensorIteratorBaseEENKUlvE_clEvENKUlvE_clEvEUlddE_EESt5arrayIPcLm2EEEEviT0_T1_ ; -- Begin function _ZN2at6native29vectorized_elementwise_kernelILi4ENS0_13AUnaryFunctorIdddZZZNS0_20copysign_kernel_cudaERNS_18TensorIteratorBaseEENKUlvE_clEvENKUlvE_clEvEUlddE_EESt5arrayIPcLm2EEEEviT0_T1_
	.p2align	8
	.type	_ZN2at6native29vectorized_elementwise_kernelILi4ENS0_13AUnaryFunctorIdddZZZNS0_20copysign_kernel_cudaERNS_18TensorIteratorBaseEENKUlvE_clEvENKUlvE_clEvEUlddE_EESt5arrayIPcLm2EEEEviT0_T1_,@function
_ZN2at6native29vectorized_elementwise_kernelILi4ENS0_13AUnaryFunctorIdddZZZNS0_20copysign_kernel_cudaERNS_18TensorIteratorBaseEENKUlvE_clEvENKUlvE_clEvEUlddE_EESt5arrayIPcLm2EEEEviT0_T1_: ; @_ZN2at6native29vectorized_elementwise_kernelILi4ENS0_13AUnaryFunctorIdddZZZNS0_20copysign_kernel_cudaERNS_18TensorIteratorBaseEENKUlvE_clEvENKUlvE_clEvEUlddE_EESt5arrayIPcLm2EEEEviT0_T1_
; %bb.0:
	s_load_dword s0, s[4:5], 0x0
	s_load_dwordx4 s[8:11], s[4:5], 0x10
	s_load_dwordx2 s[12:13], s[4:5], 0x20
	s_lshl_b32 s2, s6, 10
	s_waitcnt lgkmcnt(0)
	s_sub_i32 s6, s0, s2
	s_cmpk_gt_i32 s6, 0x3ff
	s_mov_b64 s[0:1], -1
	s_cbranch_scc0 .LBB50_2
; %bb.1:
	s_ashr_i32 s3, s2, 31
	s_lshl_b64 s[0:1], s[2:3], 3
	s_add_u32 s4, s12, s0
	s_addc_u32 s5, s13, s1
	v_lshlrev_b32_e32 v1, 5, v0
	global_load_dwordx4 v[2:5], v1, s[4:5]
	global_load_dwordx4 v[6:9], v1, s[4:5] offset:16
	s_brev_b32 s3, -2
	s_waitcnt vmcnt(0)
	v_mov_b32_e32 v6, s9
	s_add_u32 s0, s10, s0
	v_mov_b32_e32 v2, s8
	v_mov_b32_e32 v4, s8
	s_addc_u32 s1, s11, s1
	v_bfi_b32 v3, s3, v6, v3
	v_bfi_b32 v5, s3, v6, v5
	;; [unrolled: 1-line block ×4, first 2 shown]
	global_store_dwordx4 v1, v[2:5], s[0:1]
	s_nop 0
	v_mov_b32_e32 v3, v7
	v_mov_b32_e32 v5, v6
	global_store_dwordx4 v1, v[2:5], s[0:1] offset:16
	s_mov_b64 s[0:1], 0
.LBB50_2:
	s_andn2_b64 vcc, exec, s[0:1]
	s_cbranch_vccnz .LBB50_16
; %bb.3:
	v_pk_mov_b32 v[4:5], 0, 0
	v_cmp_gt_i32_e32 vcc, s6, v0
	v_or_b32_e32 v2, s2, v0
	v_pk_mov_b32 v[6:7], v[4:5], v[4:5] op_sel:[0,1]
	v_mov_b32_e32 v1, v0
	s_and_saveexec_b64 s[4:5], vcc
	s_cbranch_execz .LBB50_5
; %bb.4:
	v_mov_b32_e32 v3, 0
	v_lshlrev_b64 v[6:7], 3, v[2:3]
	v_mov_b32_e32 v1, s13
	v_add_co_u32_e64 v6, s[0:1], s12, v6
	v_addc_co_u32_e64 v7, s[0:1], v1, v7, s[0:1]
	global_load_dwordx2 v[6:7], v[6:7], off
	v_or_b32_e32 v1, 0x100, v0
.LBB50_5:
	s_or_b64 exec, exec, s[4:5]
	v_cmp_gt_i32_e64 s[0:1], s6, v1
	s_and_saveexec_b64 s[4:5], s[0:1]
	s_cbranch_execz .LBB50_7
; %bb.6:
	v_add_u32_e32 v4, s2, v1
	v_mov_b32_e32 v5, 0
	v_lshlrev_b64 v[4:5], 3, v[4:5]
	v_mov_b32_e32 v3, s13
	v_add_co_u32_e64 v4, s[0:1], s12, v4
	v_addc_co_u32_e64 v5, s[0:1], v3, v5, s[0:1]
	global_load_dwordx2 v[4:5], v[4:5], off
	v_add_u32_e32 v1, 0x100, v1
.LBB50_7:
	s_or_b64 exec, exec, s[4:5]
	v_pk_mov_b32 v[10:11], 0, 0
	v_cmp_gt_i32_e64 s[0:1], s6, v1
	v_pk_mov_b32 v[12:13], v[10:11], v[10:11] op_sel:[0,1]
	s_and_saveexec_b64 s[4:5], s[0:1]
	s_cbranch_execz .LBB50_9
; %bb.8:
	v_add_u32_e32 v8, s2, v1
	v_mov_b32_e32 v9, 0
	v_lshlrev_b64 v[8:9], 3, v[8:9]
	v_mov_b32_e32 v3, s13
	v_add_co_u32_e64 v8, s[0:1], s12, v8
	v_addc_co_u32_e64 v9, s[0:1], v3, v9, s[0:1]
	global_load_dwordx2 v[12:13], v[8:9], off
	v_add_u32_e32 v1, 0x100, v1
.LBB50_9:
	s_or_b64 exec, exec, s[4:5]
	v_cmp_gt_i32_e64 s[0:1], s6, v1
	s_and_saveexec_b64 s[4:5], s[0:1]
	s_cbranch_execz .LBB50_11
; %bb.10:
	v_add_u32_e32 v8, s2, v1
	v_mov_b32_e32 v9, 0
	v_lshlrev_b64 v[8:9], 3, v[8:9]
	v_mov_b32_e32 v1, s13
	v_add_co_u32_e64 v8, s[0:1], s12, v8
	v_addc_co_u32_e64 v9, s[0:1], v1, v9, s[0:1]
	global_load_dwordx2 v[10:11], v[8:9], off
.LBB50_11:
	s_or_b64 exec, exec, s[4:5]
	s_brev_b32 s3, -2
	v_mov_b32_e32 v3, s9
	s_waitcnt vmcnt(0)
	v_or_b32_e32 v4, 0x100, v0
	v_bfi_b32 v1, s3, v3, v7
	v_bfi_b32 v5, s3, v3, v5
	v_cmp_gt_i32_e64 s[0:1], s6, v4
	v_cndmask_b32_e64 v9, v1, v5, s[0:1]
	v_or_b32_e32 v5, 0x200, v0
	v_bfi_b32 v6, s3, v3, v13
	v_cmp_gt_i32_e64 s[0:1], s6, v5
	v_or_b32_e32 v5, 0x300, v0
	v_cndmask_b32_e64 v7, v1, v6, s[0:1]
	v_bfi_b32 v3, s3, v3, v11
	v_cmp_gt_i32_e64 s[0:1], s6, v5
	v_cndmask_b32_e64 v5, v1, v3, s[0:1]
	s_and_saveexec_b64 s[0:1], vcc
	s_cbranch_execnz .LBB50_17
; %bb.12:
	s_or_b64 exec, exec, s[0:1]
	v_cmp_gt_i32_e32 vcc, s6, v0
	s_and_saveexec_b64 s[0:1], vcc
	s_cbranch_execnz .LBB50_18
.LBB50_13:
	s_or_b64 exec, exec, s[0:1]
	v_cmp_gt_i32_e32 vcc, s6, v0
	s_and_saveexec_b64 s[0:1], vcc
	s_cbranch_execnz .LBB50_19
.LBB50_14:
	s_or_b64 exec, exec, s[0:1]
	v_cmp_gt_i32_e32 vcc, s6, v0
	s_and_saveexec_b64 s[0:1], vcc
	s_cbranch_execz .LBB50_16
.LBB50_15:
	v_add_u32_e32 v0, s2, v0
	v_mov_b32_e32 v1, 0
	v_lshlrev_b64 v[0:1], 3, v[0:1]
	v_mov_b32_e32 v2, s11
	v_add_co_u32_e32 v0, vcc, s10, v0
	v_mov_b32_e32 v4, s8
	v_addc_co_u32_e32 v1, vcc, v2, v1, vcc
	global_store_dwordx2 v[0:1], v[4:5], off
.LBB50_16:
	s_endpgm
.LBB50_17:
	v_mov_b32_e32 v3, 0
	v_lshlrev_b64 v[2:3], 3, v[2:3]
	v_mov_b32_e32 v6, s11
	v_add_co_u32_e32 v2, vcc, s10, v2
	v_mov_b32_e32 v0, s8
	v_addc_co_u32_e32 v3, vcc, v6, v3, vcc
	global_store_dwordx2 v[2:3], v[0:1], off
	v_mov_b32_e32 v0, v4
	s_or_b64 exec, exec, s[0:1]
	v_cmp_gt_i32_e32 vcc, s6, v0
	s_and_saveexec_b64 s[0:1], vcc
	s_cbranch_execz .LBB50_13
.LBB50_18:
	v_add_u32_e32 v2, s2, v0
	v_mov_b32_e32 v3, 0
	v_lshlrev_b64 v[2:3], 3, v[2:3]
	v_mov_b32_e32 v1, s11
	v_add_co_u32_e32 v2, vcc, s10, v2
	v_mov_b32_e32 v8, s8
	v_addc_co_u32_e32 v3, vcc, v1, v3, vcc
	v_add_u32_e32 v0, 0x100, v0
	global_store_dwordx2 v[2:3], v[8:9], off
	s_or_b64 exec, exec, s[0:1]
	v_cmp_gt_i32_e32 vcc, s6, v0
	s_and_saveexec_b64 s[0:1], vcc
	s_cbranch_execz .LBB50_14
.LBB50_19:
	v_add_u32_e32 v2, s2, v0
	v_mov_b32_e32 v3, 0
	v_lshlrev_b64 v[2:3], 3, v[2:3]
	v_mov_b32_e32 v1, s11
	v_add_co_u32_e32 v2, vcc, s10, v2
	v_mov_b32_e32 v6, s8
	v_addc_co_u32_e32 v3, vcc, v1, v3, vcc
	v_add_u32_e32 v0, 0x100, v0
	global_store_dwordx2 v[2:3], v[6:7], off
	s_or_b64 exec, exec, s[0:1]
	v_cmp_gt_i32_e32 vcc, s6, v0
	s_and_saveexec_b64 s[0:1], vcc
	s_cbranch_execnz .LBB50_15
	s_branch .LBB50_16
	.section	.rodata,"a",@progbits
	.p2align	6, 0x0
	.amdhsa_kernel _ZN2at6native29vectorized_elementwise_kernelILi4ENS0_13AUnaryFunctorIdddZZZNS0_20copysign_kernel_cudaERNS_18TensorIteratorBaseEENKUlvE_clEvENKUlvE_clEvEUlddE_EESt5arrayIPcLm2EEEEviT0_T1_
		.amdhsa_group_segment_fixed_size 0
		.amdhsa_private_segment_fixed_size 0
		.amdhsa_kernarg_size 40
		.amdhsa_user_sgpr_count 6
		.amdhsa_user_sgpr_private_segment_buffer 1
		.amdhsa_user_sgpr_dispatch_ptr 0
		.amdhsa_user_sgpr_queue_ptr 0
		.amdhsa_user_sgpr_kernarg_segment_ptr 1
		.amdhsa_user_sgpr_dispatch_id 0
		.amdhsa_user_sgpr_flat_scratch_init 0
		.amdhsa_user_sgpr_kernarg_preload_length 0
		.amdhsa_user_sgpr_kernarg_preload_offset 0
		.amdhsa_user_sgpr_private_segment_size 0
		.amdhsa_uses_dynamic_stack 0
		.amdhsa_system_sgpr_private_segment_wavefront_offset 0
		.amdhsa_system_sgpr_workgroup_id_x 1
		.amdhsa_system_sgpr_workgroup_id_y 0
		.amdhsa_system_sgpr_workgroup_id_z 0
		.amdhsa_system_sgpr_workgroup_info 0
		.amdhsa_system_vgpr_workitem_id 0
		.amdhsa_next_free_vgpr 14
		.amdhsa_next_free_sgpr 14
		.amdhsa_accum_offset 16
		.amdhsa_reserve_vcc 1
		.amdhsa_reserve_flat_scratch 0
		.amdhsa_float_round_mode_32 0
		.amdhsa_float_round_mode_16_64 0
		.amdhsa_float_denorm_mode_32 3
		.amdhsa_float_denorm_mode_16_64 3
		.amdhsa_dx10_clamp 1
		.amdhsa_ieee_mode 1
		.amdhsa_fp16_overflow 0
		.amdhsa_tg_split 0
		.amdhsa_exception_fp_ieee_invalid_op 0
		.amdhsa_exception_fp_denorm_src 0
		.amdhsa_exception_fp_ieee_div_zero 0
		.amdhsa_exception_fp_ieee_overflow 0
		.amdhsa_exception_fp_ieee_underflow 0
		.amdhsa_exception_fp_ieee_inexact 0
		.amdhsa_exception_int_div_zero 0
	.end_amdhsa_kernel
	.section	.text._ZN2at6native29vectorized_elementwise_kernelILi4ENS0_13AUnaryFunctorIdddZZZNS0_20copysign_kernel_cudaERNS_18TensorIteratorBaseEENKUlvE_clEvENKUlvE_clEvEUlddE_EESt5arrayIPcLm2EEEEviT0_T1_,"axG",@progbits,_ZN2at6native29vectorized_elementwise_kernelILi4ENS0_13AUnaryFunctorIdddZZZNS0_20copysign_kernel_cudaERNS_18TensorIteratorBaseEENKUlvE_clEvENKUlvE_clEvEUlddE_EESt5arrayIPcLm2EEEEviT0_T1_,comdat
.Lfunc_end50:
	.size	_ZN2at6native29vectorized_elementwise_kernelILi4ENS0_13AUnaryFunctorIdddZZZNS0_20copysign_kernel_cudaERNS_18TensorIteratorBaseEENKUlvE_clEvENKUlvE_clEvEUlddE_EESt5arrayIPcLm2EEEEviT0_T1_, .Lfunc_end50-_ZN2at6native29vectorized_elementwise_kernelILi4ENS0_13AUnaryFunctorIdddZZZNS0_20copysign_kernel_cudaERNS_18TensorIteratorBaseEENKUlvE_clEvENKUlvE_clEvEUlddE_EESt5arrayIPcLm2EEEEviT0_T1_
                                        ; -- End function
	.section	.AMDGPU.csdata,"",@progbits
; Kernel info:
; codeLenInByte = 900
; NumSgprs: 18
; NumVgprs: 14
; NumAgprs: 0
; TotalNumVgprs: 14
; ScratchSize: 0
; MemoryBound: 0
; FloatMode: 240
; IeeeMode: 1
; LDSByteSize: 0 bytes/workgroup (compile time only)
; SGPRBlocks: 2
; VGPRBlocks: 1
; NumSGPRsForWavesPerEU: 18
; NumVGPRsForWavesPerEU: 14
; AccumOffset: 16
; Occupancy: 8
; WaveLimiterHint : 0
; COMPUTE_PGM_RSRC2:SCRATCH_EN: 0
; COMPUTE_PGM_RSRC2:USER_SGPR: 6
; COMPUTE_PGM_RSRC2:TRAP_HANDLER: 0
; COMPUTE_PGM_RSRC2:TGID_X_EN: 1
; COMPUTE_PGM_RSRC2:TGID_Y_EN: 0
; COMPUTE_PGM_RSRC2:TGID_Z_EN: 0
; COMPUTE_PGM_RSRC2:TIDIG_COMP_CNT: 0
; COMPUTE_PGM_RSRC3_GFX90A:ACCUM_OFFSET: 3
; COMPUTE_PGM_RSRC3_GFX90A:TG_SPLIT: 0
	.section	.text._ZN2at6native29vectorized_elementwise_kernelILi2ENS0_13AUnaryFunctorIdddZZZNS0_20copysign_kernel_cudaERNS_18TensorIteratorBaseEENKUlvE_clEvENKUlvE_clEvEUlddE_EESt5arrayIPcLm2EEEEviT0_T1_,"axG",@progbits,_ZN2at6native29vectorized_elementwise_kernelILi2ENS0_13AUnaryFunctorIdddZZZNS0_20copysign_kernel_cudaERNS_18TensorIteratorBaseEENKUlvE_clEvENKUlvE_clEvEUlddE_EESt5arrayIPcLm2EEEEviT0_T1_,comdat
	.globl	_ZN2at6native29vectorized_elementwise_kernelILi2ENS0_13AUnaryFunctorIdddZZZNS0_20copysign_kernel_cudaERNS_18TensorIteratorBaseEENKUlvE_clEvENKUlvE_clEvEUlddE_EESt5arrayIPcLm2EEEEviT0_T1_ ; -- Begin function _ZN2at6native29vectorized_elementwise_kernelILi2ENS0_13AUnaryFunctorIdddZZZNS0_20copysign_kernel_cudaERNS_18TensorIteratorBaseEENKUlvE_clEvENKUlvE_clEvEUlddE_EESt5arrayIPcLm2EEEEviT0_T1_
	.p2align	8
	.type	_ZN2at6native29vectorized_elementwise_kernelILi2ENS0_13AUnaryFunctorIdddZZZNS0_20copysign_kernel_cudaERNS_18TensorIteratorBaseEENKUlvE_clEvENKUlvE_clEvEUlddE_EESt5arrayIPcLm2EEEEviT0_T1_,@function
_ZN2at6native29vectorized_elementwise_kernelILi2ENS0_13AUnaryFunctorIdddZZZNS0_20copysign_kernel_cudaERNS_18TensorIteratorBaseEENKUlvE_clEvENKUlvE_clEvEUlddE_EESt5arrayIPcLm2EEEEviT0_T1_: ; @_ZN2at6native29vectorized_elementwise_kernelILi2ENS0_13AUnaryFunctorIdddZZZNS0_20copysign_kernel_cudaERNS_18TensorIteratorBaseEENKUlvE_clEvENKUlvE_clEvEUlddE_EESt5arrayIPcLm2EEEEviT0_T1_
; %bb.0:
	s_load_dword s0, s[4:5], 0x0
	s_load_dwordx4 s[8:11], s[4:5], 0x10
	s_load_dwordx2 s[12:13], s[4:5], 0x20
	s_lshl_b32 s2, s6, 10
	s_waitcnt lgkmcnt(0)
	s_sub_i32 s6, s0, s2
	s_cmpk_gt_i32 s6, 0x3ff
	s_mov_b64 s[0:1], -1
	s_cbranch_scc0 .LBB51_2
; %bb.1:
	s_ashr_i32 s3, s2, 31
	s_lshl_b64 s[0:1], s[2:3], 3
	s_add_u32 s4, s12, s0
	s_addc_u32 s5, s13, s1
	v_lshlrev_b32_e32 v1, 4, v0
	v_mov_b32_e32 v2, s5
	v_add_co_u32_e32 v6, vcc, s4, v1
	v_addc_co_u32_e32 v7, vcc, 0, v2, vcc
	v_add_co_u32_e32 v6, vcc, 0x1000, v6
	global_load_dwordx4 v[2:5], v1, s[4:5]
	v_addc_co_u32_e32 v7, vcc, 0, v7, vcc
	global_load_dwordx4 v[6:9], v[6:7], off
	s_add_u32 s0, s10, s0
	s_addc_u32 s1, s11, s1
	s_waitcnt vmcnt(0)
	v_mov_b32_e32 v8, s1
	v_add_co_u32_e32 v10, vcc, s0, v1
	s_brev_b32 s3, -2
	v_mov_b32_e32 v6, s9
	v_addc_co_u32_e32 v8, vcc, 0, v8, vcc
	v_mov_b32_e32 v2, s8
	v_mov_b32_e32 v4, s8
	v_add_co_u32_e32 v10, vcc, 0x1000, v10
	v_addc_co_u32_e32 v11, vcc, 0, v8, vcc
	v_bfi_b32 v3, s3, v6, v3
	v_bfi_b32 v5, s3, v6, v5
	global_store_dwordx4 v1, v[2:5], s[0:1]
	s_mov_b64 s[0:1], 0
	v_bfi_b32 v3, s3, v6, v7
	v_bfi_b32 v5, s3, v6, v9
	global_store_dwordx4 v[10:11], v[2:5], off
.LBB51_2:
	s_andn2_b64 vcc, exec, s[0:1]
	s_cbranch_vccnz .LBB51_16
; %bb.3:
	v_pk_mov_b32 v[4:5], 0, 0
	v_cmp_gt_i32_e32 vcc, s6, v0
	v_or_b32_e32 v2, s2, v0
	v_pk_mov_b32 v[6:7], v[4:5], v[4:5] op_sel:[0,1]
	v_mov_b32_e32 v1, v0
	s_and_saveexec_b64 s[4:5], vcc
	s_cbranch_execz .LBB51_5
; %bb.4:
	v_mov_b32_e32 v3, 0
	v_lshlrev_b64 v[6:7], 3, v[2:3]
	v_mov_b32_e32 v1, s13
	v_add_co_u32_e64 v6, s[0:1], s12, v6
	v_addc_co_u32_e64 v7, s[0:1], v1, v7, s[0:1]
	global_load_dwordx2 v[6:7], v[6:7], off
	v_or_b32_e32 v1, 0x100, v0
.LBB51_5:
	s_or_b64 exec, exec, s[4:5]
	v_cmp_gt_i32_e64 s[0:1], s6, v1
	s_and_saveexec_b64 s[4:5], s[0:1]
	s_cbranch_execz .LBB51_7
; %bb.6:
	v_add_u32_e32 v4, s2, v1
	v_mov_b32_e32 v5, 0
	v_lshlrev_b64 v[4:5], 3, v[4:5]
	v_mov_b32_e32 v3, s13
	v_add_co_u32_e64 v4, s[0:1], s12, v4
	v_addc_co_u32_e64 v5, s[0:1], v3, v5, s[0:1]
	global_load_dwordx2 v[4:5], v[4:5], off
	v_add_u32_e32 v1, 0x100, v1
.LBB51_7:
	s_or_b64 exec, exec, s[4:5]
	v_pk_mov_b32 v[10:11], 0, 0
	v_cmp_gt_i32_e64 s[0:1], s6, v1
	v_pk_mov_b32 v[12:13], v[10:11], v[10:11] op_sel:[0,1]
	s_and_saveexec_b64 s[4:5], s[0:1]
	s_cbranch_execz .LBB51_9
; %bb.8:
	v_add_u32_e32 v8, s2, v1
	v_mov_b32_e32 v9, 0
	v_lshlrev_b64 v[8:9], 3, v[8:9]
	v_mov_b32_e32 v3, s13
	v_add_co_u32_e64 v8, s[0:1], s12, v8
	v_addc_co_u32_e64 v9, s[0:1], v3, v9, s[0:1]
	global_load_dwordx2 v[12:13], v[8:9], off
	v_add_u32_e32 v1, 0x100, v1
.LBB51_9:
	s_or_b64 exec, exec, s[4:5]
	v_cmp_gt_i32_e64 s[0:1], s6, v1
	s_and_saveexec_b64 s[4:5], s[0:1]
	s_cbranch_execz .LBB51_11
; %bb.10:
	v_add_u32_e32 v8, s2, v1
	v_mov_b32_e32 v9, 0
	v_lshlrev_b64 v[8:9], 3, v[8:9]
	v_mov_b32_e32 v1, s13
	v_add_co_u32_e64 v8, s[0:1], s12, v8
	v_addc_co_u32_e64 v9, s[0:1], v1, v9, s[0:1]
	global_load_dwordx2 v[10:11], v[8:9], off
.LBB51_11:
	s_or_b64 exec, exec, s[4:5]
	s_brev_b32 s3, -2
	v_mov_b32_e32 v3, s9
	s_waitcnt vmcnt(0)
	v_or_b32_e32 v4, 0x100, v0
	v_bfi_b32 v1, s3, v3, v7
	v_bfi_b32 v5, s3, v3, v5
	v_cmp_gt_i32_e64 s[0:1], s6, v4
	v_cndmask_b32_e64 v9, v1, v5, s[0:1]
	v_or_b32_e32 v5, 0x200, v0
	v_bfi_b32 v6, s3, v3, v13
	v_cmp_gt_i32_e64 s[0:1], s6, v5
	v_or_b32_e32 v5, 0x300, v0
	v_cndmask_b32_e64 v7, v1, v6, s[0:1]
	v_bfi_b32 v3, s3, v3, v11
	v_cmp_gt_i32_e64 s[0:1], s6, v5
	v_cndmask_b32_e64 v5, v1, v3, s[0:1]
	s_and_saveexec_b64 s[0:1], vcc
	s_cbranch_execnz .LBB51_17
; %bb.12:
	s_or_b64 exec, exec, s[0:1]
	v_cmp_gt_i32_e32 vcc, s6, v0
	s_and_saveexec_b64 s[0:1], vcc
	s_cbranch_execnz .LBB51_18
.LBB51_13:
	s_or_b64 exec, exec, s[0:1]
	v_cmp_gt_i32_e32 vcc, s6, v0
	s_and_saveexec_b64 s[0:1], vcc
	s_cbranch_execnz .LBB51_19
.LBB51_14:
	s_or_b64 exec, exec, s[0:1]
	v_cmp_gt_i32_e32 vcc, s6, v0
	s_and_saveexec_b64 s[0:1], vcc
	s_cbranch_execz .LBB51_16
.LBB51_15:
	v_add_u32_e32 v0, s2, v0
	v_mov_b32_e32 v1, 0
	v_lshlrev_b64 v[0:1], 3, v[0:1]
	v_mov_b32_e32 v2, s11
	v_add_co_u32_e32 v0, vcc, s10, v0
	v_mov_b32_e32 v4, s8
	v_addc_co_u32_e32 v1, vcc, v2, v1, vcc
	global_store_dwordx2 v[0:1], v[4:5], off
.LBB51_16:
	s_endpgm
.LBB51_17:
	v_mov_b32_e32 v3, 0
	v_lshlrev_b64 v[2:3], 3, v[2:3]
	v_mov_b32_e32 v6, s11
	v_add_co_u32_e32 v2, vcc, s10, v2
	v_mov_b32_e32 v0, s8
	v_addc_co_u32_e32 v3, vcc, v6, v3, vcc
	global_store_dwordx2 v[2:3], v[0:1], off
	v_mov_b32_e32 v0, v4
	s_or_b64 exec, exec, s[0:1]
	v_cmp_gt_i32_e32 vcc, s6, v0
	s_and_saveexec_b64 s[0:1], vcc
	s_cbranch_execz .LBB51_13
.LBB51_18:
	v_add_u32_e32 v2, s2, v0
	v_mov_b32_e32 v3, 0
	v_lshlrev_b64 v[2:3], 3, v[2:3]
	v_mov_b32_e32 v1, s11
	v_add_co_u32_e32 v2, vcc, s10, v2
	v_mov_b32_e32 v8, s8
	v_addc_co_u32_e32 v3, vcc, v1, v3, vcc
	v_add_u32_e32 v0, 0x100, v0
	global_store_dwordx2 v[2:3], v[8:9], off
	s_or_b64 exec, exec, s[0:1]
	v_cmp_gt_i32_e32 vcc, s6, v0
	s_and_saveexec_b64 s[0:1], vcc
	s_cbranch_execz .LBB51_14
.LBB51_19:
	v_add_u32_e32 v2, s2, v0
	v_mov_b32_e32 v3, 0
	v_lshlrev_b64 v[2:3], 3, v[2:3]
	v_mov_b32_e32 v1, s11
	v_add_co_u32_e32 v2, vcc, s10, v2
	v_mov_b32_e32 v6, s8
	v_addc_co_u32_e32 v3, vcc, v1, v3, vcc
	v_add_u32_e32 v0, 0x100, v0
	global_store_dwordx2 v[2:3], v[6:7], off
	s_or_b64 exec, exec, s[0:1]
	v_cmp_gt_i32_e32 vcc, s6, v0
	s_and_saveexec_b64 s[0:1], vcc
	s_cbranch_execnz .LBB51_15
	s_branch .LBB51_16
	.section	.rodata,"a",@progbits
	.p2align	6, 0x0
	.amdhsa_kernel _ZN2at6native29vectorized_elementwise_kernelILi2ENS0_13AUnaryFunctorIdddZZZNS0_20copysign_kernel_cudaERNS_18TensorIteratorBaseEENKUlvE_clEvENKUlvE_clEvEUlddE_EESt5arrayIPcLm2EEEEviT0_T1_
		.amdhsa_group_segment_fixed_size 0
		.amdhsa_private_segment_fixed_size 0
		.amdhsa_kernarg_size 40
		.amdhsa_user_sgpr_count 6
		.amdhsa_user_sgpr_private_segment_buffer 1
		.amdhsa_user_sgpr_dispatch_ptr 0
		.amdhsa_user_sgpr_queue_ptr 0
		.amdhsa_user_sgpr_kernarg_segment_ptr 1
		.amdhsa_user_sgpr_dispatch_id 0
		.amdhsa_user_sgpr_flat_scratch_init 0
		.amdhsa_user_sgpr_kernarg_preload_length 0
		.amdhsa_user_sgpr_kernarg_preload_offset 0
		.amdhsa_user_sgpr_private_segment_size 0
		.amdhsa_uses_dynamic_stack 0
		.amdhsa_system_sgpr_private_segment_wavefront_offset 0
		.amdhsa_system_sgpr_workgroup_id_x 1
		.amdhsa_system_sgpr_workgroup_id_y 0
		.amdhsa_system_sgpr_workgroup_id_z 0
		.amdhsa_system_sgpr_workgroup_info 0
		.amdhsa_system_vgpr_workitem_id 0
		.amdhsa_next_free_vgpr 14
		.amdhsa_next_free_sgpr 14
		.amdhsa_accum_offset 16
		.amdhsa_reserve_vcc 1
		.amdhsa_reserve_flat_scratch 0
		.amdhsa_float_round_mode_32 0
		.amdhsa_float_round_mode_16_64 0
		.amdhsa_float_denorm_mode_32 3
		.amdhsa_float_denorm_mode_16_64 3
		.amdhsa_dx10_clamp 1
		.amdhsa_ieee_mode 1
		.amdhsa_fp16_overflow 0
		.amdhsa_tg_split 0
		.amdhsa_exception_fp_ieee_invalid_op 0
		.amdhsa_exception_fp_denorm_src 0
		.amdhsa_exception_fp_ieee_div_zero 0
		.amdhsa_exception_fp_ieee_overflow 0
		.amdhsa_exception_fp_ieee_underflow 0
		.amdhsa_exception_fp_ieee_inexact 0
		.amdhsa_exception_int_div_zero 0
	.end_amdhsa_kernel
	.section	.text._ZN2at6native29vectorized_elementwise_kernelILi2ENS0_13AUnaryFunctorIdddZZZNS0_20copysign_kernel_cudaERNS_18TensorIteratorBaseEENKUlvE_clEvENKUlvE_clEvEUlddE_EESt5arrayIPcLm2EEEEviT0_T1_,"axG",@progbits,_ZN2at6native29vectorized_elementwise_kernelILi2ENS0_13AUnaryFunctorIdddZZZNS0_20copysign_kernel_cudaERNS_18TensorIteratorBaseEENKUlvE_clEvENKUlvE_clEvEUlddE_EESt5arrayIPcLm2EEEEviT0_T1_,comdat
.Lfunc_end51:
	.size	_ZN2at6native29vectorized_elementwise_kernelILi2ENS0_13AUnaryFunctorIdddZZZNS0_20copysign_kernel_cudaERNS_18TensorIteratorBaseEENKUlvE_clEvENKUlvE_clEvEUlddE_EESt5arrayIPcLm2EEEEviT0_T1_, .Lfunc_end51-_ZN2at6native29vectorized_elementwise_kernelILi2ENS0_13AUnaryFunctorIdddZZZNS0_20copysign_kernel_cudaERNS_18TensorIteratorBaseEENKUlvE_clEvENKUlvE_clEvEUlddE_EESt5arrayIPcLm2EEEEviT0_T1_
                                        ; -- End function
	.section	.AMDGPU.csdata,"",@progbits
; Kernel info:
; codeLenInByte = 936
; NumSgprs: 18
; NumVgprs: 14
; NumAgprs: 0
; TotalNumVgprs: 14
; ScratchSize: 0
; MemoryBound: 0
; FloatMode: 240
; IeeeMode: 1
; LDSByteSize: 0 bytes/workgroup (compile time only)
; SGPRBlocks: 2
; VGPRBlocks: 1
; NumSGPRsForWavesPerEU: 18
; NumVGPRsForWavesPerEU: 14
; AccumOffset: 16
; Occupancy: 8
; WaveLimiterHint : 1
; COMPUTE_PGM_RSRC2:SCRATCH_EN: 0
; COMPUTE_PGM_RSRC2:USER_SGPR: 6
; COMPUTE_PGM_RSRC2:TRAP_HANDLER: 0
; COMPUTE_PGM_RSRC2:TGID_X_EN: 1
; COMPUTE_PGM_RSRC2:TGID_Y_EN: 0
; COMPUTE_PGM_RSRC2:TGID_Z_EN: 0
; COMPUTE_PGM_RSRC2:TIDIG_COMP_CNT: 0
; COMPUTE_PGM_RSRC3_GFX90A:ACCUM_OFFSET: 3
; COMPUTE_PGM_RSRC3_GFX90A:TG_SPLIT: 0
	.section	.text._ZN2at6native27unrolled_elementwise_kernelINS0_13AUnaryFunctorIdddZZZNS0_20copysign_kernel_cudaERNS_18TensorIteratorBaseEENKUlvE_clEvENKUlvE_clEvEUlddE_EESt5arrayIPcLm2EELi4E23TrivialOffsetCalculatorILi1EjESD_NS0_6memory15LoadWithoutCastENSE_16StoreWithoutCastEEEviT_T0_T2_T3_T4_T5_,"axG",@progbits,_ZN2at6native27unrolled_elementwise_kernelINS0_13AUnaryFunctorIdddZZZNS0_20copysign_kernel_cudaERNS_18TensorIteratorBaseEENKUlvE_clEvENKUlvE_clEvEUlddE_EESt5arrayIPcLm2EELi4E23TrivialOffsetCalculatorILi1EjESD_NS0_6memory15LoadWithoutCastENSE_16StoreWithoutCastEEEviT_T0_T2_T3_T4_T5_,comdat
	.globl	_ZN2at6native27unrolled_elementwise_kernelINS0_13AUnaryFunctorIdddZZZNS0_20copysign_kernel_cudaERNS_18TensorIteratorBaseEENKUlvE_clEvENKUlvE_clEvEUlddE_EESt5arrayIPcLm2EELi4E23TrivialOffsetCalculatorILi1EjESD_NS0_6memory15LoadWithoutCastENSE_16StoreWithoutCastEEEviT_T0_T2_T3_T4_T5_ ; -- Begin function _ZN2at6native27unrolled_elementwise_kernelINS0_13AUnaryFunctorIdddZZZNS0_20copysign_kernel_cudaERNS_18TensorIteratorBaseEENKUlvE_clEvENKUlvE_clEvEUlddE_EESt5arrayIPcLm2EELi4E23TrivialOffsetCalculatorILi1EjESD_NS0_6memory15LoadWithoutCastENSE_16StoreWithoutCastEEEviT_T0_T2_T3_T4_T5_
	.p2align	8
	.type	_ZN2at6native27unrolled_elementwise_kernelINS0_13AUnaryFunctorIdddZZZNS0_20copysign_kernel_cudaERNS_18TensorIteratorBaseEENKUlvE_clEvENKUlvE_clEvEUlddE_EESt5arrayIPcLm2EELi4E23TrivialOffsetCalculatorILi1EjESD_NS0_6memory15LoadWithoutCastENSE_16StoreWithoutCastEEEviT_T0_T2_T3_T4_T5_,@function
_ZN2at6native27unrolled_elementwise_kernelINS0_13AUnaryFunctorIdddZZZNS0_20copysign_kernel_cudaERNS_18TensorIteratorBaseEENKUlvE_clEvENKUlvE_clEvEUlddE_EESt5arrayIPcLm2EELi4E23TrivialOffsetCalculatorILi1EjESD_NS0_6memory15LoadWithoutCastENSE_16StoreWithoutCastEEEviT_T0_T2_T3_T4_T5_: ; @_ZN2at6native27unrolled_elementwise_kernelINS0_13AUnaryFunctorIdddZZZNS0_20copysign_kernel_cudaERNS_18TensorIteratorBaseEENKUlvE_clEvENKUlvE_clEvEUlddE_EESt5arrayIPcLm2EELi4E23TrivialOffsetCalculatorILi1EjESD_NS0_6memory15LoadWithoutCastENSE_16StoreWithoutCastEEEviT_T0_T2_T3_T4_T5_
; %bb.0:
	s_load_dword s0, s[4:5], 0x0
	s_load_dwordx2 s[2:3], s[4:5], 0x20
	s_lshl_b32 s10, s6, 10
	v_pk_mov_b32 v[4:5], 0, 0
	v_or_b32_e32 v2, s10, v0
	s_waitcnt lgkmcnt(0)
	s_sub_i32 s11, s0, s10
	v_cmp_gt_i32_e32 vcc, s11, v0
	v_pk_mov_b32 v[6:7], v[4:5], v[4:5] op_sel:[0,1]
	v_mov_b32_e32 v1, v0
	s_and_saveexec_b64 s[6:7], vcc
	s_cbranch_execz .LBB52_2
; %bb.1:
	v_mov_b32_e32 v3, 0
	v_lshlrev_b64 v[6:7], 3, v[2:3]
	v_mov_b32_e32 v1, s3
	v_add_co_u32_e64 v6, s[0:1], s2, v6
	v_addc_co_u32_e64 v7, s[0:1], v1, v7, s[0:1]
	global_load_dwordx2 v[6:7], v[6:7], off
	v_or_b32_e32 v1, 0x100, v0
.LBB52_2:
	s_or_b64 exec, exec, s[6:7]
	s_load_dwordx4 s[4:7], s[4:5], 0x10
	v_cmp_gt_i32_e64 s[0:1], s11, v1
	s_and_saveexec_b64 s[8:9], s[0:1]
	s_cbranch_execz .LBB52_4
; %bb.3:
	v_add_u32_e32 v4, s10, v1
	v_mov_b32_e32 v5, 0
	v_lshlrev_b64 v[4:5], 3, v[4:5]
	v_mov_b32_e32 v3, s3
	v_add_co_u32_e64 v4, s[0:1], s2, v4
	v_addc_co_u32_e64 v5, s[0:1], v3, v5, s[0:1]
	global_load_dwordx2 v[4:5], v[4:5], off
	v_add_u32_e32 v1, 0x100, v1
.LBB52_4:
	s_or_b64 exec, exec, s[8:9]
	v_pk_mov_b32 v[8:9], 0, 0
	v_cmp_gt_i32_e64 s[0:1], s11, v1
	v_pk_mov_b32 v[10:11], v[8:9], v[8:9] op_sel:[0,1]
	s_and_saveexec_b64 s[8:9], s[0:1]
	s_cbranch_execz .LBB52_6
; %bb.5:
	v_add_u32_e32 v10, s10, v1
	v_mov_b32_e32 v11, 0
	v_lshlrev_b64 v[10:11], 3, v[10:11]
	v_mov_b32_e32 v3, s3
	v_add_co_u32_e64 v10, s[0:1], s2, v10
	v_addc_co_u32_e64 v11, s[0:1], v3, v11, s[0:1]
	global_load_dwordx2 v[10:11], v[10:11], off
	v_add_u32_e32 v1, 0x100, v1
.LBB52_6:
	s_or_b64 exec, exec, s[8:9]
	v_cmp_gt_i32_e64 s[0:1], s11, v1
	s_and_saveexec_b64 s[8:9], s[0:1]
	s_cbranch_execz .LBB52_8
; %bb.7:
	v_add_u32_e32 v8, s10, v1
	v_mov_b32_e32 v9, 0
	v_lshlrev_b64 v[8:9], 3, v[8:9]
	v_mov_b32_e32 v1, s3
	v_add_co_u32_e64 v8, s[0:1], s2, v8
	v_addc_co_u32_e64 v9, s[0:1], v1, v9, s[0:1]
	global_load_dwordx2 v[8:9], v[8:9], off
.LBB52_8:
	s_or_b64 exec, exec, s[8:9]
	s_brev_b32 s2, -2
	s_waitcnt lgkmcnt(0)
	v_mov_b32_e32 v1, s5
	s_waitcnt vmcnt(0)
	v_or_b32_e32 v4, 0x100, v0
	v_bfi_b32 v13, s2, v1, v7
	v_bfi_b32 v3, s2, v1, v5
	v_cmp_gt_i32_e64 s[0:1], s11, v4
	v_cndmask_b32_e64 v7, v13, v3, s[0:1]
	v_or_b32_e32 v3, 0x200, v0
	v_bfi_b32 v5, s2, v1, v11
	v_cmp_gt_i32_e64 s[0:1], s11, v3
	v_or_b32_e32 v3, 0x300, v0
	v_cndmask_b32_e64 v5, v13, v5, s[0:1]
	v_bfi_b32 v1, s2, v1, v9
	v_cmp_gt_i32_e64 s[0:1], s11, v3
	v_cndmask_b32_e64 v1, v13, v1, s[0:1]
	s_and_saveexec_b64 s[0:1], vcc
	s_cbranch_execnz .LBB52_13
; %bb.9:
	s_or_b64 exec, exec, s[0:1]
	v_cmp_gt_i32_e32 vcc, s11, v0
	s_and_saveexec_b64 s[0:1], vcc
	s_cbranch_execnz .LBB52_14
.LBB52_10:
	s_or_b64 exec, exec, s[0:1]
	v_cmp_gt_i32_e32 vcc, s11, v0
	s_and_saveexec_b64 s[0:1], vcc
	s_cbranch_execnz .LBB52_15
.LBB52_11:
	s_or_b64 exec, exec, s[0:1]
	v_cmp_gt_i32_e32 vcc, s11, v0
	s_and_saveexec_b64 s[0:1], vcc
	s_cbranch_execnz .LBB52_16
.LBB52_12:
	s_endpgm
.LBB52_13:
	v_mov_b32_e32 v3, 0
	v_lshlrev_b64 v[2:3], 3, v[2:3]
	v_mov_b32_e32 v0, s7
	v_add_co_u32_e32 v2, vcc, s6, v2
	v_addc_co_u32_e32 v3, vcc, v0, v3, vcc
	v_mov_b32_e32 v12, s4
	v_mov_b32_e32 v0, v4
	global_store_dwordx2 v[2:3], v[12:13], off
	s_or_b64 exec, exec, s[0:1]
	v_cmp_gt_i32_e32 vcc, s11, v0
	s_and_saveexec_b64 s[0:1], vcc
	s_cbranch_execz .LBB52_10
.LBB52_14:
	v_add_u32_e32 v2, s10, v0
	v_mov_b32_e32 v3, 0
	v_lshlrev_b64 v[2:3], 3, v[2:3]
	v_add_u32_e32 v4, 0x100, v0
	v_mov_b32_e32 v0, s7
	v_add_co_u32_e32 v2, vcc, s6, v2
	v_addc_co_u32_e32 v3, vcc, v0, v3, vcc
	v_mov_b32_e32 v6, s4
	v_mov_b32_e32 v0, v4
	global_store_dwordx2 v[2:3], v[6:7], off
	s_or_b64 exec, exec, s[0:1]
	v_cmp_gt_i32_e32 vcc, s11, v0
	s_and_saveexec_b64 s[0:1], vcc
	s_cbranch_execz .LBB52_11
.LBB52_15:
	v_add_u32_e32 v2, s10, v0
	v_mov_b32_e32 v3, 0
	v_lshlrev_b64 v[2:3], 3, v[2:3]
	v_add_u32_e32 v6, 0x100, v0
	v_mov_b32_e32 v0, s7
	v_add_co_u32_e32 v2, vcc, s6, v2
	v_addc_co_u32_e32 v3, vcc, v0, v3, vcc
	v_mov_b32_e32 v4, s4
	v_mov_b32_e32 v0, v6
	global_store_dwordx2 v[2:3], v[4:5], off
	s_or_b64 exec, exec, s[0:1]
	v_cmp_gt_i32_e32 vcc, s11, v0
	s_and_saveexec_b64 s[0:1], vcc
	s_cbranch_execz .LBB52_12
.LBB52_16:
	v_add_u32_e32 v2, s10, v0
	v_mov_b32_e32 v3, 0
	v_lshlrev_b64 v[2:3], 3, v[2:3]
	v_mov_b32_e32 v0, s7
	v_add_co_u32_e32 v2, vcc, s6, v2
	v_addc_co_u32_e32 v3, vcc, v0, v3, vcc
	v_mov_b32_e32 v0, s4
	global_store_dwordx2 v[2:3], v[0:1], off
	s_endpgm
	.section	.rodata,"a",@progbits
	.p2align	6, 0x0
	.amdhsa_kernel _ZN2at6native27unrolled_elementwise_kernelINS0_13AUnaryFunctorIdddZZZNS0_20copysign_kernel_cudaERNS_18TensorIteratorBaseEENKUlvE_clEvENKUlvE_clEvEUlddE_EESt5arrayIPcLm2EELi4E23TrivialOffsetCalculatorILi1EjESD_NS0_6memory15LoadWithoutCastENSE_16StoreWithoutCastEEEviT_T0_T2_T3_T4_T5_
		.amdhsa_group_segment_fixed_size 0
		.amdhsa_private_segment_fixed_size 0
		.amdhsa_kernarg_size 44
		.amdhsa_user_sgpr_count 6
		.amdhsa_user_sgpr_private_segment_buffer 1
		.amdhsa_user_sgpr_dispatch_ptr 0
		.amdhsa_user_sgpr_queue_ptr 0
		.amdhsa_user_sgpr_kernarg_segment_ptr 1
		.amdhsa_user_sgpr_dispatch_id 0
		.amdhsa_user_sgpr_flat_scratch_init 0
		.amdhsa_user_sgpr_kernarg_preload_length 0
		.amdhsa_user_sgpr_kernarg_preload_offset 0
		.amdhsa_user_sgpr_private_segment_size 0
		.amdhsa_uses_dynamic_stack 0
		.amdhsa_system_sgpr_private_segment_wavefront_offset 0
		.amdhsa_system_sgpr_workgroup_id_x 1
		.amdhsa_system_sgpr_workgroup_id_y 0
		.amdhsa_system_sgpr_workgroup_id_z 0
		.amdhsa_system_sgpr_workgroup_info 0
		.amdhsa_system_vgpr_workitem_id 0
		.amdhsa_next_free_vgpr 14
		.amdhsa_next_free_sgpr 12
		.amdhsa_accum_offset 16
		.amdhsa_reserve_vcc 1
		.amdhsa_reserve_flat_scratch 0
		.amdhsa_float_round_mode_32 0
		.amdhsa_float_round_mode_16_64 0
		.amdhsa_float_denorm_mode_32 3
		.amdhsa_float_denorm_mode_16_64 3
		.amdhsa_dx10_clamp 1
		.amdhsa_ieee_mode 1
		.amdhsa_fp16_overflow 0
		.amdhsa_tg_split 0
		.amdhsa_exception_fp_ieee_invalid_op 0
		.amdhsa_exception_fp_denorm_src 0
		.amdhsa_exception_fp_ieee_div_zero 0
		.amdhsa_exception_fp_ieee_overflow 0
		.amdhsa_exception_fp_ieee_underflow 0
		.amdhsa_exception_fp_ieee_inexact 0
		.amdhsa_exception_int_div_zero 0
	.end_amdhsa_kernel
	.section	.text._ZN2at6native27unrolled_elementwise_kernelINS0_13AUnaryFunctorIdddZZZNS0_20copysign_kernel_cudaERNS_18TensorIteratorBaseEENKUlvE_clEvENKUlvE_clEvEUlddE_EESt5arrayIPcLm2EELi4E23TrivialOffsetCalculatorILi1EjESD_NS0_6memory15LoadWithoutCastENSE_16StoreWithoutCastEEEviT_T0_T2_T3_T4_T5_,"axG",@progbits,_ZN2at6native27unrolled_elementwise_kernelINS0_13AUnaryFunctorIdddZZZNS0_20copysign_kernel_cudaERNS_18TensorIteratorBaseEENKUlvE_clEvENKUlvE_clEvEUlddE_EESt5arrayIPcLm2EELi4E23TrivialOffsetCalculatorILi1EjESD_NS0_6memory15LoadWithoutCastENSE_16StoreWithoutCastEEEviT_T0_T2_T3_T4_T5_,comdat
.Lfunc_end52:
	.size	_ZN2at6native27unrolled_elementwise_kernelINS0_13AUnaryFunctorIdddZZZNS0_20copysign_kernel_cudaERNS_18TensorIteratorBaseEENKUlvE_clEvENKUlvE_clEvEUlddE_EESt5arrayIPcLm2EELi4E23TrivialOffsetCalculatorILi1EjESD_NS0_6memory15LoadWithoutCastENSE_16StoreWithoutCastEEEviT_T0_T2_T3_T4_T5_, .Lfunc_end52-_ZN2at6native27unrolled_elementwise_kernelINS0_13AUnaryFunctorIdddZZZNS0_20copysign_kernel_cudaERNS_18TensorIteratorBaseEENKUlvE_clEvENKUlvE_clEvEUlddE_EESt5arrayIPcLm2EELi4E23TrivialOffsetCalculatorILi1EjESD_NS0_6memory15LoadWithoutCastENSE_16StoreWithoutCastEEEviT_T0_T2_T3_T4_T5_
                                        ; -- End function
	.section	.AMDGPU.csdata,"",@progbits
; Kernel info:
; codeLenInByte = 764
; NumSgprs: 16
; NumVgprs: 14
; NumAgprs: 0
; TotalNumVgprs: 14
; ScratchSize: 0
; MemoryBound: 0
; FloatMode: 240
; IeeeMode: 1
; LDSByteSize: 0 bytes/workgroup (compile time only)
; SGPRBlocks: 1
; VGPRBlocks: 1
; NumSGPRsForWavesPerEU: 16
; NumVGPRsForWavesPerEU: 14
; AccumOffset: 16
; Occupancy: 8
; WaveLimiterHint : 0
; COMPUTE_PGM_RSRC2:SCRATCH_EN: 0
; COMPUTE_PGM_RSRC2:USER_SGPR: 6
; COMPUTE_PGM_RSRC2:TRAP_HANDLER: 0
; COMPUTE_PGM_RSRC2:TGID_X_EN: 1
; COMPUTE_PGM_RSRC2:TGID_Y_EN: 0
; COMPUTE_PGM_RSRC2:TGID_Z_EN: 0
; COMPUTE_PGM_RSRC2:TIDIG_COMP_CNT: 0
; COMPUTE_PGM_RSRC3_GFX90A:ACCUM_OFFSET: 3
; COMPUTE_PGM_RSRC3_GFX90A:TG_SPLIT: 0
	.section	.text._ZN2at6native32elementwise_kernel_manual_unrollILi128ELi4EZNS0_22gpu_kernel_impl_nocastINS0_13AUnaryFunctorIdddZZZNS0_20copysign_kernel_cudaERNS_18TensorIteratorBaseEENKUlvE_clEvENKUlvE_clEvEUlddE_EEEEvS5_RKT_EUlibE_EEviT1_,"axG",@progbits,_ZN2at6native32elementwise_kernel_manual_unrollILi128ELi4EZNS0_22gpu_kernel_impl_nocastINS0_13AUnaryFunctorIdddZZZNS0_20copysign_kernel_cudaERNS_18TensorIteratorBaseEENKUlvE_clEvENKUlvE_clEvEUlddE_EEEEvS5_RKT_EUlibE_EEviT1_,comdat
	.globl	_ZN2at6native32elementwise_kernel_manual_unrollILi128ELi4EZNS0_22gpu_kernel_impl_nocastINS0_13AUnaryFunctorIdddZZZNS0_20copysign_kernel_cudaERNS_18TensorIteratorBaseEENKUlvE_clEvENKUlvE_clEvEUlddE_EEEEvS5_RKT_EUlibE_EEviT1_ ; -- Begin function _ZN2at6native32elementwise_kernel_manual_unrollILi128ELi4EZNS0_22gpu_kernel_impl_nocastINS0_13AUnaryFunctorIdddZZZNS0_20copysign_kernel_cudaERNS_18TensorIteratorBaseEENKUlvE_clEvENKUlvE_clEvEUlddE_EEEEvS5_RKT_EUlibE_EEviT1_
	.p2align	8
	.type	_ZN2at6native32elementwise_kernel_manual_unrollILi128ELi4EZNS0_22gpu_kernel_impl_nocastINS0_13AUnaryFunctorIdddZZZNS0_20copysign_kernel_cudaERNS_18TensorIteratorBaseEENKUlvE_clEvENKUlvE_clEvEUlddE_EEEEvS5_RKT_EUlibE_EEviT1_,@function
_ZN2at6native32elementwise_kernel_manual_unrollILi128ELi4EZNS0_22gpu_kernel_impl_nocastINS0_13AUnaryFunctorIdddZZZNS0_20copysign_kernel_cudaERNS_18TensorIteratorBaseEENKUlvE_clEvENKUlvE_clEvEUlddE_EEEEvS5_RKT_EUlibE_EEviT1_: ; @_ZN2at6native32elementwise_kernel_manual_unrollILi128ELi4EZNS0_22gpu_kernel_impl_nocastINS0_13AUnaryFunctorIdddZZZNS0_20copysign_kernel_cudaERNS_18TensorIteratorBaseEENKUlvE_clEvENKUlvE_clEvEUlddE_EEEEvS5_RKT_EUlibE_EEviT1_
; %bb.0:
	s_load_dword s59, s[4:5], 0x0
	s_load_dword s33, s[4:5], 0x8
	s_or_b32 s4, s4, 8
	v_lshl_or_b32 v8, s6, 9, v0
	v_or_b32_e32 v15, 0x180, v8
	s_waitcnt lgkmcnt(0)
	v_cmp_le_i32_e32 vcc, s59, v15
	s_add_i32 s58, s33, -1
	s_cmp_gt_u32 s58, 1
	s_cselect_b64 s[6:7], -1, 0
	s_and_saveexec_b64 s[0:1], vcc
	s_xor_b64 s[34:35], exec, s[0:1]
	s_cbranch_execz .LBB53_8
; %bb.1:
	s_load_dwordx4 s[28:31], s[4:5], 0x4
	s_load_dwordx2 s[42:43], s[4:5], 0x14
	s_load_dwordx4 s[24:27], s[4:5], 0xc4
	s_load_dwordx4 s[0:3], s[4:5], 0x148
	s_load_dwordx2 s[40:41], s[4:5], 0x160
	s_cmp_lg_u32 s33, 0
	s_cselect_b64 s[48:49], -1, 0
	s_add_u32 s46, s4, 0xc4
	s_addc_u32 s47, s5, 0
	s_min_u32 s60, s58, 15
	s_cmp_gt_u32 s33, 1
	s_cselect_b64 s[44:45], -1, 0
	v_cmp_gt_i32_e32 vcc, s59, v8
	s_and_saveexec_b64 s[50:51], vcc
	s_cbranch_execz .LBB53_16
; %bb.2:
	s_andn2_b64 vcc, exec, s[6:7]
	s_cbranch_vccnz .LBB53_24
; %bb.3:
	s_mov_b32 s52, 0
	s_andn2_b64 vcc, exec, s[48:49]
	v_mov_b32_e32 v2, 0
	v_mov_b32_e32 v0, 0
	s_cbranch_vccnz .LBB53_80
; %bb.4:
	s_add_i32 s61, s60, 1
	s_cmp_eq_u32 s58, 2
	s_cbranch_scc1 .LBB53_75
; %bb.5:
	s_and_b32 s52, s61, 28
	s_mov_b32 s53, 0
	v_mov_b32_e32 v0, 0
	s_mov_b64 s[54:55], s[4:5]
	s_mov_b64 s[56:57], s[46:47]
	v_mov_b32_e32 v3, v8
	v_mov_b32_e32 v2, 0
.LBB53_6:                               ; =>This Inner Loop Header: Depth=1
	s_load_dwordx8 s[16:23], s[54:55], 0x4
	s_load_dwordx4 s[36:39], s[54:55], 0x24
	s_load_dwordx8 s[8:15], s[56:57], 0x0
	s_add_u32 s54, s54, 48
	s_addc_u32 s55, s55, 0
	s_waitcnt lgkmcnt(0)
	v_mul_hi_u32 v1, s17, v3
	v_add_u32_e32 v1, v3, v1
	v_lshrrev_b32_e32 v1, s18, v1
	v_mul_lo_u32 v4, v1, s16
	v_mul_hi_u32 v5, s20, v1
	v_sub_u32_e32 v3, v3, v4
	v_add_u32_e32 v4, v1, v5
	v_lshrrev_b32_e32 v4, s21, v4
	v_mul_lo_u32 v6, v4, s19
	v_mul_hi_u32 v7, s23, v4
	v_sub_u32_e32 v1, v1, v6
	v_add_u32_e32 v6, v4, v7
	v_mul_lo_u32 v5, v3, s9
	v_mul_lo_u32 v3, v3, s8
	;; [unrolled: 1-line block ×4, first 2 shown]
	v_lshrrev_b32_e32 v6, s36, v6
	v_add3_u32 v0, v3, v0, v1
	v_mul_hi_u32 v3, s38, v6
	v_add_u32_e32 v3, v6, v3
	v_lshrrev_b32_e32 v3, s39, v3
	s_add_i32 s53, s53, 4
	v_add3_u32 v1, v5, v2, v7
	v_mul_lo_u32 v2, v6, s22
	v_mul_lo_u32 v5, v3, s37
	s_add_u32 s56, s56, 32
	v_sub_u32_e32 v2, v4, v2
	v_sub_u32_e32 v5, v6, v5
	s_addc_u32 s57, s57, 0
	v_mul_lo_u32 v4, v2, s12
	v_mul_lo_u32 v2, v2, s13
	;; [unrolled: 1-line block ×4, first 2 shown]
	s_cmp_lg_u32 s52, s53
	v_add3_u32 v2, v2, v1, v5
	v_add3_u32 v0, v4, v0, v6
	s_cbranch_scc1 .LBB53_6
; %bb.7:
	v_mov_b32_e32 v1, v2
	s_branch .LBB53_76
.LBB53_8:
	s_andn2_saveexec_b64 s[0:1], s[34:35]
	s_cbranch_execz .LBB53_103
.LBB53_9:
	v_cndmask_b32_e64 v0, 0, 1, s[6:7]
	v_cmp_ne_u32_e64 s[0:1], 1, v0
	s_andn2_b64 vcc, exec, s[6:7]
	s_cbranch_vccnz .LBB53_23
; %bb.10:
	s_mov_b32 s2, 0
	s_cmp_lg_u32 s33, 0
	v_mov_b32_e32 v2, 0
	v_mov_b32_e32 v0, 0
	s_cbranch_scc0 .LBB53_15
; %bb.11:
	s_min_u32 s30, s58, 15
	s_add_i32 s30, s30, 1
	s_cmp_eq_u32 s58, 2
	s_cbranch_scc1 .LBB53_26
; %bb.12:
	s_add_u32 s6, s4, 0xc4
	s_addc_u32 s7, s5, 0
	s_and_b32 s2, s30, 28
	s_mov_b32 s3, 0
	v_mov_b32_e32 v0, 0
	s_mov_b64 s[28:29], s[4:5]
	v_mov_b32_e32 v3, v8
	v_mov_b32_e32 v2, 0
.LBB53_13:                              ; =>This Inner Loop Header: Depth=1
	s_load_dwordx8 s[16:23], s[28:29], 0x4
	s_load_dwordx4 s[24:27], s[28:29], 0x24
	s_load_dwordx8 s[8:15], s[6:7], 0x0
	s_add_u32 s28, s28, 48
	s_addc_u32 s29, s29, 0
	s_waitcnt lgkmcnt(0)
	v_mul_hi_u32 v1, s17, v3
	v_add_u32_e32 v1, v3, v1
	v_lshrrev_b32_e32 v1, s18, v1
	v_mul_lo_u32 v4, v1, s16
	v_mul_hi_u32 v5, s20, v1
	v_sub_u32_e32 v3, v3, v4
	v_add_u32_e32 v4, v1, v5
	v_lshrrev_b32_e32 v4, s21, v4
	v_mul_lo_u32 v6, v4, s19
	v_mul_hi_u32 v7, s23, v4
	v_sub_u32_e32 v1, v1, v6
	v_add_u32_e32 v6, v4, v7
	v_mul_lo_u32 v5, v3, s9
	v_mul_lo_u32 v3, v3, s8
	;; [unrolled: 1-line block ×4, first 2 shown]
	v_lshrrev_b32_e32 v6, s24, v6
	v_add3_u32 v0, v3, v0, v1
	v_mul_hi_u32 v3, s26, v6
	v_add_u32_e32 v3, v6, v3
	v_lshrrev_b32_e32 v3, s27, v3
	s_add_i32 s3, s3, 4
	v_add3_u32 v1, v5, v2, v7
	v_mul_lo_u32 v2, v6, s22
	v_mul_lo_u32 v5, v3, s25
	s_add_u32 s6, s6, 32
	v_sub_u32_e32 v2, v4, v2
	v_sub_u32_e32 v5, v6, v5
	s_addc_u32 s7, s7, 0
	v_mul_lo_u32 v4, v2, s12
	v_mul_lo_u32 v2, v2, s13
	;; [unrolled: 1-line block ×4, first 2 shown]
	s_cmp_lg_u32 s2, s3
	v_add3_u32 v2, v2, v1, v5
	v_add3_u32 v0, v4, v0, v6
	s_cbranch_scc1 .LBB53_13
; %bb.14:
	v_mov_b32_e32 v1, v2
	s_and_b32 s8, s30, 3
	s_cmp_eq_u32 s8, 0
	s_cbranch_scc0 .LBB53_27
.LBB53_15:
	s_cbranch_execz .LBB53_30
	s_branch .LBB53_32
.LBB53_16:
	s_or_b64 exec, exec, s[50:51]
	v_cmp_gt_i32_e32 vcc, s59, v8
	s_and_saveexec_b64 s[50:51], vcc
	s_cbranch_execz .LBB53_84
.LBB53_17:
	s_andn2_b64 vcc, exec, s[6:7]
	s_cbranch_vccnz .LBB53_25
; %bb.18:
	s_mov_b32 s52, 0
	s_andn2_b64 vcc, exec, s[48:49]
	v_mov_b32_e32 v2, 0
	v_mov_b32_e32 v0, 0
	s_cbranch_vccnz .LBB53_97
; %bb.19:
	s_add_i32 s61, s60, 1
	s_cmp_eq_u32 s58, 2
	s_cbranch_scc1 .LBB53_92
; %bb.20:
	s_and_b32 s52, s61, 28
	s_mov_b32 s53, 0
	v_mov_b32_e32 v0, 0
	s_mov_b64 s[54:55], s[4:5]
	s_mov_b64 s[56:57], s[46:47]
	v_mov_b32_e32 v3, v8
	v_mov_b32_e32 v2, 0
.LBB53_21:                              ; =>This Inner Loop Header: Depth=1
	s_load_dwordx8 s[16:23], s[54:55], 0x4
	s_load_dwordx4 s[36:39], s[54:55], 0x24
	s_load_dwordx8 s[8:15], s[56:57], 0x0
	s_add_u32 s54, s54, 48
	s_addc_u32 s55, s55, 0
	s_waitcnt lgkmcnt(0)
	v_mul_hi_u32 v1, s17, v3
	v_add_u32_e32 v1, v3, v1
	v_lshrrev_b32_e32 v1, s18, v1
	v_mul_lo_u32 v4, v1, s16
	v_mul_hi_u32 v5, s20, v1
	v_sub_u32_e32 v3, v3, v4
	v_add_u32_e32 v4, v1, v5
	v_lshrrev_b32_e32 v4, s21, v4
	v_mul_lo_u32 v6, v4, s19
	v_mul_hi_u32 v7, s23, v4
	v_sub_u32_e32 v1, v1, v6
	v_add_u32_e32 v6, v4, v7
	v_mul_lo_u32 v5, v3, s9
	v_mul_lo_u32 v3, v3, s8
	;; [unrolled: 1-line block ×4, first 2 shown]
	v_lshrrev_b32_e32 v6, s36, v6
	v_add3_u32 v0, v3, v0, v1
	v_mul_hi_u32 v3, s38, v6
	v_add_u32_e32 v3, v6, v3
	v_lshrrev_b32_e32 v3, s39, v3
	s_add_i32 s53, s53, 4
	v_add3_u32 v1, v5, v2, v7
	v_mul_lo_u32 v2, v6, s22
	v_mul_lo_u32 v5, v3, s37
	s_add_u32 s56, s56, 32
	v_sub_u32_e32 v2, v4, v2
	v_sub_u32_e32 v5, v6, v5
	s_addc_u32 s57, s57, 0
	v_mul_lo_u32 v4, v2, s12
	v_mul_lo_u32 v2, v2, s13
	v_mul_lo_u32 v6, v5, s14
	v_mul_lo_u32 v5, v5, s15
	s_cmp_eq_u32 s52, s53
	v_add3_u32 v2, v2, v1, v5
	v_add3_u32 v0, v4, v0, v6
	s_cbranch_scc0 .LBB53_21
; %bb.22:
	v_mov_b32_e32 v1, v2
	s_branch .LBB53_93
.LBB53_23:
                                        ; implicit-def: $vgpr2
                                        ; implicit-def: $vgpr0
	s_branch .LBB53_30
.LBB53_24:
                                        ; implicit-def: $vgpr2
                                        ; implicit-def: $vgpr0
	s_branch .LBB53_81
.LBB53_25:
                                        ; implicit-def: $vgpr2
                                        ; implicit-def: $vgpr0
	s_branch .LBB53_98
.LBB53_26:
	s_mov_b32 s3, s2
	v_pk_mov_b32 v[0:1], s[2:3], s[2:3] op_sel:[0,1]
                                        ; implicit-def: $vgpr2
	v_mov_b32_e32 v3, v8
	s_and_b32 s8, s30, 3
	s_cmp_eq_u32 s8, 0
	s_cbranch_scc1 .LBB53_15
.LBB53_27:
	s_lshl_b32 s3, s2, 3
	s_add_u32 s3, s3, s4
	s_addc_u32 s7, 0, s5
	s_add_u32 s6, s3, 0xc4
	s_addc_u32 s7, s7, 0
	s_mul_i32 s2, s2, 12
	s_add_u32 s2, s4, s2
	s_addc_u32 s3, 0, s5
.LBB53_28:                              ; =>This Inner Loop Header: Depth=1
	s_load_dwordx2 s[10:11], s[2:3], 0x4
	s_load_dword s9, s[2:3], 0xc
	s_load_dwordx2 s[12:13], s[6:7], 0x0
	v_mov_b32_e32 v2, v1
	s_add_u32 s2, s2, 12
	s_waitcnt lgkmcnt(0)
	v_mul_hi_u32 v1, s11, v3
	v_add_u32_e32 v1, v3, v1
	v_lshrrev_b32_e32 v1, s9, v1
	s_addc_u32 s3, s3, 0
	v_mul_lo_u32 v4, v1, s10
	s_add_u32 s6, s6, 8
	v_sub_u32_e32 v6, v3, v4
	v_mov_b32_e32 v3, v1
	s_addc_u32 s7, s7, 0
	s_add_i32 s8, s8, -1
	v_mad_u64_u32 v[4:5], s[10:11], v6, s13, v[2:3]
	v_mad_u64_u32 v[0:1], s[10:11], v6, s12, v[0:1]
	s_cmp_lg_u32 s8, 0
	v_mov_b32_e32 v1, v4
	s_cbranch_scc1 .LBB53_28
; %bb.29:
	v_mov_b32_e32 v2, v1
	s_cbranch_execnz .LBB53_32
.LBB53_30:
	s_load_dwordx4 s[8:11], s[4:5], 0x4
	s_load_dwordx2 s[2:3], s[4:5], 0xc4
	s_cmp_lt_u32 s33, 2
	s_waitcnt lgkmcnt(0)
	v_mul_hi_u32 v0, s9, v8
	v_add_u32_e32 v0, v8, v0
	v_lshrrev_b32_e32 v1, s10, v0
	v_mul_lo_u32 v0, v1, s8
	v_sub_u32_e32 v0, v8, v0
	v_mul_lo_u32 v2, v0, s3
	v_mul_lo_u32 v0, v0, s2
	s_cbranch_scc1 .LBB53_32
; %bb.31:
	s_load_dwordx4 s[8:11], s[4:5], 0x10
	s_load_dwordx2 s[2:3], s[4:5], 0xcc
	s_waitcnt lgkmcnt(0)
	v_mul_hi_u32 v3, s9, v1
	v_add_u32_e32 v3, v1, v3
	v_lshrrev_b32_e32 v3, s10, v3
	v_mul_lo_u32 v3, v3, s8
	v_sub_u32_e32 v3, v1, v3
	v_mad_u64_u32 v[0:1], s[6:7], v3, s2, v[0:1]
	v_mad_u64_u32 v[2:3], s[2:3], v3, s3, v[2:3]
.LBB53_32:
	s_and_b64 vcc, exec, s[0:1]
	v_add_u32_e32 v1, 0x80, v8
	s_cbranch_vccnz .LBB53_39
; %bb.33:
	s_mov_b32 s2, 0
	s_cmp_lg_u32 s33, 0
	v_mov_b32_e32 v6, 0
	v_mov_b32_e32 v4, 0
	s_cbranch_scc0 .LBB53_38
; %bb.34:
	s_min_u32 s30, s58, 15
	s_add_i32 s30, s30, 1
	s_cmp_eq_u32 s58, 2
	s_cbranch_scc1 .LBB53_40
; %bb.35:
	s_add_u32 s6, s4, 0xc4
	s_addc_u32 s7, s5, 0
	s_and_b32 s2, s30, 28
	s_mov_b32 s3, 0
	v_mov_b32_e32 v4, 0
	s_mov_b64 s[28:29], s[4:5]
	v_mov_b32_e32 v3, v1
	v_mov_b32_e32 v6, 0
.LBB53_36:                              ; =>This Inner Loop Header: Depth=1
	s_load_dwordx8 s[16:23], s[28:29], 0x4
	s_load_dwordx4 s[24:27], s[28:29], 0x24
	s_load_dwordx8 s[8:15], s[6:7], 0x0
	s_add_u32 s28, s28, 48
	s_addc_u32 s29, s29, 0
	s_waitcnt lgkmcnt(0)
	v_mul_hi_u32 v5, s17, v3
	v_add_u32_e32 v5, v3, v5
	v_lshrrev_b32_e32 v5, s18, v5
	v_mul_lo_u32 v7, v5, s16
	v_mul_hi_u32 v9, s20, v5
	v_sub_u32_e32 v3, v3, v7
	v_add_u32_e32 v7, v5, v9
	v_lshrrev_b32_e32 v7, s21, v7
	v_mul_lo_u32 v10, v7, s19
	v_mul_hi_u32 v11, s23, v7
	v_sub_u32_e32 v5, v5, v10
	v_add_u32_e32 v10, v7, v11
	v_mul_lo_u32 v9, v3, s9
	v_mul_lo_u32 v3, v3, s8
	;; [unrolled: 1-line block ×4, first 2 shown]
	v_lshrrev_b32_e32 v10, s24, v10
	v_add3_u32 v4, v3, v4, v5
	v_add3_u32 v5, v9, v6, v11
	v_mul_lo_u32 v3, v10, s22
	v_mul_hi_u32 v6, s26, v10
	v_sub_u32_e32 v3, v7, v3
	v_add_u32_e32 v6, v10, v6
	v_mul_lo_u32 v7, v3, s12
	v_mul_lo_u32 v9, v3, s13
	v_lshrrev_b32_e32 v3, s27, v6
	s_add_i32 s3, s3, 4
	v_mul_lo_u32 v6, v3, s25
	s_add_u32 s6, s6, 32
	v_sub_u32_e32 v6, v10, v6
	s_addc_u32 s7, s7, 0
	v_mul_lo_u32 v10, v6, s14
	v_mul_lo_u32 v6, v6, s15
	s_cmp_lg_u32 s2, s3
	v_add3_u32 v6, v9, v5, v6
	v_add3_u32 v4, v7, v4, v10
	s_cbranch_scc1 .LBB53_36
; %bb.37:
	v_mov_b32_e32 v5, v6
	s_and_b32 s8, s30, 3
	s_cmp_eq_u32 s8, 0
	s_cbranch_scc0 .LBB53_41
.LBB53_38:
	s_cbranch_execz .LBB53_44
	s_branch .LBB53_46
.LBB53_39:
                                        ; implicit-def: $vgpr6
                                        ; implicit-def: $vgpr4
	s_branch .LBB53_44
.LBB53_40:
	s_mov_b32 s3, s2
	v_pk_mov_b32 v[4:5], s[2:3], s[2:3] op_sel:[0,1]
                                        ; implicit-def: $vgpr6
	v_mov_b32_e32 v3, v1
	s_and_b32 s8, s30, 3
	s_cmp_eq_u32 s8, 0
	s_cbranch_scc1 .LBB53_38
.LBB53_41:
	s_lshl_b32 s3, s2, 3
	s_add_u32 s3, s3, s4
	s_addc_u32 s7, 0, s5
	s_add_u32 s6, s3, 0xc4
	s_addc_u32 s7, s7, 0
	s_mul_i32 s2, s2, 12
	s_add_u32 s2, s4, s2
	s_addc_u32 s3, 0, s5
.LBB53_42:                              ; =>This Inner Loop Header: Depth=1
	s_load_dwordx2 s[10:11], s[2:3], 0x4
	s_load_dword s9, s[2:3], 0xc
	s_load_dwordx2 s[12:13], s[6:7], 0x0
	v_mov_b32_e32 v6, v5
	s_add_u32 s2, s2, 12
	s_waitcnt lgkmcnt(0)
	v_mul_hi_u32 v5, s11, v3
	v_add_u32_e32 v5, v3, v5
	v_lshrrev_b32_e32 v5, s9, v5
	s_addc_u32 s3, s3, 0
	v_mul_lo_u32 v7, v5, s10
	s_add_u32 s6, s6, 8
	v_sub_u32_e32 v9, v3, v7
	s_addc_u32 s7, s7, 0
	s_add_i32 s8, s8, -1
	v_mov_b32_e32 v3, v5
	v_mad_u64_u32 v[6:7], s[10:11], v9, s13, v[6:7]
	v_mad_u64_u32 v[4:5], s[10:11], v9, s12, v[4:5]
	s_cmp_lg_u32 s8, 0
	v_mov_b32_e32 v5, v6
	s_cbranch_scc1 .LBB53_42
; %bb.43:
	v_mov_b32_e32 v6, v5
	s_cbranch_execnz .LBB53_46
.LBB53_44:
	s_load_dwordx4 s[8:11], s[4:5], 0x4
	s_load_dwordx2 s[2:3], s[4:5], 0xc4
	s_cmp_lt_u32 s33, 2
	s_waitcnt lgkmcnt(0)
	v_mul_hi_u32 v3, s9, v1
	v_add_u32_e32 v3, v1, v3
	v_lshrrev_b32_e32 v3, s10, v3
	v_mul_lo_u32 v4, v3, s8
	v_sub_u32_e32 v1, v1, v4
	v_mul_lo_u32 v6, v1, s3
	v_mul_lo_u32 v4, v1, s2
	s_cbranch_scc1 .LBB53_46
; %bb.45:
	s_load_dwordx4 s[8:11], s[4:5], 0x10
	s_load_dwordx2 s[2:3], s[4:5], 0xcc
	s_waitcnt lgkmcnt(0)
	v_mul_hi_u32 v1, s9, v3
	v_add_u32_e32 v1, v3, v1
	v_lshrrev_b32_e32 v1, s10, v1
	v_mul_lo_u32 v1, v1, s8
	v_sub_u32_e32 v1, v3, v1
	v_mad_u64_u32 v[4:5], s[6:7], v1, s2, v[4:5]
	v_mad_u64_u32 v[6:7], s[2:3], v1, s3, v[6:7]
.LBB53_46:
	s_and_b64 vcc, exec, s[0:1]
	v_add_u32_e32 v1, 0x100, v8
	s_cbranch_vccnz .LBB53_53
; %bb.47:
	s_mov_b32 s2, 0
	s_cmp_lg_u32 s33, 0
	v_mov_b32_e32 v10, 0
	v_mov_b32_e32 v8, 0
	s_cbranch_scc0 .LBB53_52
; %bb.48:
	s_min_u32 s30, s58, 15
	s_add_i32 s30, s30, 1
	s_cmp_eq_u32 s58, 2
	s_cbranch_scc1 .LBB53_54
; %bb.49:
	s_add_u32 s6, s4, 0xc4
	s_addc_u32 s7, s5, 0
	s_and_b32 s2, s30, 28
	s_mov_b32 s3, 0
	v_mov_b32_e32 v8, 0
	s_mov_b64 s[28:29], s[4:5]
	v_mov_b32_e32 v3, v1
	v_mov_b32_e32 v10, 0
.LBB53_50:                              ; =>This Inner Loop Header: Depth=1
	s_load_dwordx8 s[16:23], s[28:29], 0x4
	s_load_dwordx4 s[24:27], s[28:29], 0x24
	s_load_dwordx8 s[8:15], s[6:7], 0x0
	s_add_u32 s28, s28, 48
	s_addc_u32 s29, s29, 0
	s_waitcnt lgkmcnt(0)
	v_mul_hi_u32 v5, s17, v3
	v_add_u32_e32 v5, v3, v5
	v_lshrrev_b32_e32 v5, s18, v5
	v_mul_lo_u32 v7, v5, s16
	v_mul_hi_u32 v9, s20, v5
	v_sub_u32_e32 v3, v3, v7
	v_add_u32_e32 v7, v5, v9
	v_lshrrev_b32_e32 v7, s21, v7
	v_mul_lo_u32 v11, v7, s19
	v_mul_hi_u32 v12, s23, v7
	v_sub_u32_e32 v5, v5, v11
	v_add_u32_e32 v11, v7, v12
	v_mul_lo_u32 v9, v3, s9
	v_mul_lo_u32 v3, v3, s8
	;; [unrolled: 1-line block ×4, first 2 shown]
	v_lshrrev_b32_e32 v11, s24, v11
	v_add3_u32 v5, v3, v8, v5
	v_add3_u32 v8, v9, v10, v12
	v_mul_lo_u32 v3, v11, s22
	v_mul_hi_u32 v9, s26, v11
	v_sub_u32_e32 v3, v7, v3
	v_add_u32_e32 v7, v11, v9
	v_mul_lo_u32 v9, v3, s12
	v_mul_lo_u32 v10, v3, s13
	v_lshrrev_b32_e32 v3, s27, v7
	s_add_i32 s3, s3, 4
	v_mul_lo_u32 v7, v3, s25
	s_add_u32 s6, s6, 32
	v_sub_u32_e32 v7, v11, v7
	s_addc_u32 s7, s7, 0
	v_mul_lo_u32 v11, v7, s14
	v_mul_lo_u32 v7, v7, s15
	s_cmp_lg_u32 s2, s3
	v_add3_u32 v10, v10, v8, v7
	v_add3_u32 v8, v9, v5, v11
	s_cbranch_scc1 .LBB53_50
; %bb.51:
	v_mov_b32_e32 v9, v10
	s_and_b32 s8, s30, 3
	s_cmp_eq_u32 s8, 0
	s_cbranch_scc0 .LBB53_55
.LBB53_52:
	s_cbranch_execz .LBB53_58
	s_branch .LBB53_60
.LBB53_53:
                                        ; implicit-def: $vgpr10
                                        ; implicit-def: $vgpr8
	s_branch .LBB53_58
.LBB53_54:
	s_mov_b32 s3, s2
	v_pk_mov_b32 v[8:9], s[2:3], s[2:3] op_sel:[0,1]
                                        ; implicit-def: $vgpr10
	v_mov_b32_e32 v3, v1
	s_and_b32 s8, s30, 3
	s_cmp_eq_u32 s8, 0
	s_cbranch_scc1 .LBB53_52
.LBB53_55:
	s_lshl_b32 s3, s2, 3
	s_add_u32 s3, s3, s4
	s_addc_u32 s7, 0, s5
	s_add_u32 s6, s3, 0xc4
	s_addc_u32 s7, s7, 0
	s_mul_i32 s2, s2, 12
	s_add_u32 s2, s4, s2
	s_addc_u32 s3, 0, s5
.LBB53_56:                              ; =>This Inner Loop Header: Depth=1
	s_load_dwordx2 s[10:11], s[2:3], 0x4
	s_load_dword s9, s[2:3], 0xc
	s_load_dwordx2 s[12:13], s[6:7], 0x0
	s_add_u32 s2, s2, 12
	s_addc_u32 s3, s3, 0
	s_waitcnt lgkmcnt(0)
	v_mul_hi_u32 v5, s11, v3
	v_add_u32_e32 v5, v3, v5
	v_lshrrev_b32_e32 v5, s9, v5
	v_mul_lo_u32 v7, v5, s10
	v_mov_b32_e32 v10, v9
	s_add_u32 s6, s6, 8
	v_sub_u32_e32 v7, v3, v7
	s_addc_u32 s7, s7, 0
	s_add_i32 s8, s8, -1
	v_mad_u64_u32 v[10:11], s[10:11], v7, s13, v[10:11]
	v_mad_u64_u32 v[8:9], s[10:11], v7, s12, v[8:9]
	s_cmp_lg_u32 s8, 0
	v_mov_b32_e32 v3, v5
	v_mov_b32_e32 v9, v10
	s_cbranch_scc1 .LBB53_56
; %bb.57:
	v_mov_b32_e32 v10, v9
	s_cbranch_execnz .LBB53_60
.LBB53_58:
	s_load_dwordx4 s[8:11], s[4:5], 0x4
	s_load_dwordx2 s[2:3], s[4:5], 0xc4
	s_cmp_lt_u32 s33, 2
	s_waitcnt lgkmcnt(0)
	v_mul_hi_u32 v3, s9, v1
	v_add_u32_e32 v3, v1, v3
	v_lshrrev_b32_e32 v3, s10, v3
	v_mul_lo_u32 v5, v3, s8
	v_sub_u32_e32 v1, v1, v5
	v_mul_lo_u32 v10, v1, s3
	v_mul_lo_u32 v8, v1, s2
	s_cbranch_scc1 .LBB53_60
; %bb.59:
	s_load_dwordx4 s[8:11], s[4:5], 0x10
	s_load_dwordx2 s[2:3], s[4:5], 0xcc
	s_waitcnt lgkmcnt(0)
	v_mul_hi_u32 v1, s9, v3
	v_add_u32_e32 v1, v3, v1
	v_lshrrev_b32_e32 v1, s10, v1
	v_mul_lo_u32 v1, v1, s8
	v_sub_u32_e32 v1, v3, v1
	v_mad_u64_u32 v[8:9], s[6:7], v1, s2, v[8:9]
	v_mad_u64_u32 v[10:11], s[2:3], v1, s3, v[10:11]
.LBB53_60:
	s_and_b64 vcc, exec, s[0:1]
	s_cbranch_vccnz .LBB53_67
; %bb.61:
	s_mov_b32 s6, 0
	s_cmp_lg_u32 s33, 0
	v_mov_b32_e32 v14, 0
	v_mov_b32_e32 v12, 0
	s_cbranch_scc0 .LBB53_66
; %bb.62:
	s_min_u32 s28, s58, 15
	s_add_i32 s28, s28, 1
	s_cmp_eq_u32 s58, 2
	s_cbranch_scc1 .LBB53_68
; %bb.63:
	s_add_u32 s24, s4, 0xc4
	s_addc_u32 s25, s5, 0
	s_and_b32 s6, s28, 28
	s_mov_b32 s7, 0
	v_mov_b32_e32 v12, 0
	s_mov_b64 s[26:27], s[4:5]
	v_mov_b32_e32 v1, v15
	v_mov_b32_e32 v14, 0
.LBB53_64:                              ; =>This Inner Loop Header: Depth=1
	s_load_dwordx8 s[16:23], s[26:27], 0x4
	s_load_dwordx4 s[0:3], s[26:27], 0x24
	s_load_dwordx8 s[8:15], s[24:25], 0x0
	s_add_u32 s26, s26, 48
	s_addc_u32 s27, s27, 0
	s_waitcnt lgkmcnt(0)
	v_mul_hi_u32 v3, s17, v1
	v_add_u32_e32 v3, v1, v3
	v_lshrrev_b32_e32 v3, s18, v3
	v_mul_lo_u32 v5, v3, s16
	v_mul_hi_u32 v7, s20, v3
	v_sub_u32_e32 v1, v1, v5
	v_add_u32_e32 v5, v3, v7
	v_lshrrev_b32_e32 v5, s21, v5
	v_mul_lo_u32 v9, v5, s19
	v_mul_hi_u32 v11, s23, v5
	v_sub_u32_e32 v3, v3, v9
	v_add_u32_e32 v9, v5, v11
	v_mul_lo_u32 v7, v1, s9
	v_mul_lo_u32 v1, v1, s8
	;; [unrolled: 1-line block ×4, first 2 shown]
	v_lshrrev_b32_e32 v9, s0, v9
	v_add3_u32 v3, v1, v12, v3
	v_add3_u32 v7, v7, v14, v11
	v_mul_lo_u32 v1, v9, s22
	v_mul_hi_u32 v11, s2, v9
	v_sub_u32_e32 v1, v5, v1
	v_add_u32_e32 v5, v9, v11
	v_mul_lo_u32 v11, v1, s12
	v_mul_lo_u32 v12, v1, s13
	v_lshrrev_b32_e32 v1, s3, v5
	s_add_i32 s7, s7, 4
	v_mul_lo_u32 v5, v1, s1
	s_add_u32 s24, s24, 32
	v_sub_u32_e32 v5, v9, v5
	s_addc_u32 s25, s25, 0
	v_mul_lo_u32 v9, v5, s14
	v_mul_lo_u32 v5, v5, s15
	s_cmp_lg_u32 s6, s7
	v_add3_u32 v14, v12, v7, v5
	v_add3_u32 v12, v11, v3, v9
	s_cbranch_scc1 .LBB53_64
; %bb.65:
	v_mov_b32_e32 v13, v14
	s_and_b32 s7, s28, 3
	s_cmp_eq_u32 s7, 0
	s_cbranch_scc0 .LBB53_69
.LBB53_66:
	s_cbranch_execz .LBB53_72
	s_branch .LBB53_74
.LBB53_67:
                                        ; implicit-def: $vgpr14
                                        ; implicit-def: $vgpr12
	s_branch .LBB53_72
.LBB53_68:
	s_mov_b32 s7, s6
	v_pk_mov_b32 v[12:13], s[6:7], s[6:7] op_sel:[0,1]
                                        ; implicit-def: $vgpr14
	v_mov_b32_e32 v1, v15
	s_and_b32 s7, s28, 3
	s_cmp_eq_u32 s7, 0
	s_cbranch_scc1 .LBB53_66
.LBB53_69:
	s_lshl_b32 s0, s6, 3
	s_add_u32 s0, s0, s4
	s_addc_u32 s1, 0, s5
	s_add_u32 s0, s0, 0xc4
	s_addc_u32 s1, s1, 0
	s_mul_i32 s2, s6, 12
	s_add_u32 s2, s4, s2
	s_addc_u32 s3, 0, s5
.LBB53_70:                              ; =>This Inner Loop Header: Depth=1
	s_load_dwordx2 s[8:9], s[2:3], 0x4
	s_load_dword s6, s[2:3], 0xc
	s_load_dwordx2 s[10:11], s[0:1], 0x0
	s_add_u32 s2, s2, 12
	s_addc_u32 s3, s3, 0
	s_waitcnt lgkmcnt(0)
	v_mul_hi_u32 v3, s9, v1
	v_add_u32_e32 v3, v1, v3
	v_lshrrev_b32_e32 v3, s6, v3
	v_mul_lo_u32 v5, v3, s8
	v_mov_b32_e32 v14, v13
	s_add_u32 s0, s0, 8
	v_sub_u32_e32 v5, v1, v5
	s_addc_u32 s1, s1, 0
	s_add_i32 s7, s7, -1
	v_mad_u64_u32 v[16:17], s[8:9], v5, s11, v[14:15]
	v_mad_u64_u32 v[12:13], s[8:9], v5, s10, v[12:13]
	s_cmp_lg_u32 s7, 0
	v_mov_b32_e32 v1, v3
	v_mov_b32_e32 v13, v16
	s_cbranch_scc1 .LBB53_70
; %bb.71:
	v_mov_b32_e32 v14, v13
	s_cbranch_execnz .LBB53_74
.LBB53_72:
	s_load_dwordx4 s[0:3], s[4:5], 0x4
	s_load_dwordx2 s[6:7], s[4:5], 0xc4
	s_cmp_lt_u32 s33, 2
	s_waitcnt lgkmcnt(0)
	v_mul_hi_u32 v1, s1, v15
	v_add_u32_e32 v1, v15, v1
	v_lshrrev_b32_e32 v1, s2, v1
	v_mul_lo_u32 v3, v1, s0
	v_sub_u32_e32 v3, v15, v3
	v_mul_lo_u32 v14, v3, s7
	v_mul_lo_u32 v12, v3, s6
	s_cbranch_scc1 .LBB53_74
; %bb.73:
	s_load_dwordx4 s[0:3], s[4:5], 0x10
	s_load_dwordx2 s[6:7], s[4:5], 0xcc
	s_waitcnt lgkmcnt(0)
	v_mul_hi_u32 v3, s1, v1
	v_add_u32_e32 v3, v1, v3
	v_lshrrev_b32_e32 v3, s2, v3
	v_mul_lo_u32 v3, v3, s0
	v_sub_u32_e32 v1, v1, v3
	v_mad_u64_u32 v[12:13], s[0:1], v1, s6, v[12:13]
	v_mad_u64_u32 v[14:15], s[0:1], v1, s7, v[14:15]
.LBB53_74:
	s_load_dwordx4 s[0:3], s[4:5], 0x148
	s_load_dwordx2 s[6:7], s[4:5], 0x160
	s_waitcnt lgkmcnt(0)
	global_load_dwordx2 v[16:17], v2, s[2:3]
	global_load_dwordx2 v[18:19], v6, s[2:3]
	;; [unrolled: 1-line block ×4, first 2 shown]
	s_brev_b32 s2, -2
	v_mov_b32_e32 v1, s7
	v_mov_b32_e32 v2, s6
	s_waitcnt vmcnt(3)
	v_bfi_b32 v3, s2, v1, v17
	s_waitcnt vmcnt(2)
	v_bfi_b32 v5, s2, v1, v19
	;; [unrolled: 2-line block ×3, first 2 shown]
	global_store_dwordx2 v0, v[2:3], s[0:1]
	v_mov_b32_e32 v3, v5
	s_waitcnt vmcnt(1)
	v_bfi_b32 v1, s2, v1, v23
	global_store_dwordx2 v4, v[2:3], s[0:1]
	v_mov_b32_e32 v3, v6
	global_store_dwordx2 v8, v[2:3], s[0:1]
	v_mov_b32_e32 v3, v1
	global_store_dwordx2 v12, v[2:3], s[0:1]
	s_endpgm
.LBB53_75:
	s_mov_b32 s53, s52
	v_pk_mov_b32 v[0:1], s[52:53], s[52:53] op_sel:[0,1]
                                        ; implicit-def: $vgpr2
	v_mov_b32_e32 v3, v8
.LBB53_76:
	s_and_b32 s12, s61, 3
	s_cmp_eq_u32 s12, 0
	s_cbranch_scc1 .LBB53_80
; %bb.77:
	s_lshl_b32 s8, s52, 3
	s_add_u32 s8, s8, s4
	s_addc_u32 s9, s5, 0
	s_add_u32 s8, s8, 0xc4
	s_addc_u32 s9, s9, 0
	s_mul_i32 s10, s52, 12
	s_add_u32 s10, s4, s10
	s_addc_u32 s11, s5, 0
.LBB53_78:                              ; =>This Inner Loop Header: Depth=1
	s_load_dwordx2 s[14:15], s[10:11], 0x4
	s_load_dword s13, s[10:11], 0xc
	s_load_dwordx2 s[16:17], s[8:9], 0x0
	v_mov_b32_e32 v2, v1
	s_add_u32 s10, s10, 12
	s_waitcnt lgkmcnt(0)
	v_mul_hi_u32 v1, s15, v3
	v_add_u32_e32 v1, v3, v1
	v_lshrrev_b32_e32 v1, s13, v1
	s_addc_u32 s11, s11, 0
	v_mul_lo_u32 v4, v1, s14
	s_add_u32 s8, s8, 8
	v_sub_u32_e32 v6, v3, v4
	v_mov_b32_e32 v3, v1
	s_addc_u32 s9, s9, 0
	s_add_i32 s12, s12, -1
	v_mad_u64_u32 v[4:5], s[14:15], v6, s17, v[2:3]
	v_mad_u64_u32 v[0:1], s[14:15], v6, s16, v[0:1]
	s_cmp_lg_u32 s12, 0
	v_mov_b32_e32 v1, v4
	s_cbranch_scc1 .LBB53_78
; %bb.79:
	v_mov_b32_e32 v2, v1
.LBB53_80:
	s_cbranch_execnz .LBB53_83
.LBB53_81:
	s_waitcnt lgkmcnt(0)
	v_mul_hi_u32 v0, s29, v8
	v_add_u32_e32 v0, v8, v0
	v_lshrrev_b32_e32 v1, s30, v0
	v_mul_lo_u32 v0, v1, s28
	v_sub_u32_e32 v0, v8, v0
	v_mul_lo_u32 v2, v0, s25
	s_andn2_b64 vcc, exec, s[44:45]
	v_mul_lo_u32 v0, v0, s24
	s_cbranch_vccnz .LBB53_83
; %bb.82:
	v_mul_hi_u32 v3, s42, v1
	v_add_u32_e32 v3, v1, v3
	v_lshrrev_b32_e32 v3, s43, v3
	v_mul_lo_u32 v3, v3, s31
	v_sub_u32_e32 v3, v1, v3
	v_mad_u64_u32 v[0:1], s[8:9], v3, s26, v[0:1]
	v_mad_u64_u32 v[2:3], s[8:9], v3, s27, v[2:3]
.LBB53_83:
	s_waitcnt lgkmcnt(0)
	global_load_dwordx2 v[2:3], v2, s[2:3]
	s_brev_b32 s8, -2
	v_mov_b32_e32 v1, s41
	s_waitcnt vmcnt(0)
	v_mov_b32_e32 v2, s40
	v_add_u32_e32 v8, 0x80, v8
	v_bfi_b32 v3, s8, v1, v3
	global_store_dwordx2 v0, v[2:3], s[0:1]
	s_or_b64 exec, exec, s[50:51]
	v_cmp_gt_i32_e32 vcc, s59, v8
	s_and_saveexec_b64 s[50:51], vcc
	s_cbranch_execnz .LBB53_17
.LBB53_84:
	s_or_b64 exec, exec, s[50:51]
	v_cmp_gt_i32_e32 vcc, s59, v8
	s_and_saveexec_b64 s[50:51], vcc
	s_cbranch_execz .LBB53_101
.LBB53_85:
	s_andn2_b64 vcc, exec, s[6:7]
	s_cbranch_vccnz .LBB53_91
; %bb.86:
	s_mov_b32 s52, 0
	s_andn2_b64 vcc, exec, s[48:49]
	v_mov_b32_e32 v2, 0
	v_mov_b32_e32 v0, 0
	s_cbranch_vccnz .LBB53_109
; %bb.87:
	s_add_i32 s61, s60, 1
	s_cmp_eq_u32 s58, 2
	s_cbranch_scc1 .LBB53_104
; %bb.88:
	s_and_b32 s52, s61, 28
	s_mov_b32 s53, 0
	v_mov_b32_e32 v0, 0
	s_mov_b64 s[54:55], s[4:5]
	s_mov_b64 s[56:57], s[46:47]
	v_mov_b32_e32 v3, v8
	v_mov_b32_e32 v2, 0
.LBB53_89:                              ; =>This Inner Loop Header: Depth=1
	s_load_dwordx8 s[16:23], s[54:55], 0x4
	s_load_dwordx4 s[36:39], s[54:55], 0x24
	s_load_dwordx8 s[8:15], s[56:57], 0x0
	s_add_u32 s54, s54, 48
	s_addc_u32 s55, s55, 0
	s_waitcnt lgkmcnt(0)
	v_mul_hi_u32 v1, s17, v3
	v_add_u32_e32 v1, v3, v1
	v_lshrrev_b32_e32 v1, s18, v1
	v_mul_lo_u32 v4, v1, s16
	v_mul_hi_u32 v5, s20, v1
	v_sub_u32_e32 v3, v3, v4
	v_add_u32_e32 v4, v1, v5
	v_lshrrev_b32_e32 v4, s21, v4
	v_mul_lo_u32 v6, v4, s19
	v_mul_hi_u32 v7, s23, v4
	v_sub_u32_e32 v1, v1, v6
	v_add_u32_e32 v6, v4, v7
	v_mul_lo_u32 v5, v3, s9
	v_mul_lo_u32 v3, v3, s8
	;; [unrolled: 1-line block ×4, first 2 shown]
	v_lshrrev_b32_e32 v6, s36, v6
	v_add3_u32 v0, v3, v0, v1
	v_mul_hi_u32 v3, s38, v6
	v_add_u32_e32 v3, v6, v3
	v_lshrrev_b32_e32 v3, s39, v3
	s_add_i32 s53, s53, 4
	v_add3_u32 v1, v5, v2, v7
	v_mul_lo_u32 v2, v6, s22
	v_mul_lo_u32 v5, v3, s37
	s_add_u32 s56, s56, 32
	v_sub_u32_e32 v2, v4, v2
	v_sub_u32_e32 v5, v6, v5
	s_addc_u32 s57, s57, 0
	v_mul_lo_u32 v4, v2, s12
	v_mul_lo_u32 v2, v2, s13
	;; [unrolled: 1-line block ×4, first 2 shown]
	s_cmp_eq_u32 s52, s53
	v_add3_u32 v2, v2, v1, v5
	v_add3_u32 v0, v4, v0, v6
	s_cbranch_scc0 .LBB53_89
; %bb.90:
	v_mov_b32_e32 v1, v2
	s_branch .LBB53_105
.LBB53_91:
                                        ; implicit-def: $vgpr2
                                        ; implicit-def: $vgpr0
	s_branch .LBB53_110
.LBB53_92:
	s_mov_b32 s53, s52
	v_pk_mov_b32 v[0:1], s[52:53], s[52:53] op_sel:[0,1]
                                        ; implicit-def: $vgpr2
	v_mov_b32_e32 v3, v8
.LBB53_93:
	s_and_b32 s12, s61, 3
	s_cmp_eq_u32 s12, 0
	s_cbranch_scc1 .LBB53_97
; %bb.94:
	s_lshl_b32 s8, s52, 3
	s_add_u32 s8, s8, s4
	s_addc_u32 s9, s5, 0
	s_add_u32 s8, s8, 0xc4
	s_addc_u32 s9, s9, 0
	s_mul_i32 s10, s52, 12
	s_add_u32 s10, s4, s10
	s_addc_u32 s11, s5, 0
.LBB53_95:                              ; =>This Inner Loop Header: Depth=1
	s_load_dwordx2 s[14:15], s[10:11], 0x4
	s_load_dword s13, s[10:11], 0xc
	s_load_dwordx2 s[16:17], s[8:9], 0x0
	v_mov_b32_e32 v2, v1
	s_add_u32 s10, s10, 12
	s_waitcnt lgkmcnt(0)
	v_mul_hi_u32 v1, s15, v3
	v_add_u32_e32 v1, v3, v1
	v_lshrrev_b32_e32 v1, s13, v1
	s_addc_u32 s11, s11, 0
	v_mul_lo_u32 v4, v1, s14
	s_add_u32 s8, s8, 8
	v_sub_u32_e32 v6, v3, v4
	v_mov_b32_e32 v3, v1
	s_addc_u32 s9, s9, 0
	s_add_i32 s12, s12, -1
	v_mad_u64_u32 v[4:5], s[14:15], v6, s17, v[2:3]
	v_mad_u64_u32 v[0:1], s[14:15], v6, s16, v[0:1]
	s_cmp_lg_u32 s12, 0
	v_mov_b32_e32 v1, v4
	s_cbranch_scc1 .LBB53_95
; %bb.96:
	v_mov_b32_e32 v2, v1
.LBB53_97:
	s_cbranch_execnz .LBB53_100
.LBB53_98:
	s_waitcnt lgkmcnt(0)
	v_mul_hi_u32 v0, s29, v8
	v_add_u32_e32 v0, v8, v0
	v_lshrrev_b32_e32 v1, s30, v0
	v_mul_lo_u32 v0, v1, s28
	v_sub_u32_e32 v0, v8, v0
	v_mul_lo_u32 v2, v0, s25
	s_andn2_b64 vcc, exec, s[44:45]
	v_mul_lo_u32 v0, v0, s24
	s_cbranch_vccnz .LBB53_100
; %bb.99:
	v_mul_hi_u32 v3, s42, v1
	v_add_u32_e32 v3, v1, v3
	v_lshrrev_b32_e32 v3, s43, v3
	v_mul_lo_u32 v3, v3, s31
	v_sub_u32_e32 v3, v1, v3
	v_mad_u64_u32 v[0:1], s[8:9], v3, s26, v[0:1]
	v_mad_u64_u32 v[2:3], s[8:9], v3, s27, v[2:3]
.LBB53_100:
	s_waitcnt lgkmcnt(0)
	global_load_dwordx2 v[2:3], v2, s[2:3]
	s_brev_b32 s8, -2
	v_mov_b32_e32 v1, s41
	s_waitcnt vmcnt(0)
	v_mov_b32_e32 v2, s40
	v_add_u32_e32 v8, 0x80, v8
	v_bfi_b32 v3, s8, v1, v3
	global_store_dwordx2 v0, v[2:3], s[0:1]
	s_or_b64 exec, exec, s[50:51]
	v_cmp_gt_i32_e32 vcc, s59, v8
	s_and_saveexec_b64 s[50:51], vcc
	s_cbranch_execnz .LBB53_85
.LBB53_101:
	s_or_b64 exec, exec, s[50:51]
	v_cmp_gt_i32_e32 vcc, s59, v8
	s_and_saveexec_b64 s[50:51], vcc
	s_cbranch_execnz .LBB53_113
.LBB53_102:
	s_or_b64 exec, exec, s[50:51]
                                        ; implicit-def: $vgpr15
                                        ; implicit-def: $vgpr8
	s_waitcnt lgkmcnt(0)
	s_andn2_saveexec_b64 s[0:1], s[34:35]
	s_cbranch_execnz .LBB53_9
.LBB53_103:
	s_endpgm
.LBB53_104:
	s_mov_b32 s53, s52
	v_pk_mov_b32 v[0:1], s[52:53], s[52:53] op_sel:[0,1]
                                        ; implicit-def: $vgpr2
	v_mov_b32_e32 v3, v8
.LBB53_105:
	s_and_b32 s12, s61, 3
	s_cmp_eq_u32 s12, 0
	s_cbranch_scc1 .LBB53_109
; %bb.106:
	s_lshl_b32 s8, s52, 3
	s_add_u32 s8, s8, s4
	s_addc_u32 s9, s5, 0
	s_add_u32 s8, s8, 0xc4
	s_addc_u32 s9, s9, 0
	s_mul_i32 s10, s52, 12
	s_add_u32 s10, s4, s10
	s_addc_u32 s11, s5, 0
.LBB53_107:                             ; =>This Inner Loop Header: Depth=1
	s_load_dwordx2 s[14:15], s[10:11], 0x4
	s_load_dword s13, s[10:11], 0xc
	s_load_dwordx2 s[16:17], s[8:9], 0x0
	v_mov_b32_e32 v2, v1
	s_add_u32 s10, s10, 12
	s_waitcnt lgkmcnt(0)
	v_mul_hi_u32 v1, s15, v3
	v_add_u32_e32 v1, v3, v1
	v_lshrrev_b32_e32 v1, s13, v1
	s_addc_u32 s11, s11, 0
	v_mul_lo_u32 v4, v1, s14
	s_add_u32 s8, s8, 8
	v_sub_u32_e32 v6, v3, v4
	v_mov_b32_e32 v3, v1
	s_addc_u32 s9, s9, 0
	s_add_i32 s12, s12, -1
	v_mad_u64_u32 v[4:5], s[14:15], v6, s17, v[2:3]
	v_mad_u64_u32 v[0:1], s[14:15], v6, s16, v[0:1]
	s_cmp_lg_u32 s12, 0
	v_mov_b32_e32 v1, v4
	s_cbranch_scc1 .LBB53_107
; %bb.108:
	v_mov_b32_e32 v2, v1
.LBB53_109:
	s_cbranch_execnz .LBB53_112
.LBB53_110:
	s_waitcnt lgkmcnt(0)
	v_mul_hi_u32 v0, s29, v8
	v_add_u32_e32 v0, v8, v0
	v_lshrrev_b32_e32 v1, s30, v0
	v_mul_lo_u32 v0, v1, s28
	v_sub_u32_e32 v0, v8, v0
	v_mul_lo_u32 v2, v0, s25
	s_andn2_b64 vcc, exec, s[44:45]
	v_mul_lo_u32 v0, v0, s24
	s_cbranch_vccnz .LBB53_112
; %bb.111:
	v_mul_hi_u32 v3, s42, v1
	v_add_u32_e32 v3, v1, v3
	v_lshrrev_b32_e32 v3, s43, v3
	v_mul_lo_u32 v3, v3, s31
	v_sub_u32_e32 v3, v1, v3
	v_mad_u64_u32 v[0:1], s[8:9], v3, s26, v[0:1]
	v_mad_u64_u32 v[2:3], s[8:9], v3, s27, v[2:3]
.LBB53_112:
	s_waitcnt lgkmcnt(0)
	global_load_dwordx2 v[2:3], v2, s[2:3]
	s_brev_b32 s8, -2
	v_mov_b32_e32 v1, s41
	s_waitcnt vmcnt(0)
	v_mov_b32_e32 v2, s40
	v_add_u32_e32 v8, 0x80, v8
	v_bfi_b32 v3, s8, v1, v3
	global_store_dwordx2 v0, v[2:3], s[0:1]
	s_or_b64 exec, exec, s[50:51]
	v_cmp_gt_i32_e32 vcc, s59, v8
	s_and_saveexec_b64 s[50:51], vcc
	s_cbranch_execz .LBB53_102
.LBB53_113:
	s_andn2_b64 vcc, exec, s[6:7]
	s_cbranch_vccnz .LBB53_119
; %bb.114:
	s_mov_b32 s52, 0
	s_andn2_b64 vcc, exec, s[48:49]
	v_mov_b32_e32 v2, 0
	v_mov_b32_e32 v0, 0
	s_cbranch_vccnz .LBB53_125
; %bb.115:
	s_add_i32 s60, s60, 1
	s_cmp_eq_u32 s58, 2
	s_cbranch_scc1 .LBB53_120
; %bb.116:
	s_and_b32 s52, s60, 28
	s_mov_b32 s53, 0
	v_mov_b32_e32 v0, 0
	s_mov_b64 s[48:49], s[4:5]
	v_mov_b32_e32 v3, v8
	v_mov_b32_e32 v2, 0
.LBB53_117:                             ; =>This Inner Loop Header: Depth=1
	s_load_dwordx8 s[16:23], s[48:49], 0x4
	s_load_dwordx4 s[36:39], s[48:49], 0x24
	s_load_dwordx8 s[8:15], s[46:47], 0x0
	s_add_u32 s48, s48, 48
	s_addc_u32 s49, s49, 0
	s_waitcnt lgkmcnt(0)
	v_mul_hi_u32 v1, s17, v3
	v_add_u32_e32 v1, v3, v1
	v_lshrrev_b32_e32 v1, s18, v1
	v_mul_lo_u32 v4, v1, s16
	v_mul_hi_u32 v5, s20, v1
	v_sub_u32_e32 v3, v3, v4
	v_add_u32_e32 v4, v1, v5
	v_lshrrev_b32_e32 v4, s21, v4
	v_mul_lo_u32 v6, v4, s19
	v_mul_hi_u32 v7, s23, v4
	v_sub_u32_e32 v1, v1, v6
	v_add_u32_e32 v6, v4, v7
	v_mul_lo_u32 v5, v3, s9
	v_mul_lo_u32 v3, v3, s8
	;; [unrolled: 1-line block ×4, first 2 shown]
	v_lshrrev_b32_e32 v6, s36, v6
	v_add3_u32 v0, v3, v0, v1
	v_mul_hi_u32 v3, s38, v6
	v_add_u32_e32 v3, v6, v3
	v_lshrrev_b32_e32 v3, s39, v3
	s_add_i32 s53, s53, 4
	v_add3_u32 v1, v5, v2, v7
	v_mul_lo_u32 v2, v6, s22
	v_mul_lo_u32 v5, v3, s37
	s_add_u32 s46, s46, 32
	v_sub_u32_e32 v2, v4, v2
	v_sub_u32_e32 v5, v6, v5
	s_addc_u32 s47, s47, 0
	v_mul_lo_u32 v4, v2, s12
	v_mul_lo_u32 v2, v2, s13
	;; [unrolled: 1-line block ×4, first 2 shown]
	s_cmp_eq_u32 s52, s53
	v_add3_u32 v2, v2, v1, v5
	v_add3_u32 v0, v4, v0, v6
	s_cbranch_scc0 .LBB53_117
; %bb.118:
	v_mov_b32_e32 v1, v2
	s_branch .LBB53_121
.LBB53_119:
                                        ; implicit-def: $vgpr2
                                        ; implicit-def: $vgpr0
	s_branch .LBB53_126
.LBB53_120:
	s_mov_b32 s53, s52
	v_pk_mov_b32 v[0:1], s[52:53], s[52:53] op_sel:[0,1]
                                        ; implicit-def: $vgpr2
	v_mov_b32_e32 v3, v8
.LBB53_121:
	s_and_b32 s12, s60, 3
	s_cmp_eq_u32 s12, 0
	s_cbranch_scc1 .LBB53_125
; %bb.122:
	s_lshl_b32 s8, s52, 3
	s_add_u32 s8, s8, s4
	s_addc_u32 s9, s5, 0
	s_add_u32 s8, s8, 0xc4
	s_addc_u32 s9, s9, 0
	s_mul_i32 s10, s52, 12
	s_add_u32 s10, s4, s10
	s_addc_u32 s11, s5, 0
.LBB53_123:                             ; =>This Inner Loop Header: Depth=1
	s_load_dwordx2 s[14:15], s[10:11], 0x4
	s_load_dword s13, s[10:11], 0xc
	s_load_dwordx2 s[16:17], s[8:9], 0x0
	v_mov_b32_e32 v2, v1
	s_add_u32 s10, s10, 12
	s_waitcnt lgkmcnt(0)
	v_mul_hi_u32 v1, s15, v3
	v_add_u32_e32 v1, v3, v1
	v_lshrrev_b32_e32 v1, s13, v1
	s_addc_u32 s11, s11, 0
	v_mul_lo_u32 v4, v1, s14
	s_add_u32 s8, s8, 8
	v_sub_u32_e32 v6, v3, v4
	v_mov_b32_e32 v3, v1
	s_addc_u32 s9, s9, 0
	s_add_i32 s12, s12, -1
	v_mad_u64_u32 v[4:5], s[14:15], v6, s17, v[2:3]
	v_mad_u64_u32 v[0:1], s[14:15], v6, s16, v[0:1]
	s_cmp_lg_u32 s12, 0
	v_mov_b32_e32 v1, v4
	s_cbranch_scc1 .LBB53_123
; %bb.124:
	v_mov_b32_e32 v2, v1
.LBB53_125:
	s_cbranch_execnz .LBB53_128
.LBB53_126:
	s_waitcnt lgkmcnt(0)
	v_mul_hi_u32 v0, s29, v8
	v_add_u32_e32 v0, v8, v0
	v_lshrrev_b32_e32 v1, s30, v0
	v_mul_lo_u32 v0, v1, s28
	v_sub_u32_e32 v0, v8, v0
	v_mul_lo_u32 v2, v0, s25
	s_andn2_b64 vcc, exec, s[44:45]
	v_mul_lo_u32 v0, v0, s24
	s_cbranch_vccnz .LBB53_128
; %bb.127:
	v_mul_hi_u32 v3, s42, v1
	v_add_u32_e32 v3, v1, v3
	v_lshrrev_b32_e32 v3, s43, v3
	v_mul_lo_u32 v3, v3, s31
	v_sub_u32_e32 v3, v1, v3
	v_mad_u64_u32 v[0:1], s[8:9], v3, s26, v[0:1]
	v_mad_u64_u32 v[2:3], s[8:9], v3, s27, v[2:3]
.LBB53_128:
	s_waitcnt lgkmcnt(0)
	global_load_dwordx2 v[2:3], v2, s[2:3]
	s_brev_b32 s2, -2
	v_mov_b32_e32 v1, s41
	s_waitcnt vmcnt(0)
	v_mov_b32_e32 v2, s40
	v_bfi_b32 v3, s2, v1, v3
	global_store_dwordx2 v0, v[2:3], s[0:1]
	s_or_b64 exec, exec, s[50:51]
                                        ; implicit-def: $vgpr15
                                        ; implicit-def: $vgpr8
	s_andn2_saveexec_b64 s[0:1], s[34:35]
	s_cbranch_execz .LBB53_103
	s_branch .LBB53_9
	.section	.rodata,"a",@progbits
	.p2align	6, 0x0
	.amdhsa_kernel _ZN2at6native32elementwise_kernel_manual_unrollILi128ELi4EZNS0_22gpu_kernel_impl_nocastINS0_13AUnaryFunctorIdddZZZNS0_20copysign_kernel_cudaERNS_18TensorIteratorBaseEENKUlvE_clEvENKUlvE_clEvEUlddE_EEEEvS5_RKT_EUlibE_EEviT1_
		.amdhsa_group_segment_fixed_size 0
		.amdhsa_private_segment_fixed_size 0
		.amdhsa_kernarg_size 368
		.amdhsa_user_sgpr_count 6
		.amdhsa_user_sgpr_private_segment_buffer 1
		.amdhsa_user_sgpr_dispatch_ptr 0
		.amdhsa_user_sgpr_queue_ptr 0
		.amdhsa_user_sgpr_kernarg_segment_ptr 1
		.amdhsa_user_sgpr_dispatch_id 0
		.amdhsa_user_sgpr_flat_scratch_init 0
		.amdhsa_user_sgpr_kernarg_preload_length 0
		.amdhsa_user_sgpr_kernarg_preload_offset 0
		.amdhsa_user_sgpr_private_segment_size 0
		.amdhsa_uses_dynamic_stack 0
		.amdhsa_system_sgpr_private_segment_wavefront_offset 0
		.amdhsa_system_sgpr_workgroup_id_x 1
		.amdhsa_system_sgpr_workgroup_id_y 0
		.amdhsa_system_sgpr_workgroup_id_z 0
		.amdhsa_system_sgpr_workgroup_info 0
		.amdhsa_system_vgpr_workitem_id 0
		.amdhsa_next_free_vgpr 24
		.amdhsa_next_free_sgpr 62
		.amdhsa_accum_offset 24
		.amdhsa_reserve_vcc 1
		.amdhsa_reserve_flat_scratch 0
		.amdhsa_float_round_mode_32 0
		.amdhsa_float_round_mode_16_64 0
		.amdhsa_float_denorm_mode_32 3
		.amdhsa_float_denorm_mode_16_64 3
		.amdhsa_dx10_clamp 1
		.amdhsa_ieee_mode 1
		.amdhsa_fp16_overflow 0
		.amdhsa_tg_split 0
		.amdhsa_exception_fp_ieee_invalid_op 0
		.amdhsa_exception_fp_denorm_src 0
		.amdhsa_exception_fp_ieee_div_zero 0
		.amdhsa_exception_fp_ieee_overflow 0
		.amdhsa_exception_fp_ieee_underflow 0
		.amdhsa_exception_fp_ieee_inexact 0
		.amdhsa_exception_int_div_zero 0
	.end_amdhsa_kernel
	.section	.text._ZN2at6native32elementwise_kernel_manual_unrollILi128ELi4EZNS0_22gpu_kernel_impl_nocastINS0_13AUnaryFunctorIdddZZZNS0_20copysign_kernel_cudaERNS_18TensorIteratorBaseEENKUlvE_clEvENKUlvE_clEvEUlddE_EEEEvS5_RKT_EUlibE_EEviT1_,"axG",@progbits,_ZN2at6native32elementwise_kernel_manual_unrollILi128ELi4EZNS0_22gpu_kernel_impl_nocastINS0_13AUnaryFunctorIdddZZZNS0_20copysign_kernel_cudaERNS_18TensorIteratorBaseEENKUlvE_clEvENKUlvE_clEvEUlddE_EEEEvS5_RKT_EUlibE_EEviT1_,comdat
.Lfunc_end53:
	.size	_ZN2at6native32elementwise_kernel_manual_unrollILi128ELi4EZNS0_22gpu_kernel_impl_nocastINS0_13AUnaryFunctorIdddZZZNS0_20copysign_kernel_cudaERNS_18TensorIteratorBaseEENKUlvE_clEvENKUlvE_clEvEUlddE_EEEEvS5_RKT_EUlibE_EEviT1_, .Lfunc_end53-_ZN2at6native32elementwise_kernel_manual_unrollILi128ELi4EZNS0_22gpu_kernel_impl_nocastINS0_13AUnaryFunctorIdddZZZNS0_20copysign_kernel_cudaERNS_18TensorIteratorBaseEENKUlvE_clEvENKUlvE_clEvEUlddE_EEEEvS5_RKT_EUlibE_EEviT1_
                                        ; -- End function
	.section	.AMDGPU.csdata,"",@progbits
; Kernel info:
; codeLenInByte = 5960
; NumSgprs: 66
; NumVgprs: 24
; NumAgprs: 0
; TotalNumVgprs: 24
; ScratchSize: 0
; MemoryBound: 0
; FloatMode: 240
; IeeeMode: 1
; LDSByteSize: 0 bytes/workgroup (compile time only)
; SGPRBlocks: 8
; VGPRBlocks: 2
; NumSGPRsForWavesPerEU: 66
; NumVGPRsForWavesPerEU: 24
; AccumOffset: 24
; Occupancy: 8
; WaveLimiterHint : 1
; COMPUTE_PGM_RSRC2:SCRATCH_EN: 0
; COMPUTE_PGM_RSRC2:USER_SGPR: 6
; COMPUTE_PGM_RSRC2:TRAP_HANDLER: 0
; COMPUTE_PGM_RSRC2:TGID_X_EN: 1
; COMPUTE_PGM_RSRC2:TGID_Y_EN: 0
; COMPUTE_PGM_RSRC2:TGID_Z_EN: 0
; COMPUTE_PGM_RSRC2:TIDIG_COMP_CNT: 0
; COMPUTE_PGM_RSRC3_GFX90A:ACCUM_OFFSET: 5
; COMPUTE_PGM_RSRC3_GFX90A:TG_SPLIT: 0
	.section	.text._ZN2at6native32elementwise_kernel_manual_unrollILi128ELi4EZNS0_15gpu_kernel_implINS0_13AUnaryFunctorIdddZZZNS0_20copysign_kernel_cudaERNS_18TensorIteratorBaseEENKUlvE_clEvENKUlvE_clEvEUlddE_EEEEvS5_RKT_EUlibE_EEviT1_,"axG",@progbits,_ZN2at6native32elementwise_kernel_manual_unrollILi128ELi4EZNS0_15gpu_kernel_implINS0_13AUnaryFunctorIdddZZZNS0_20copysign_kernel_cudaERNS_18TensorIteratorBaseEENKUlvE_clEvENKUlvE_clEvEUlddE_EEEEvS5_RKT_EUlibE_EEviT1_,comdat
	.globl	_ZN2at6native32elementwise_kernel_manual_unrollILi128ELi4EZNS0_15gpu_kernel_implINS0_13AUnaryFunctorIdddZZZNS0_20copysign_kernel_cudaERNS_18TensorIteratorBaseEENKUlvE_clEvENKUlvE_clEvEUlddE_EEEEvS5_RKT_EUlibE_EEviT1_ ; -- Begin function _ZN2at6native32elementwise_kernel_manual_unrollILi128ELi4EZNS0_15gpu_kernel_implINS0_13AUnaryFunctorIdddZZZNS0_20copysign_kernel_cudaERNS_18TensorIteratorBaseEENKUlvE_clEvENKUlvE_clEvEUlddE_EEEEvS5_RKT_EUlibE_EEviT1_
	.p2align	8
	.type	_ZN2at6native32elementwise_kernel_manual_unrollILi128ELi4EZNS0_15gpu_kernel_implINS0_13AUnaryFunctorIdddZZZNS0_20copysign_kernel_cudaERNS_18TensorIteratorBaseEENKUlvE_clEvENKUlvE_clEvEUlddE_EEEEvS5_RKT_EUlibE_EEviT1_,@function
_ZN2at6native32elementwise_kernel_manual_unrollILi128ELi4EZNS0_15gpu_kernel_implINS0_13AUnaryFunctorIdddZZZNS0_20copysign_kernel_cudaERNS_18TensorIteratorBaseEENKUlvE_clEvENKUlvE_clEvEUlddE_EEEEvS5_RKT_EUlibE_EEviT1_: ; @_ZN2at6native32elementwise_kernel_manual_unrollILi128ELi4EZNS0_15gpu_kernel_implINS0_13AUnaryFunctorIdddZZZNS0_20copysign_kernel_cudaERNS_18TensorIteratorBaseEENKUlvE_clEvENKUlvE_clEvEUlddE_EEEEvS5_RKT_EUlibE_EEviT1_
; %bb.0:
	s_load_dword s33, s[4:5], 0x30
	s_load_dwordx2 s[12:13], s[4:5], 0x18
	s_load_dwordx2 s[2:3], s[4:5], 0x28
	s_load_dword s40, s[4:5], 0x0
	s_load_dwordx4 s[8:11], s[4:5], 0x8
	v_lshl_or_b32 v10, s6, 9, v0
	v_or_b32_e32 v0, 0x180, v10
	s_waitcnt lgkmcnt(0)
	v_lshrrev_b16_e64 v11, 8, s33
	v_cmp_le_i32_e32 vcc, s40, v0
	s_mov_b64 s[4:5], 0
	s_mov_b64 s[14:15], 0
	s_and_saveexec_b64 s[0:1], vcc
	s_xor_b64 s[6:7], exec, s[0:1]
	s_cbranch_execz .LBB54_1027
; %bb.1:
	v_cmp_gt_i32_e32 vcc, s40, v10
	s_mov_b64 s[20:21], -1
	s_mov_b64 s[22:23], 0
	s_mov_b64 s[16:17], 0
	s_and_saveexec_b64 s[18:19], vcc
	s_cbranch_execz .LBB54_252
; %bb.2:
	v_mul_lo_u32 v0, v10, s13
	v_ashrrev_i32_e32 v1, 31, v0
	v_mov_b32_e32 v2, s11
	v_add_co_u32_e32 v0, vcc, s10, v0
	v_addc_co_u32_e32 v1, vcc, v2, v1, vcc
	v_cmp_gt_i16_e32 vcc, 11, v11
	s_cbranch_vccnz .LBB54_9
; %bb.3:
	v_cmp_lt_i16_e32 vcc, 25, v11
	s_cbranch_vccz .LBB54_18
; %bb.4:
	v_cmp_lt_i16_e32 vcc, 28, v11
	s_cbranch_vccz .LBB54_22
	;; [unrolled: 3-line block ×4, first 2 shown]
; %bb.7:
	v_cmp_eq_u16_e32 vcc, 46, v11
	s_cbranch_vccz .LBB54_28
; %bb.8:
	global_load_dword v2, v[0:1], off
	s_mov_b64 s[0:1], -1
	s_waitcnt vmcnt(0)
	v_lshlrev_b32_e32 v2, 16, v2
	v_cvt_f64_f32_e32 v[2:3], v2
	s_branch .LBB54_30
.LBB54_9:
                                        ; implicit-def: $vgpr2_vgpr3
	s_mov_b64 s[0:1], 0
	s_cbranch_execnz .LBB54_203
.LBB54_10:
	s_andn2_b64 vcc, exec, s[0:1]
	s_cbranch_vccnz .LBB54_250
.LBB54_11:
	s_brev_b32 s0, -2
	v_mov_b32_e32 v0, s3
	s_waitcnt vmcnt(0)
	v_mul_lo_u32 v2, v10, s12
	v_bfi_b32 v1, s0, v0, v3
	v_ashrrev_i32_e32 v3, 31, v2
	v_mov_b32_e32 v5, s9
	v_add_co_u32_e32 v4, vcc, s8, v2
	v_mov_b32_e32 v2, 11
	v_addc_co_u32_e32 v5, vcc, v5, v3, vcc
	v_cmp_lt_i16_sdwa s[0:1], s33, v2 src0_sel:BYTE_0 src1_sel:DWORD
	v_mov_b32_e32 v0, s2
	s_and_b64 vcc, exec, s[0:1]
	s_cbranch_vccnz .LBB54_19
; %bb.12:
	v_mov_b32_e32 v2, 25
	v_cmp_gt_i16_sdwa s[0:1], s33, v2 src0_sel:BYTE_0 src1_sel:DWORD
	s_and_b64 vcc, exec, s[0:1]
	s_cbranch_vccz .LBB54_23
; %bb.13:
	v_mov_b32_e32 v2, 28
	v_cmp_gt_i16_sdwa s[0:1], s33, v2 src0_sel:BYTE_0 src1_sel:DWORD
	s_and_b64 vcc, exec, s[0:1]
	s_cbranch_vccz .LBB54_25
	;; [unrolled: 5-line block ×4, first 2 shown]
; %bb.16:
	v_mov_b32_e32 v2, 46
	v_cmp_eq_u16_sdwa s[14:15], s33, v2 src0_sel:BYTE_0 src1_sel:DWORD
	s_mov_b64 s[20:21], 0
	s_mov_b64 s[0:1], -1
	s_and_b64 vcc, exec, s[14:15]
	s_mov_b64 s[14:15], 0
	s_cbranch_vccz .LBB54_34
; %bb.17:
	v_cvt_f32_f64_e32 v2, v[0:1]
	v_bfe_u32 v3, v2, 16, 1
	s_movk_i32 s0, 0x7fff
	v_add3_u32 v3, v2, v3, s0
	v_lshrrev_b32_e32 v3, 16, v3
	v_mov_b32_e32 v6, 0x7fc0
	v_cmp_o_f32_e32 vcc, v2, v2
	v_cndmask_b32_e32 v2, v6, v3, vcc
	global_store_dword v[4:5], v2, off
	s_mov_b64 s[14:15], -1
	s_mov_b64 s[0:1], 0
	s_branch .LBB54_34
.LBB54_18:
	s_mov_b64 s[0:1], 0
                                        ; implicit-def: $vgpr2_vgpr3
	s_cbranch_execnz .LBB54_168
	s_branch .LBB54_202
.LBB54_19:
	s_mov_b64 s[0:1], 0
	s_mov_b64 s[14:15], 0
	s_cbranch_execnz .LBB54_103
.LBB54_20:
	s_andn2_b64 vcc, exec, s[14:15]
	s_cbranch_vccnz .LBB54_141
.LBB54_21:
	v_add_u32_e32 v10, 0x80, v10
	s_mov_b64 s[20:21], -1
	s_branch .LBB54_251
.LBB54_22:
	s_mov_b64 s[14:15], -1
	s_mov_b64 s[0:1], 0
                                        ; implicit-def: $vgpr2_vgpr3
	s_branch .LBB54_149
.LBB54_23:
	s_mov_b64 s[20:21], -1
	s_mov_b64 s[0:1], 0
	s_mov_b64 s[14:15], 0
	s_branch .LBB54_61
.LBB54_24:
	s_mov_b64 s[14:15], -1
	s_mov_b64 s[0:1], 0
                                        ; implicit-def: $vgpr2_vgpr3
	s_branch .LBB54_144
.LBB54_25:
	s_mov_b64 s[20:21], -1
	s_mov_b64 s[0:1], 0
	s_mov_b64 s[14:15], 0
	s_branch .LBB54_44
.LBB54_26:
	s_mov_b64 s[14:15], -1
	s_branch .LBB54_29
.LBB54_27:
	s_mov_b64 s[20:21], -1
	s_mov_b64 s[0:1], 0
	s_mov_b64 s[14:15], 0
	s_branch .LBB54_40
.LBB54_28:
	s_mov_b64 s[16:17], -1
.LBB54_29:
	s_mov_b64 s[0:1], 0
                                        ; implicit-def: $vgpr2_vgpr3
.LBB54_30:
	s_and_b64 vcc, exec, s[14:15]
	s_cbranch_vccz .LBB54_143
; %bb.31:
	v_cmp_eq_u16_e32 vcc, 44, v11
	s_cbranch_vccz .LBB54_142
; %bb.32:
	global_load_ubyte v4, v[0:1], off
	s_movk_i32 s14, 0xff
	v_mov_b32_e32 v5, 0x7ff80000
	v_bfrev_b32_e32 v6, 28
	s_mov_b64 s[0:1], -1
	s_mov_b64 s[16:17], 0
	s_waitcnt vmcnt(0)
	v_lshlrev_b32_e32 v2, 23, v4
	v_cvt_f64_f32_e32 v[2:3], v2
	v_cmp_ne_u32_e32 vcc, s14, v4
	v_cndmask_b32_e32 v2, v5, v3, vcc
	v_cmp_ne_u32_e32 vcc, 0, v4
	v_cndmask_b32_e32 v3, v6, v2, vcc
	s_branch .LBB54_143
.LBB54_33:
	s_mov_b64 s[20:21], -1
	s_mov_b64 s[0:1], 0
	s_mov_b64 s[14:15], 0
.LBB54_34:
	s_and_b64 vcc, exec, s[20:21]
	s_cbranch_vccz .LBB54_39
; %bb.35:
	v_mov_b32_e32 v2, 44
	v_cmp_eq_u16_sdwa s[20:21], s33, v2 src0_sel:BYTE_0 src1_sel:DWORD
	s_mov_b64 s[0:1], -1
	s_and_b64 vcc, exec, s[20:21]
	s_cbranch_vccz .LBB54_39
; %bb.36:
	v_cvt_f32_f64_e32 v2, v[0:1]
	v_bfe_u32 v3, v2, 23, 8
	s_movk_i32 s0, 0xff
	v_cmp_ne_u32_e32 vcc, s0, v3
	v_mov_b32_e32 v6, 0xff
	s_and_saveexec_b64 s[14:15], vcc
; %bb.37:
	s_mov_b32 s0, 0x3fffff
	v_lshrrev_b32_e32 v6, 23, v2
	v_and_b32_e32 v7, 0x400000, v2
	v_and_or_b32 v2, v2, s0, v3
	v_cmp_ne_u32_e32 vcc, 0, v7
	v_cmp_ne_u32_e64 s[0:1], 0, v2
	s_and_b64 s[0:1], vcc, s[0:1]
	v_cndmask_b32_e64 v2, 0, 1, s[0:1]
	v_add_u32_e32 v6, v6, v2
; %bb.38:
	s_or_b64 exec, exec, s[14:15]
	s_mov_b64 s[14:15], -1
	s_mov_b64 s[0:1], 0
	global_store_byte v[4:5], v6, off
.LBB54_39:
	s_mov_b64 s[20:21], 0
.LBB54_40:
	s_and_b64 vcc, exec, s[20:21]
	s_cbranch_vccz .LBB54_43
; %bb.41:
	v_mov_b32_e32 v2, 29
	v_cmp_eq_u16_sdwa s[20:21], s33, v2 src0_sel:BYTE_0 src1_sel:DWORD
	s_mov_b64 s[0:1], -1
	s_and_b64 vcc, exec, s[20:21]
	s_cbranch_vccz .LBB54_43
; %bb.42:
	v_trunc_f64_e32 v[2:3], v[0:1]
	s_movk_i32 s0, 0xffe0
	v_ldexp_f64 v[6:7], v[2:3], s0
	v_floor_f64_e32 v[6:7], v[6:7]
	v_fmac_f64_e32 v[2:3], 0xc1f00000, v[6:7]
	v_cvt_u32_f64_e32 v9, v[6:7]
	v_cvt_u32_f64_e32 v8, v[2:3]
	global_store_dwordx2 v[4:5], v[8:9], off
	s_mov_b64 s[14:15], -1
	s_mov_b64 s[0:1], 0
.LBB54_43:
	s_mov_b64 s[20:21], 0
.LBB54_44:
	s_and_b64 vcc, exec, s[20:21]
	s_cbranch_vccz .LBB54_60
; %bb.45:
	v_mov_b32_e32 v2, 27
	v_cmp_lt_i16_sdwa s[20:21], s33, v2 src0_sel:BYTE_0 src1_sel:DWORD
	s_mov_b64 s[14:15], -1
	s_and_b64 vcc, exec, s[20:21]
	s_cbranch_vccnz .LBB54_51
; %bb.46:
	v_cmp_gt_i16_sdwa s[20:21], s33, v2 src0_sel:BYTE_0 src1_sel:DWORD
	s_and_b64 vcc, exec, s[20:21]
	v_cvt_u32_f64_e32 v2, v[0:1]
	s_cbranch_vccz .LBB54_48
; %bb.47:
	s_mov_b64 s[14:15], 0
	global_store_dword v[4:5], v2, off
.LBB54_48:
	s_andn2_b64 vcc, exec, s[14:15]
	s_cbranch_vccnz .LBB54_50
; %bb.49:
	global_store_short v[4:5], v2, off
.LBB54_50:
	s_mov_b64 s[14:15], 0
.LBB54_51:
	s_andn2_b64 vcc, exec, s[14:15]
	s_cbranch_vccnz .LBB54_59
; %bb.52:
	v_cvt_f32_f64_e32 v2, v[0:1]
	v_and_b32_e32 v3, 0x7fffffff, v2
	s_mov_b32 s14, 0x43800000
	v_cmp_gt_u32_e32 vcc, s14, v3
	v_mov_b32_e32 v6, 0x80
	s_and_saveexec_b64 s[14:15], vcc
	s_cbranch_execz .LBB54_58
; %bb.53:
	s_mov_b32 s20, 0x3bffffff
	v_cmp_lt_u32_e32 vcc, s20, v3
	s_mov_b64 s[20:21], 0
                                        ; implicit-def: $vgpr3
	s_and_saveexec_b64 s[24:25], vcc
	s_xor_b64 s[24:25], exec, s[24:25]
	s_cbranch_execz .LBB54_279
; %bb.54:
	v_bfe_u32 v3, v2, 20, 1
	s_mov_b32 s26, 0x487ffff
	v_add3_u32 v3, v2, v3, s26
	s_mov_b64 s[20:21], exec
	v_lshrrev_b32_e32 v3, 20, v3
	s_or_saveexec_b64 s[24:25], s[24:25]
                                        ; implicit-def: $sgpr26
	s_xor_b64 exec, exec, s[24:25]
	s_cbranch_execnz .LBB54_280
.LBB54_55:
	s_or_b64 exec, exec, s[24:25]
	v_mov_b32_e32 v6, s26
	s_and_saveexec_b64 s[24:25], s[20:21]
.LBB54_56:
	v_lshrrev_b32_e32 v2, 24, v2
	s_movk_i32 s20, 0x80
	v_and_or_b32 v6, v2, s20, v3
.LBB54_57:
	s_or_b64 exec, exec, s[24:25]
.LBB54_58:
	s_or_b64 exec, exec, s[14:15]
	global_store_byte v[4:5], v6, off
.LBB54_59:
	s_mov_b64 s[14:15], -1
.LBB54_60:
	s_mov_b64 s[20:21], 0
.LBB54_61:
	s_and_b64 vcc, exec, s[20:21]
	s_cbranch_vccz .LBB54_102
; %bb.62:
	v_mov_b32_e32 v2, 22
	v_cmp_gt_i16_sdwa s[24:25], s33, v2 src0_sel:BYTE_0 src1_sel:DWORD
	s_mov_b64 s[20:21], -1
	s_and_b64 vcc, exec, s[24:25]
	s_cbranch_vccz .LBB54_94
; %bb.63:
	v_mov_b32_e32 v2, 24
	v_cmp_lt_i16_sdwa s[20:21], s33, v2 src0_sel:BYTE_0 src1_sel:DWORD
	s_mov_b64 s[14:15], -1
	s_and_b64 vcc, exec, s[20:21]
	s_cbranch_vccnz .LBB54_83
; %bb.64:
	v_cmp_gt_i16_sdwa s[20:21], s33, v2 src0_sel:BYTE_0 src1_sel:DWORD
	s_and_b64 vcc, exec, s[20:21]
	s_cbranch_vccz .LBB54_72
; %bb.65:
	v_cvt_f32_f64_e32 v2, v[0:1]
	v_and_b32_e32 v3, 0x7fffffff, v2
	s_mov_b32 s14, 0x47800000
	v_cmp_gt_u32_e32 vcc, s14, v3
	v_mov_b32_e32 v6, 0x80
	s_and_saveexec_b64 s[14:15], vcc
	s_cbranch_execz .LBB54_71
; %bb.66:
	s_mov_b32 s20, 0x37ffffff
	v_cmp_lt_u32_e32 vcc, s20, v3
	s_mov_b64 s[20:21], 0
                                        ; implicit-def: $vgpr3
	s_and_saveexec_b64 s[24:25], vcc
	s_xor_b64 s[24:25], exec, s[24:25]
	s_cbranch_execz .LBB54_283
; %bb.67:
	v_bfe_u32 v3, v2, 21, 1
	s_mov_b32 s26, 0x88fffff
	v_add3_u32 v3, v2, v3, s26
	s_mov_b64 s[20:21], exec
	v_lshrrev_b32_e32 v3, 21, v3
	s_or_saveexec_b64 s[24:25], s[24:25]
                                        ; implicit-def: $sgpr26
	s_xor_b64 exec, exec, s[24:25]
	s_cbranch_execnz .LBB54_284
.LBB54_68:
	s_or_b64 exec, exec, s[24:25]
	v_mov_b32_e32 v6, s26
	s_and_saveexec_b64 s[24:25], s[20:21]
.LBB54_69:
	v_lshrrev_b32_e32 v2, 24, v2
	s_movk_i32 s20, 0x80
	v_and_or_b32 v6, v2, s20, v3
.LBB54_70:
	s_or_b64 exec, exec, s[24:25]
.LBB54_71:
	s_or_b64 exec, exec, s[14:15]
	s_mov_b64 s[14:15], 0
	global_store_byte v[4:5], v6, off
.LBB54_72:
	s_and_b64 vcc, exec, s[14:15]
	s_cbranch_vccz .LBB54_82
; %bb.73:
	v_cvt_f32_f64_e32 v2, v[0:1]
	v_and_b32_e32 v6, 0x7fffffff, v2
	s_mov_b32 s14, 0x43f00000
	v_cmp_gt_u32_e32 vcc, s14, v6
                                        ; implicit-def: $vgpr3
	s_and_saveexec_b64 s[14:15], vcc
	s_xor_b64 s[14:15], exec, s[14:15]
	s_cbranch_execz .LBB54_79
; %bb.74:
	s_mov_b32 s20, 0x3c7fffff
	v_cmp_lt_u32_e32 vcc, s20, v6
                                        ; implicit-def: $vgpr3
	s_and_saveexec_b64 s[20:21], vcc
	s_xor_b64 s[20:21], exec, s[20:21]
; %bb.75:
	v_bfe_u32 v3, v2, 20, 1
	s_mov_b32 s24, 0x407ffff
	v_add3_u32 v3, v2, v3, s24
	v_lshrrev_b32_e32 v6, 20, v3
	v_and_b32_e32 v3, 0xff00000, v3
	s_mov_b32 s24, 0x7f00000
	v_mov_b32_e32 v7, 0x7e
	v_cmp_ne_u32_e32 vcc, s24, v3
	v_cndmask_b32_e32 v3, v7, v6, vcc
; %bb.76:
	s_andn2_saveexec_b64 s[20:21], s[20:21]
; %bb.77:
	s_mov_b32 s24, 0x46800000
	v_add_f32_e64 v3, |v2|, s24
; %bb.78:
	s_or_b64 exec, exec, s[20:21]
                                        ; implicit-def: $vgpr6
.LBB54_79:
	s_andn2_saveexec_b64 s[14:15], s[14:15]
; %bb.80:
	s_mov_b32 s20, 0x7f800000
	v_mov_b32_e32 v3, 0x7e
	v_mov_b32_e32 v7, 0x7f
	v_cmp_lt_u32_e32 vcc, s20, v6
	v_cndmask_b32_e32 v3, v3, v7, vcc
; %bb.81:
	s_or_b64 exec, exec, s[14:15]
	v_lshrrev_b32_e32 v2, 24, v2
	s_movk_i32 s14, 0x80
	v_and_or_b32 v2, v2, s14, v3
	global_store_byte v[4:5], v2, off
.LBB54_82:
	s_mov_b64 s[14:15], 0
.LBB54_83:
	s_andn2_b64 vcc, exec, s[14:15]
	s_cbranch_vccnz .LBB54_93
; %bb.84:
	v_cvt_f32_f64_e32 v2, v[0:1]
	v_and_b32_e32 v6, 0x7fffffff, v2
	s_mov_b32 s14, 0x47800000
	v_cmp_gt_u32_e32 vcc, s14, v6
                                        ; implicit-def: $vgpr3
	s_and_saveexec_b64 s[14:15], vcc
	s_xor_b64 s[14:15], exec, s[14:15]
	s_cbranch_execz .LBB54_90
; %bb.85:
	s_mov_b32 s20, 0x387fffff
	v_cmp_lt_u32_e32 vcc, s20, v6
                                        ; implicit-def: $vgpr3
	s_and_saveexec_b64 s[20:21], vcc
	s_xor_b64 s[20:21], exec, s[20:21]
; %bb.86:
	v_bfe_u32 v3, v2, 21, 1
	s_mov_b32 s24, 0x80fffff
	v_add3_u32 v3, v2, v3, s24
	v_lshrrev_b32_e32 v3, 21, v3
; %bb.87:
	s_andn2_saveexec_b64 s[20:21], s[20:21]
; %bb.88:
	s_mov_b32 s24, 0x43000000
	v_add_f32_e64 v3, |v2|, s24
; %bb.89:
	s_or_b64 exec, exec, s[20:21]
                                        ; implicit-def: $vgpr6
.LBB54_90:
	s_andn2_saveexec_b64 s[14:15], s[14:15]
; %bb.91:
	s_mov_b32 s20, 0x7f800000
	v_mov_b32_e32 v3, 0x7c
	v_mov_b32_e32 v7, 0x7f
	v_cmp_lt_u32_e32 vcc, s20, v6
	v_cndmask_b32_e32 v3, v3, v7, vcc
; %bb.92:
	s_or_b64 exec, exec, s[14:15]
	v_lshrrev_b32_e32 v2, 24, v2
	s_movk_i32 s14, 0x80
	v_and_or_b32 v2, v2, s14, v3
	global_store_byte v[4:5], v2, off
.LBB54_93:
	s_mov_b64 s[20:21], 0
	s_mov_b64 s[14:15], -1
.LBB54_94:
	s_andn2_b64 vcc, exec, s[20:21]
	s_cbranch_vccnz .LBB54_102
; %bb.95:
	v_mov_b32_e32 v2, 14
	v_cmp_gt_i16_sdwa s[24:25], s33, v2 src0_sel:BYTE_0 src1_sel:DWORD
	s_mov_b64 s[20:21], -1
	s_and_b64 vcc, exec, s[24:25]
	s_cbranch_vccz .LBB54_99
; %bb.96:
	v_mov_b32_e32 v2, 15
	v_cmp_eq_u16_sdwa s[20:21], s33, v2 src0_sel:BYTE_0 src1_sel:DWORD
	s_mov_b64 s[0:1], -1
	s_and_b64 vcc, exec, s[20:21]
	s_cbranch_vccz .LBB54_98
; %bb.97:
	v_cvt_f32_f64_e32 v2, v[0:1]
	v_bfe_u32 v3, v2, 16, 1
	s_movk_i32 s0, 0x7fff
	v_add3_u32 v3, v2, v3, s0
	v_lshrrev_b32_e32 v3, 16, v3
	v_mov_b32_e32 v6, 0x7fc0
	v_cmp_o_f32_e32 vcc, v2, v2
	v_cndmask_b32_e32 v2, v6, v3, vcc
	global_store_short v[4:5], v2, off
	s_mov_b64 s[14:15], -1
	s_mov_b64 s[0:1], 0
.LBB54_98:
	s_mov_b64 s[20:21], 0
.LBB54_99:
	s_and_b64 vcc, exec, s[20:21]
	s_cbranch_vccz .LBB54_102
; %bb.100:
	v_mov_b32_e32 v2, 11
	v_cmp_eq_u16_sdwa s[20:21], s33, v2 src0_sel:BYTE_0 src1_sel:DWORD
	s_mov_b64 s[0:1], -1
	s_and_b64 vcc, exec, s[20:21]
	s_cbranch_vccz .LBB54_102
; %bb.101:
	v_cmp_neq_f64_e32 vcc, 0, v[0:1]
	s_mov_b64 s[0:1], 0
	v_cndmask_b32_e64 v2, 0, 1, vcc
	s_mov_b64 s[14:15], -1
	global_store_byte v[4:5], v2, off
.LBB54_102:
	s_branch .LBB54_20
.LBB54_103:
	v_mov_b32_e32 v2, 5
	v_cmp_lt_i16_sdwa s[20:21], s33, v2 src0_sel:BYTE_0 src1_sel:DWORD
	s_mov_b64 s[14:15], -1
	s_and_b64 vcc, exec, s[20:21]
	s_cbranch_vccnz .LBB54_124
; %bb.104:
	v_mov_b32_e32 v2, 8
	v_cmp_lt_i16_sdwa s[20:21], s33, v2 src0_sel:BYTE_0 src1_sel:DWORD
	s_and_b64 vcc, exec, s[20:21]
	s_cbranch_vccnz .LBB54_114
; %bb.105:
	v_mov_b32_e32 v2, 9
	v_cmp_lt_i16_sdwa s[20:21], s33, v2 src0_sel:BYTE_0 src1_sel:DWORD
	s_and_b64 vcc, exec, s[20:21]
	s_cbranch_vccnz .LBB54_111
; %bb.106:
	v_cmp_gt_i16_sdwa s[20:21], s33, v2 src0_sel:BYTE_0 src1_sel:DWORD
	s_and_b64 vcc, exec, s[20:21]
	s_cbranch_vccz .LBB54_108
; %bb.107:
	v_mov_b32_e32 v2, 0
	v_mov_b32_e32 v3, v2
	global_store_dwordx4 v[4:5], v[0:3], off
	s_mov_b64 s[14:15], 0
.LBB54_108:
	s_andn2_b64 vcc, exec, s[14:15]
	s_cbranch_vccnz .LBB54_110
; %bb.109:
	v_cvt_f32_f64_e32 v2, v[0:1]
	v_mov_b32_e32 v3, 0
	global_store_dwordx2 v[4:5], v[2:3], off
.LBB54_110:
	s_mov_b64 s[14:15], 0
.LBB54_111:
	s_andn2_b64 vcc, exec, s[14:15]
	s_cbranch_vccnz .LBB54_113
; %bb.112:
	v_cvt_f32_f64_e32 v2, v[0:1]
	v_cvt_f16_f32_e32 v2, v2
	global_store_dword v[4:5], v2, off
.LBB54_113:
	s_mov_b64 s[14:15], 0
.LBB54_114:
	s_andn2_b64 vcc, exec, s[14:15]
	s_cbranch_vccnz .LBB54_123
; %bb.115:
	v_mov_b32_e32 v2, 6
	v_cmp_lt_i16_sdwa s[20:21], s33, v2 src0_sel:BYTE_0 src1_sel:DWORD
	s_mov_b64 s[14:15], -1
	s_and_b64 vcc, exec, s[20:21]
	s_cbranch_vccnz .LBB54_121
; %bb.116:
	v_cmp_gt_i16_sdwa s[20:21], s33, v2 src0_sel:BYTE_0 src1_sel:DWORD
	s_and_b64 vcc, exec, s[20:21]
	s_cbranch_vccz .LBB54_118
; %bb.117:
	global_store_dwordx2 v[4:5], v[0:1], off
	s_mov_b64 s[14:15], 0
.LBB54_118:
	s_andn2_b64 vcc, exec, s[14:15]
	s_cbranch_vccnz .LBB54_120
; %bb.119:
	v_cvt_f32_f64_e32 v2, v[0:1]
	global_store_dword v[4:5], v2, off
.LBB54_120:
	s_mov_b64 s[14:15], 0
.LBB54_121:
	s_andn2_b64 vcc, exec, s[14:15]
	s_cbranch_vccnz .LBB54_123
; %bb.122:
	v_cvt_f32_f64_e32 v2, v[0:1]
	v_cvt_f16_f32_e32 v2, v2
	global_store_short v[4:5], v2, off
.LBB54_123:
	s_mov_b64 s[14:15], 0
.LBB54_124:
	s_andn2_b64 vcc, exec, s[14:15]
	s_cbranch_vccnz .LBB54_140
; %bb.125:
	v_mov_b32_e32 v2, 2
	v_cmp_lt_i16_sdwa s[20:21], s33, v2 src0_sel:BYTE_0 src1_sel:DWORD
	s_mov_b64 s[14:15], -1
	s_and_b64 vcc, exec, s[20:21]
	s_cbranch_vccnz .LBB54_135
; %bb.126:
	v_mov_b32_e32 v2, 3
	v_cmp_lt_i16_sdwa s[20:21], s33, v2 src0_sel:BYTE_0 src1_sel:DWORD
	s_and_b64 vcc, exec, s[20:21]
	s_cbranch_vccnz .LBB54_132
; %bb.127:
	v_cmp_gt_i16_sdwa s[20:21], s33, v2 src0_sel:BYTE_0 src1_sel:DWORD
	s_and_b64 vcc, exec, s[20:21]
	s_cbranch_vccz .LBB54_129
; %bb.128:
	v_trunc_f64_e32 v[2:3], v[0:1]
	s_movk_i32 s14, 0xffe0
	v_ldexp_f64 v[6:7], v[2:3], s14
	v_floor_f64_e32 v[6:7], v[6:7]
	v_fmac_f64_e32 v[2:3], 0xc1f00000, v[6:7]
	v_cvt_i32_f64_e32 v9, v[6:7]
	v_cvt_u32_f64_e32 v8, v[2:3]
	global_store_dwordx2 v[4:5], v[8:9], off
	s_mov_b64 s[14:15], 0
.LBB54_129:
	s_andn2_b64 vcc, exec, s[14:15]
	s_cbranch_vccnz .LBB54_131
; %bb.130:
	v_cvt_i32_f64_e32 v2, v[0:1]
	global_store_dword v[4:5], v2, off
.LBB54_131:
	s_mov_b64 s[14:15], 0
.LBB54_132:
	s_andn2_b64 vcc, exec, s[14:15]
	s_cbranch_vccnz .LBB54_134
; %bb.133:
	v_cvt_i32_f64_e32 v2, v[0:1]
	global_store_short v[4:5], v2, off
.LBB54_134:
	s_mov_b64 s[14:15], 0
.LBB54_135:
	s_andn2_b64 vcc, exec, s[14:15]
	s_cbranch_vccnz .LBB54_140
; %bb.136:
	v_mov_b32_e32 v2, 0
	v_cmp_gt_i16_sdwa s[20:21], s33, v2 src0_sel:BYTE_0 src1_sel:DWORD
	s_mov_b64 s[14:15], -1
	s_and_b64 vcc, exec, s[20:21]
	s_cbranch_vccz .LBB54_138
; %bb.137:
	v_cvt_i32_f64_e32 v2, v[0:1]
	global_store_byte v[4:5], v2, off
	s_mov_b64 s[14:15], 0
.LBB54_138:
	s_andn2_b64 vcc, exec, s[14:15]
	s_cbranch_vccnz .LBB54_140
; %bb.139:
	v_trunc_f64_e32 v[0:1], v[0:1]
	s_movk_i32 s14, 0xffe0
	v_ldexp_f64 v[2:3], v[0:1], s14
	v_floor_f64_e32 v[2:3], v[2:3]
	v_fmac_f64_e32 v[0:1], 0xc1f00000, v[2:3]
	v_cvt_u32_f64_e32 v0, v[0:1]
	global_store_byte v[4:5], v0, off
.LBB54_140:
	s_branch .LBB54_21
.LBB54_141:
	s_mov_b64 s[20:21], 0
                                        ; implicit-def: $vgpr10
	s_branch .LBB54_251
.LBB54_142:
	s_mov_b64 s[16:17], -1
                                        ; implicit-def: $vgpr2_vgpr3
.LBB54_143:
	s_mov_b64 s[14:15], 0
.LBB54_144:
	s_and_b64 vcc, exec, s[14:15]
	s_cbranch_vccz .LBB54_148
; %bb.145:
	v_cmp_eq_u16_e32 vcc, 29, v11
	s_cbranch_vccz .LBB54_147
; %bb.146:
	global_load_dwordx2 v[2:3], v[0:1], off
	s_mov_b64 s[0:1], -1
	s_mov_b64 s[16:17], 0
	s_mov_b64 s[14:15], 0
	s_waitcnt vmcnt(0)
	v_cvt_f64_u32_e32 v[4:5], v3
	v_cvt_f64_u32_e32 v[2:3], v2
	v_ldexp_f64 v[4:5], v[4:5], 32
	v_add_f64 v[2:3], v[4:5], v[2:3]
	s_branch .LBB54_149
.LBB54_147:
	s_mov_b64 s[16:17], -1
                                        ; implicit-def: $vgpr2_vgpr3
.LBB54_148:
	s_mov_b64 s[14:15], 0
.LBB54_149:
	s_and_b64 vcc, exec, s[14:15]
	s_cbranch_vccz .LBB54_167
; %bb.150:
	v_cmp_gt_i16_e32 vcc, 27, v11
	s_cbranch_vccnz .LBB54_153
; %bb.151:
	v_cmp_lt_i16_e32 vcc, 27, v11
	s_cbranch_vccz .LBB54_154
; %bb.152:
	global_load_dword v2, v[0:1], off
	s_mov_b64 s[0:1], 0
	s_waitcnt vmcnt(0)
	v_cvt_f64_u32_e32 v[2:3], v2
	s_branch .LBB54_155
.LBB54_153:
	s_mov_b64 s[0:1], -1
                                        ; implicit-def: $vgpr2_vgpr3
	s_branch .LBB54_158
.LBB54_154:
	s_mov_b64 s[0:1], -1
                                        ; implicit-def: $vgpr2_vgpr3
.LBB54_155:
	s_andn2_b64 vcc, exec, s[0:1]
	s_cbranch_vccnz .LBB54_157
; %bb.156:
	global_load_ushort v2, v[0:1], off
	s_waitcnt vmcnt(0)
	v_cvt_f64_u32_e32 v[2:3], v2
.LBB54_157:
	s_mov_b64 s[0:1], 0
.LBB54_158:
	s_andn2_b64 vcc, exec, s[0:1]
	s_cbranch_vccnz .LBB54_166
; %bb.159:
	global_load_ubyte v4, v[0:1], off
	s_movk_i32 s0, 0x7f
                                        ; implicit-def: $sgpr14_sgpr15
	s_waitcnt vmcnt(0)
	v_cmp_lt_i16_e32 vcc, s0, v4
	s_mov_b64 s[0:1], 0
	s_and_saveexec_b64 s[20:21], vcc
	s_xor_b64 s[20:21], exec, s[20:21]
	s_cbranch_execz .LBB54_179
; %bb.160:
	s_movk_i32 s0, 0x80
	v_cmp_eq_u16_e32 vcc, s0, v4
	s_mov_b64 s[24:25], -1
                                        ; implicit-def: $sgpr14_sgpr15
	s_and_saveexec_b64 s[0:1], vcc
; %bb.161:
	s_mov_b32 s15, 0x7ff80000
	s_brev_b32 s14, 4
	s_xor_b64 s[24:25], exec, -1
; %bb.162:
	s_or_b64 exec, exec, s[0:1]
	s_and_b64 s[0:1], s[24:25], exec
	s_or_saveexec_b64 s[20:21], s[20:21]
	v_pk_mov_b32 v[2:3], s[14:15], s[14:15] op_sel:[0,1]
	s_xor_b64 exec, exec, s[20:21]
	s_cbranch_execnz .LBB54_180
.LBB54_163:
	s_or_b64 exec, exec, s[20:21]
	s_and_saveexec_b64 s[14:15], s[0:1]
	s_cbranch_execz .LBB54_165
.LBB54_164:
	v_and_b32_e32 v3, 0xffff, v4
	v_lshlrev_b32_e32 v2, 24, v4
	v_and_b32_e32 v4, 7, v3
	v_ffbh_u32_e32 v6, v4
	v_min_u32_e32 v6, 32, v6
	v_subrev_u32_e32 v7, 28, v6
	v_bfe_u32 v5, v3, 3, 4
	v_lshlrev_b32_e32 v3, v7, v3
	v_sub_u32_e32 v6, 29, v6
	v_and_b32_e32 v3, 7, v3
	v_cmp_eq_u32_e32 vcc, 0, v5
	v_cndmask_b32_e32 v5, v5, v6, vcc
	v_cndmask_b32_e32 v3, v4, v3, vcc
	v_mov_b32_e32 v4, 0x3b800000
	v_lshlrev_b32_e32 v3, 20, v3
	v_and_b32_e32 v2, 0x80000000, v2
	v_lshl_add_u32 v4, v5, 23, v4
	v_or3_b32 v2, v2, v4, v3
	v_cvt_f64_f32_e32 v[2:3], v2
.LBB54_165:
	s_or_b64 exec, exec, s[14:15]
.LBB54_166:
	s_mov_b64 s[0:1], -1
.LBB54_167:
	s_branch .LBB54_202
.LBB54_168:
	v_cmp_lt_i16_e32 vcc, 22, v11
	s_cbranch_vccz .LBB54_178
; %bb.169:
	v_cmp_gt_i16_e32 vcc, 24, v11
	s_cbranch_vccnz .LBB54_181
; %bb.170:
	v_cmp_lt_i16_e32 vcc, 24, v11
	s_cbranch_vccz .LBB54_182
; %bb.171:
	global_load_ubyte v4, v[0:1], off
	s_movk_i32 s0, 0x7f
                                        ; implicit-def: $sgpr14_sgpr15
	s_waitcnt vmcnt(0)
	v_cmp_lt_i16_e32 vcc, s0, v4
	s_mov_b64 s[0:1], 0
	s_and_saveexec_b64 s[20:21], vcc
	s_xor_b64 s[20:21], exec, s[20:21]
	s_cbranch_execz .LBB54_194
; %bb.172:
	s_movk_i32 s0, 0x80
	v_cmp_eq_u16_e32 vcc, s0, v4
	s_mov_b64 s[24:25], -1
                                        ; implicit-def: $sgpr14_sgpr15
	s_and_saveexec_b64 s[0:1], vcc
; %bb.173:
	s_mov_b32 s15, 0x7ff80000
	s_brev_b32 s14, 4
	s_xor_b64 s[24:25], exec, -1
; %bb.174:
	s_or_b64 exec, exec, s[0:1]
	s_and_b64 s[0:1], s[24:25], exec
	s_or_saveexec_b64 s[20:21], s[20:21]
	v_pk_mov_b32 v[2:3], s[14:15], s[14:15] op_sel:[0,1]
	s_xor_b64 exec, exec, s[20:21]
	s_cbranch_execnz .LBB54_195
.LBB54_175:
	s_or_b64 exec, exec, s[20:21]
	s_and_saveexec_b64 s[14:15], s[0:1]
	s_cbranch_execz .LBB54_177
.LBB54_176:
	v_and_b32_e32 v3, 0xffff, v4
	v_lshlrev_b32_e32 v2, 24, v4
	v_and_b32_e32 v4, 3, v3
	v_ffbh_u32_e32 v6, v4
	v_min_u32_e32 v6, 32, v6
	v_subrev_u32_e32 v7, 29, v6
	v_bfe_u32 v5, v3, 2, 5
	v_lshlrev_b32_e32 v3, v7, v3
	v_sub_u32_e32 v6, 30, v6
	v_and_b32_e32 v3, 3, v3
	v_cmp_eq_u32_e32 vcc, 0, v5
	v_cndmask_b32_e32 v5, v5, v6, vcc
	v_cndmask_b32_e32 v3, v4, v3, vcc
	v_mov_b32_e32 v4, 0x37800000
	v_lshlrev_b32_e32 v3, 21, v3
	v_and_b32_e32 v2, 0x80000000, v2
	v_lshl_add_u32 v4, v5, 23, v4
	v_or3_b32 v2, v2, v4, v3
	v_cvt_f64_f32_e32 v[2:3], v2
.LBB54_177:
	s_or_b64 exec, exec, s[14:15]
	s_mov_b64 s[0:1], 0
	s_branch .LBB54_183
.LBB54_178:
	s_mov_b64 s[14:15], -1
                                        ; implicit-def: $vgpr2_vgpr3
	s_branch .LBB54_189
.LBB54_179:
	s_or_saveexec_b64 s[20:21], s[20:21]
	v_pk_mov_b32 v[2:3], s[14:15], s[14:15] op_sel:[0,1]
	s_xor_b64 exec, exec, s[20:21]
	s_cbranch_execz .LBB54_163
.LBB54_180:
	v_cmp_ne_u16_e32 vcc, 0, v4
	s_andn2_b64 s[0:1], s[0:1], exec
	s_and_b64 s[14:15], vcc, exec
	v_pk_mov_b32 v[2:3], 0, 0
	s_or_b64 s[0:1], s[0:1], s[14:15]
	s_or_b64 exec, exec, s[20:21]
	s_and_saveexec_b64 s[14:15], s[0:1]
	s_cbranch_execnz .LBB54_164
	s_branch .LBB54_165
.LBB54_181:
	s_mov_b64 s[0:1], -1
                                        ; implicit-def: $vgpr2_vgpr3
	s_branch .LBB54_186
.LBB54_182:
	s_mov_b64 s[0:1], -1
                                        ; implicit-def: $vgpr2_vgpr3
.LBB54_183:
	s_and_b64 vcc, exec, s[0:1]
	s_cbranch_vccz .LBB54_185
; %bb.184:
	global_load_ubyte v2, v[0:1], off
	s_mov_b32 s0, 0x7f800000
	s_waitcnt vmcnt(0)
	v_lshlrev_b32_e32 v2, 24, v2
	v_and_b32_e32 v3, 0x7f000000, v2
	v_ffbh_u32_e32 v4, v3
	v_min_u32_e32 v4, 32, v4
	v_sub_u32_e64 v4, v4, 4 clamp
	v_lshlrev_b32_e32 v6, v4, v3
	v_lshlrev_b32_e32 v4, 23, v4
	v_lshrrev_b32_e32 v6, 4, v6
	v_add_u32_e32 v5, 0x1000000, v3
	v_sub_u32_e32 v4, v6, v4
	v_ashrrev_i32_e32 v5, 8, v5
	v_add_u32_e32 v4, 0x3c000000, v4
	v_and_or_b32 v4, v5, s0, v4
	v_cmp_ne_u32_e32 vcc, 0, v3
	v_cndmask_b32_e32 v3, 0, v4, vcc
	s_brev_b32 s0, 1
	v_and_or_b32 v2, v2, s0, v3
	v_cvt_f64_f32_e32 v[2:3], v2
.LBB54_185:
	s_mov_b64 s[0:1], 0
.LBB54_186:
	s_andn2_b64 vcc, exec, s[0:1]
	s_cbranch_vccnz .LBB54_188
; %bb.187:
	global_load_ubyte v2, v[0:1], off
	s_movk_i32 s0, 0x7f00
	s_brev_b32 s1, 16
	s_waitcnt vmcnt(0)
	v_lshlrev_b16_e32 v3, 8, v2
	v_lshlrev_b32_e32 v2, 25, v2
	v_lshrrev_b32_e32 v4, 4, v2
	v_and_or_b32 v5, v3, s0, 0.5
	v_or_b32_e32 v4, 0x70000000, v4
	v_add_f32_e32 v5, -0.5, v5
	v_mul_f32_e32 v4, 0x7800000, v4
	v_cmp_gt_u32_e32 vcc, s1, v2
	v_bfe_i32 v3, v3, 0, 16
	v_cndmask_b32_e32 v2, v4, v5, vcc
	s_brev_b32 s0, 1
	v_and_or_b32 v2, v3, s0, v2
	v_cvt_f64_f32_e32 v[2:3], v2
.LBB54_188:
	s_mov_b64 s[14:15], 0
	s_mov_b64 s[0:1], -1
.LBB54_189:
	s_andn2_b64 vcc, exec, s[14:15]
	s_cbranch_vccnz .LBB54_202
; %bb.190:
	v_cmp_lt_i16_e32 vcc, 14, v11
	s_cbranch_vccz .LBB54_193
; %bb.191:
	v_cmp_eq_u16_e32 vcc, 15, v11
	s_cbranch_vccz .LBB54_196
; %bb.192:
	global_load_ushort v2, v[0:1], off
	s_mov_b64 s[0:1], -1
	s_mov_b64 s[16:17], 0
	s_waitcnt vmcnt(0)
	v_lshlrev_b32_e32 v2, 16, v2
	v_cvt_f64_f32_e32 v[2:3], v2
	s_branch .LBB54_197
.LBB54_193:
	s_mov_b64 s[14:15], -1
                                        ; implicit-def: $vgpr2_vgpr3
	s_branch .LBB54_198
.LBB54_194:
	s_or_saveexec_b64 s[20:21], s[20:21]
	v_pk_mov_b32 v[2:3], s[14:15], s[14:15] op_sel:[0,1]
	s_xor_b64 exec, exec, s[20:21]
	s_cbranch_execz .LBB54_175
.LBB54_195:
	v_cmp_ne_u16_e32 vcc, 0, v4
	s_andn2_b64 s[0:1], s[0:1], exec
	s_and_b64 s[14:15], vcc, exec
	v_pk_mov_b32 v[2:3], 0, 0
	s_or_b64 s[0:1], s[0:1], s[14:15]
	s_or_b64 exec, exec, s[20:21]
	s_and_saveexec_b64 s[14:15], s[0:1]
	s_cbranch_execnz .LBB54_176
	s_branch .LBB54_177
.LBB54_196:
	s_mov_b64 s[16:17], -1
                                        ; implicit-def: $vgpr2_vgpr3
.LBB54_197:
	s_mov_b64 s[14:15], 0
.LBB54_198:
	s_and_b64 vcc, exec, s[14:15]
	s_cbranch_vccz .LBB54_202
; %bb.199:
	v_cmp_eq_u16_e32 vcc, 11, v11
	s_cbranch_vccz .LBB54_201
; %bb.200:
	global_load_ubyte v2, v[0:1], off
	v_mov_b32_e32 v3, 0x3ff00000
	s_mov_b64 s[0:1], -1
	s_mov_b64 s[16:17], 0
	s_waitcnt vmcnt(0)
	v_cmp_ne_u16_e32 vcc, 0, v2
	v_cndmask_b32_e32 v3, 0, v3, vcc
	s_branch .LBB54_202
.LBB54_201:
	s_mov_b64 s[16:17], -1
                                        ; implicit-def: $vgpr2_vgpr3
.LBB54_202:
	s_branch .LBB54_10
.LBB54_203:
	v_cmp_gt_i16_e32 vcc, 5, v11
	s_cbranch_vccnz .LBB54_208
; %bb.204:
	v_cmp_gt_i16_e32 vcc, 8, v11
	s_cbranch_vccnz .LBB54_209
; %bb.205:
	;; [unrolled: 3-line block ×3, first 2 shown]
	v_cmp_lt_i16_e32 vcc, 9, v11
	s_cbranch_vccz .LBB54_211
; %bb.207:
	global_load_dwordx2 v[2:3], v[0:1], off
	s_mov_b64 s[0:1], 0
	s_branch .LBB54_212
.LBB54_208:
                                        ; implicit-def: $vgpr2_vgpr3
	s_branch .LBB54_230
.LBB54_209:
	s_mov_b64 s[0:1], -1
                                        ; implicit-def: $vgpr2_vgpr3
	s_branch .LBB54_218
.LBB54_210:
	s_mov_b64 s[0:1], -1
                                        ; implicit-def: $vgpr2_vgpr3
	s_branch .LBB54_215
.LBB54_211:
	s_mov_b64 s[0:1], -1
                                        ; implicit-def: $vgpr2_vgpr3
.LBB54_212:
	s_andn2_b64 vcc, exec, s[0:1]
	s_cbranch_vccnz .LBB54_214
; %bb.213:
	global_load_dword v2, v[0:1], off
	s_waitcnt vmcnt(0)
	v_cvt_f64_f32_e32 v[2:3], v2
.LBB54_214:
	s_mov_b64 s[0:1], 0
.LBB54_215:
	s_andn2_b64 vcc, exec, s[0:1]
	s_cbranch_vccnz .LBB54_217
; %bb.216:
	global_load_dword v2, v[0:1], off
	s_waitcnt vmcnt(0)
	v_cvt_f32_f16_e32 v2, v2
	v_cvt_f64_f32_e32 v[2:3], v2
.LBB54_217:
	s_mov_b64 s[0:1], 0
.LBB54_218:
	s_andn2_b64 vcc, exec, s[0:1]
	s_cbranch_vccnz .LBB54_229
; %bb.219:
	v_cmp_gt_i16_e32 vcc, 6, v11
	s_cbranch_vccnz .LBB54_222
; %bb.220:
	v_cmp_lt_i16_e32 vcc, 6, v11
	s_cbranch_vccz .LBB54_223
; %bb.221:
	global_load_dwordx2 v[2:3], v[0:1], off
	s_mov_b64 s[0:1], 0
	s_branch .LBB54_224
.LBB54_222:
	s_mov_b64 s[0:1], -1
                                        ; implicit-def: $vgpr2_vgpr3
	s_branch .LBB54_227
.LBB54_223:
	s_mov_b64 s[0:1], -1
                                        ; implicit-def: $vgpr2_vgpr3
.LBB54_224:
	s_andn2_b64 vcc, exec, s[0:1]
	s_cbranch_vccnz .LBB54_226
; %bb.225:
	global_load_dword v2, v[0:1], off
	s_waitcnt vmcnt(0)
	v_cvt_f64_f32_e32 v[2:3], v2
.LBB54_226:
	s_mov_b64 s[0:1], 0
.LBB54_227:
	s_andn2_b64 vcc, exec, s[0:1]
	s_cbranch_vccnz .LBB54_229
; %bb.228:
	global_load_ushort v2, v[0:1], off
	s_waitcnt vmcnt(0)
	v_cvt_f32_f16_e32 v2, v2
	v_cvt_f64_f32_e32 v[2:3], v2
.LBB54_229:
	s_cbranch_execnz .LBB54_249
.LBB54_230:
	v_cmp_gt_i16_e32 vcc, 2, v11
	s_cbranch_vccnz .LBB54_234
; %bb.231:
	v_cmp_gt_i16_e32 vcc, 3, v11
	s_cbranch_vccnz .LBB54_235
; %bb.232:
	v_cmp_lt_i16_e32 vcc, 3, v11
	s_cbranch_vccz .LBB54_236
; %bb.233:
	global_load_dwordx2 v[2:3], v[0:1], off
	s_mov_b64 s[0:1], 0
	s_waitcnt vmcnt(0)
	v_cvt_f64_i32_e32 v[4:5], v3
	v_cvt_f64_u32_e32 v[2:3], v2
	v_ldexp_f64 v[4:5], v[4:5], 32
	v_add_f64 v[2:3], v[4:5], v[2:3]
	s_branch .LBB54_237
.LBB54_234:
	s_mov_b64 s[0:1], -1
                                        ; implicit-def: $vgpr2_vgpr3
	s_branch .LBB54_243
.LBB54_235:
	s_mov_b64 s[0:1], -1
                                        ; implicit-def: $vgpr2_vgpr3
	s_branch .LBB54_240
.LBB54_236:
	s_mov_b64 s[0:1], -1
                                        ; implicit-def: $vgpr2_vgpr3
.LBB54_237:
	s_andn2_b64 vcc, exec, s[0:1]
	s_cbranch_vccnz .LBB54_239
; %bb.238:
	global_load_dword v2, v[0:1], off
	s_waitcnt vmcnt(0)
	v_cvt_f64_i32_e32 v[2:3], v2
.LBB54_239:
	s_mov_b64 s[0:1], 0
.LBB54_240:
	s_andn2_b64 vcc, exec, s[0:1]
	s_cbranch_vccnz .LBB54_242
; %bb.241:
	global_load_sshort v2, v[0:1], off
	s_waitcnt vmcnt(0)
	v_cvt_f64_i32_e32 v[2:3], v2
.LBB54_242:
	s_mov_b64 s[0:1], 0
.LBB54_243:
	s_andn2_b64 vcc, exec, s[0:1]
	s_cbranch_vccnz .LBB54_249
; %bb.244:
	v_cmp_lt_i16_e32 vcc, 0, v11
	s_cbranch_vccz .LBB54_246
; %bb.245:
	global_load_sbyte v2, v[0:1], off
	s_mov_b64 s[0:1], 0
	s_waitcnt vmcnt(0)
	v_cvt_f64_i32_e32 v[2:3], v2
	s_branch .LBB54_247
.LBB54_246:
	s_mov_b64 s[0:1], -1
                                        ; implicit-def: $vgpr2_vgpr3
.LBB54_247:
	s_andn2_b64 vcc, exec, s[0:1]
	s_cbranch_vccnz .LBB54_249
; %bb.248:
	global_load_ubyte v0, v[0:1], off
	s_waitcnt vmcnt(0)
	v_cvt_f64_u32_e32 v[2:3], v0
.LBB54_249:
	s_branch .LBB54_11
.LBB54_250:
	s_mov_b64 s[0:1], 0
                                        ; implicit-def: $vgpr10
	s_mov_b64 s[20:21], 0
.LBB54_251:
	s_and_b64 s[14:15], s[0:1], exec
	s_and_b64 s[16:17], s[16:17], exec
	s_orn2_b64 s[20:21], s[20:21], exec
.LBB54_252:
	s_or_b64 exec, exec, s[18:19]
	s_mov_b64 s[24:25], 0
	s_mov_b64 s[0:1], 0
                                        ; implicit-def: $vgpr0_vgpr1
                                        ; implicit-def: $vgpr2_vgpr3
	s_and_saveexec_b64 s[18:19], s[20:21]
	s_cbranch_execz .LBB54_261
; %bb.253:
	v_cmp_gt_i32_e32 vcc, s40, v10
	s_mov_b64 s[0:1], -1
	s_mov_b64 s[20:21], s[16:17]
	s_mov_b64 s[22:23], s[14:15]
	s_and_saveexec_b64 s[24:25], vcc
	s_cbranch_execz .LBB54_513
; %bb.254:
	v_mul_lo_u32 v0, v10, s13
	v_ashrrev_i32_e32 v1, 31, v0
	s_waitcnt vmcnt(0)
	v_mov_b32_e32 v2, s11
	v_add_co_u32_e32 v0, vcc, s10, v0
	v_addc_co_u32_e32 v1, vcc, v2, v1, vcc
	v_cmp_gt_i16_e32 vcc, 11, v11
	s_cbranch_vccnz .LBB54_264
; %bb.255:
	v_cmp_lt_i16_e32 vcc, 25, v11
	s_cbranch_vccz .LBB54_273
; %bb.256:
	v_cmp_lt_i16_e32 vcc, 28, v11
	s_cbranch_vccz .LBB54_275
; %bb.257:
	v_cmp_lt_i16_e32 vcc, 43, v11
	s_cbranch_vccz .LBB54_277
; %bb.258:
	v_cmp_lt_i16_e32 vcc, 45, v11
	s_cbranch_vccz .LBB54_281
; %bb.259:
	v_cmp_eq_u16_e32 vcc, 46, v11
	s_mov_b64 s[22:23], 0
	s_cbranch_vccz .LBB54_285
; %bb.260:
	global_load_dword v2, v[0:1], off
	s_mov_b64 s[20:21], 0
	s_waitcnt vmcnt(0)
	v_lshlrev_b32_e32 v2, 16, v2
	v_cvt_f64_f32_e32 v[2:3], v2
	s_branch .LBB54_286
.LBB54_261:
	s_or_b64 exec, exec, s[18:19]
	s_mov_b64 s[18:19], 0
	s_and_saveexec_b64 s[20:21], s[16:17]
	s_cbranch_execnz .LBB54_859
.LBB54_262:
	s_or_b64 exec, exec, s[20:21]
	s_and_saveexec_b64 s[16:17], s[22:23]
	s_xor_b64 s[16:17], exec, s[16:17]
	s_cbranch_execz .LBB54_860
.LBB54_263:
	global_load_ubyte v2, v[0:1], off
	s_waitcnt vmcnt(1)
	v_mov_b32_e32 v3, 0x3ff00000
	s_or_b64 s[0:1], s[0:1], exec
	s_waitcnt vmcnt(0)
	v_cmp_ne_u16_e32 vcc, 0, v2
	v_cndmask_b32_e32 v3, 0, v3, vcc
	s_or_b64 exec, exec, s[16:17]
	s_and_saveexec_b64 s[16:17], s[24:25]
	s_cbranch_execz .LBB54_906
	s_branch .LBB54_861
.LBB54_264:
	s_mov_b64 s[0:1], 0
                                        ; implicit-def: $vgpr2_vgpr3
	s_mov_b64 s[20:21], s[16:17]
	s_cbranch_execnz .LBB54_463
.LBB54_265:
	s_andn2_b64 vcc, exec, s[0:1]
	s_cbranch_vccnz .LBB54_511
.LBB54_266:
	s_brev_b32 s0, -2
	v_mov_b32_e32 v0, s3
	s_waitcnt vmcnt(0)
	v_mul_lo_u32 v2, v10, s12
	v_bfi_b32 v1, s0, v0, v3
	v_ashrrev_i32_e32 v3, 31, v2
	v_mov_b32_e32 v5, s9
	v_add_co_u32_e32 v4, vcc, s8, v2
	v_mov_b32_e32 v2, 11
	v_addc_co_u32_e32 v5, vcc, v5, v3, vcc
	v_cmp_lt_i16_sdwa s[0:1], s33, v2 src0_sel:BYTE_0 src1_sel:DWORD
	v_mov_b32_e32 v0, s2
	s_and_b64 vcc, exec, s[0:1]
	s_cbranch_vccnz .LBB54_274
; %bb.267:
	v_mov_b32_e32 v2, 25
	v_cmp_gt_i16_sdwa s[0:1], s33, v2 src0_sel:BYTE_0 src1_sel:DWORD
	s_and_b64 vcc, exec, s[0:1]
	s_cbranch_vccz .LBB54_276
; %bb.268:
	v_mov_b32_e32 v2, 28
	v_cmp_gt_i16_sdwa s[0:1], s33, v2 src0_sel:BYTE_0 src1_sel:DWORD
	s_and_b64 vcc, exec, s[0:1]
	s_cbranch_vccz .LBB54_278
	;; [unrolled: 5-line block ×4, first 2 shown]
; %bb.271:
	v_mov_b32_e32 v2, 46
	v_cmp_eq_u16_sdwa s[22:23], s33, v2 src0_sel:BYTE_0 src1_sel:DWORD
	s_mov_b64 s[26:27], 0
	s_mov_b64 s[0:1], -1
	s_and_b64 vcc, exec, s[22:23]
	s_mov_b64 s[22:23], 0
	s_cbranch_vccz .LBB54_290
; %bb.272:
	v_cvt_f32_f64_e32 v2, v[0:1]
	v_bfe_u32 v3, v2, 16, 1
	s_movk_i32 s0, 0x7fff
	v_add3_u32 v3, v2, v3, s0
	v_lshrrev_b32_e32 v3, 16, v3
	v_mov_b32_e32 v6, 0x7fc0
	v_cmp_o_f32_e32 vcc, v2, v2
	v_cndmask_b32_e32 v2, v6, v3, vcc
	global_store_dword v[4:5], v2, off
	s_mov_b64 s[22:23], -1
	s_mov_b64 s[0:1], 0
	s_branch .LBB54_290
.LBB54_273:
	s_mov_b64 s[22:23], -1
	s_mov_b64 s[0:1], 0
	s_mov_b64 s[20:21], s[16:17]
                                        ; implicit-def: $vgpr2_vgpr3
	s_branch .LBB54_427
.LBB54_274:
	s_mov_b64 s[26:27], -1
	s_mov_b64 s[22:23], 0
	s_mov_b64 s[0:1], s[14:15]
	s_branch .LBB54_359
.LBB54_275:
	s_mov_b64 s[22:23], -1
	s_mov_b64 s[0:1], 0
	s_mov_b64 s[20:21], s[16:17]
                                        ; implicit-def: $vgpr2_vgpr3
	s_branch .LBB54_408
.LBB54_276:
	s_mov_b64 s[26:27], -1
	s_mov_b64 s[22:23], 0
	s_mov_b64 s[0:1], s[14:15]
	s_branch .LBB54_317
.LBB54_277:
	s_mov_b64 s[22:23], -1
	s_mov_b64 s[0:1], 0
	s_mov_b64 s[20:21], s[16:17]
                                        ; implicit-def: $vgpr2_vgpr3
	s_branch .LBB54_403
.LBB54_278:
	s_mov_b64 s[26:27], -1
	s_mov_b64 s[22:23], 0
	s_mov_b64 s[0:1], s[14:15]
	s_branch .LBB54_300
.LBB54_279:
	s_or_saveexec_b64 s[24:25], s[24:25]
                                        ; implicit-def: $sgpr26
	s_xor_b64 exec, exec, s[24:25]
	s_cbranch_execz .LBB54_55
.LBB54_280:
	s_mov_b32 s26, 0x46000000
	v_add_f32_e64 v3, |v2|, s26
	v_and_b32_e32 v3, 0xff, v3
	v_cmp_ne_u32_e32 vcc, 0, v3
	s_andn2_b64 s[20:21], s[20:21], exec
	s_and_b64 s[28:29], vcc, exec
	s_mov_b32 s26, 0
	s_or_b64 s[20:21], s[20:21], s[28:29]
	s_or_b64 exec, exec, s[24:25]
	v_mov_b32_e32 v6, s26
	s_and_saveexec_b64 s[24:25], s[20:21]
	s_cbranch_execnz .LBB54_56
	s_branch .LBB54_57
.LBB54_281:
	s_mov_b64 s[22:23], -1
	s_mov_b64 s[0:1], 0
	s_mov_b64 s[20:21], s[16:17]
                                        ; implicit-def: $vgpr2_vgpr3
	s_branch .LBB54_286
.LBB54_282:
	s_mov_b64 s[26:27], -1
	s_mov_b64 s[22:23], 0
	s_mov_b64 s[0:1], s[14:15]
	s_branch .LBB54_296
.LBB54_283:
	s_or_saveexec_b64 s[24:25], s[24:25]
                                        ; implicit-def: $sgpr26
	s_xor_b64 exec, exec, s[24:25]
	s_cbranch_execz .LBB54_68
.LBB54_284:
	s_mov_b32 s26, 0x42800000
	v_add_f32_e64 v3, |v2|, s26
	v_and_b32_e32 v3, 0xff, v3
	v_cmp_ne_u32_e32 vcc, 0, v3
	s_andn2_b64 s[20:21], s[20:21], exec
	s_and_b64 s[28:29], vcc, exec
	s_mov_b32 s26, 0
	s_or_b64 s[20:21], s[20:21], s[28:29]
	s_or_b64 exec, exec, s[24:25]
	v_mov_b32_e32 v6, s26
	s_and_saveexec_b64 s[24:25], s[20:21]
	s_cbranch_execnz .LBB54_69
	s_branch .LBB54_70
.LBB54_285:
	s_mov_b64 s[20:21], -1
                                        ; implicit-def: $vgpr2_vgpr3
	s_mov_b64 s[0:1], 0
.LBB54_286:
	s_and_b64 vcc, exec, s[22:23]
	s_cbranch_vccz .LBB54_402
; %bb.287:
	v_cmp_eq_u16_e32 vcc, 44, v11
	s_cbranch_vccz .LBB54_401
; %bb.288:
	global_load_ubyte v4, v[0:1], off
	s_movk_i32 s20, 0xff
	v_mov_b32_e32 v5, 0x7ff80000
	v_bfrev_b32_e32 v6, 28
	s_mov_b64 s[0:1], -1
	s_waitcnt vmcnt(0)
	v_lshlrev_b32_e32 v2, 23, v4
	v_cvt_f64_f32_e32 v[2:3], v2
	v_cmp_ne_u32_e32 vcc, s20, v4
	v_cndmask_b32_e32 v2, v5, v3, vcc
	v_cmp_ne_u32_e32 vcc, 0, v4
	v_cndmask_b32_e32 v3, v6, v2, vcc
	s_mov_b64 s[20:21], 0
	s_branch .LBB54_402
.LBB54_289:
	s_mov_b64 s[26:27], -1
	s_mov_b64 s[22:23], 0
	s_mov_b64 s[0:1], s[14:15]
.LBB54_290:
	s_and_b64 vcc, exec, s[26:27]
	s_cbranch_vccz .LBB54_295
; %bb.291:
	v_mov_b32_e32 v2, 44
	v_cmp_eq_u16_sdwa s[26:27], s33, v2 src0_sel:BYTE_0 src1_sel:DWORD
	s_mov_b64 s[0:1], -1
	s_and_b64 vcc, exec, s[26:27]
	s_cbranch_vccz .LBB54_295
; %bb.292:
	v_cvt_f32_f64_e32 v2, v[0:1]
	v_bfe_u32 v3, v2, 23, 8
	s_movk_i32 s0, 0xff
	v_cmp_ne_u32_e32 vcc, s0, v3
	v_mov_b32_e32 v6, 0xff
	s_and_saveexec_b64 s[22:23], vcc
; %bb.293:
	s_mov_b32 s0, 0x3fffff
	v_lshrrev_b32_e32 v6, 23, v2
	v_and_b32_e32 v7, 0x400000, v2
	v_and_or_b32 v2, v2, s0, v3
	v_cmp_ne_u32_e32 vcc, 0, v7
	v_cmp_ne_u32_e64 s[0:1], 0, v2
	s_and_b64 s[0:1], vcc, s[0:1]
	v_cndmask_b32_e64 v2, 0, 1, s[0:1]
	v_add_u32_e32 v6, v6, v2
; %bb.294:
	s_or_b64 exec, exec, s[22:23]
	s_mov_b64 s[22:23], -1
	s_mov_b64 s[0:1], 0
	global_store_byte v[4:5], v6, off
.LBB54_295:
	s_mov_b64 s[26:27], 0
.LBB54_296:
	s_and_b64 vcc, exec, s[26:27]
	s_cbranch_vccz .LBB54_299
; %bb.297:
	v_mov_b32_e32 v2, 29
	v_cmp_eq_u16_sdwa s[26:27], s33, v2 src0_sel:BYTE_0 src1_sel:DWORD
	s_mov_b64 s[0:1], -1
	s_and_b64 vcc, exec, s[26:27]
	s_cbranch_vccz .LBB54_299
; %bb.298:
	v_trunc_f64_e32 v[2:3], v[0:1]
	s_movk_i32 s0, 0xffe0
	v_ldexp_f64 v[6:7], v[2:3], s0
	v_floor_f64_e32 v[6:7], v[6:7]
	v_fmac_f64_e32 v[2:3], 0xc1f00000, v[6:7]
	v_cvt_u32_f64_e32 v9, v[6:7]
	v_cvt_u32_f64_e32 v8, v[2:3]
	global_store_dwordx2 v[4:5], v[8:9], off
	s_mov_b64 s[22:23], -1
	s_mov_b64 s[0:1], 0
.LBB54_299:
	s_mov_b64 s[26:27], 0
.LBB54_300:
	s_and_b64 vcc, exec, s[26:27]
	s_cbranch_vccz .LBB54_316
; %bb.301:
	v_mov_b32_e32 v2, 27
	v_cmp_lt_i16_sdwa s[26:27], s33, v2 src0_sel:BYTE_0 src1_sel:DWORD
	s_mov_b64 s[22:23], -1
	s_and_b64 vcc, exec, s[26:27]
	s_cbranch_vccnz .LBB54_307
; %bb.302:
	v_cmp_gt_i16_sdwa s[26:27], s33, v2 src0_sel:BYTE_0 src1_sel:DWORD
	s_and_b64 vcc, exec, s[26:27]
	v_cvt_u32_f64_e32 v2, v[0:1]
	s_cbranch_vccz .LBB54_304
; %bb.303:
	s_mov_b64 s[22:23], 0
	global_store_dword v[4:5], v2, off
.LBB54_304:
	s_andn2_b64 vcc, exec, s[22:23]
	s_cbranch_vccnz .LBB54_306
; %bb.305:
	global_store_short v[4:5], v2, off
.LBB54_306:
	s_mov_b64 s[22:23], 0
.LBB54_307:
	s_andn2_b64 vcc, exec, s[22:23]
	s_cbranch_vccnz .LBB54_315
; %bb.308:
	v_cvt_f32_f64_e32 v2, v[0:1]
	v_and_b32_e32 v3, 0x7fffffff, v2
	s_mov_b32 s22, 0x43800000
	v_cmp_gt_u32_e32 vcc, s22, v3
	v_mov_b32_e32 v6, 0x80
	s_and_saveexec_b64 s[22:23], vcc
	s_cbranch_execz .LBB54_314
; %bb.309:
	s_mov_b32 s26, 0x3bffffff
	v_cmp_lt_u32_e32 vcc, s26, v3
	s_mov_b64 s[26:27], 0
                                        ; implicit-def: $vgpr3
	s_and_saveexec_b64 s[28:29], vcc
	s_xor_b64 s[28:29], exec, s[28:29]
	s_cbranch_execz .LBB54_526
; %bb.310:
	v_bfe_u32 v3, v2, 20, 1
	s_mov_b32 s30, 0x487ffff
	v_add3_u32 v3, v2, v3, s30
	s_mov_b64 s[26:27], exec
	v_lshrrev_b32_e32 v3, 20, v3
	s_or_saveexec_b64 s[28:29], s[28:29]
                                        ; implicit-def: $sgpr30
	s_xor_b64 exec, exec, s[28:29]
	s_cbranch_execnz .LBB54_527
.LBB54_311:
	s_or_b64 exec, exec, s[28:29]
	v_mov_b32_e32 v6, s30
	s_and_saveexec_b64 s[28:29], s[26:27]
.LBB54_312:
	v_lshrrev_b32_e32 v2, 24, v2
	s_movk_i32 s26, 0x80
	v_and_or_b32 v6, v2, s26, v3
.LBB54_313:
	s_or_b64 exec, exec, s[28:29]
.LBB54_314:
	s_or_b64 exec, exec, s[22:23]
	global_store_byte v[4:5], v6, off
.LBB54_315:
	s_mov_b64 s[22:23], -1
.LBB54_316:
	s_mov_b64 s[26:27], 0
.LBB54_317:
	s_and_b64 vcc, exec, s[26:27]
	s_cbranch_vccz .LBB54_358
; %bb.318:
	v_mov_b32_e32 v2, 22
	v_cmp_gt_i16_sdwa s[28:29], s33, v2 src0_sel:BYTE_0 src1_sel:DWORD
	s_mov_b64 s[26:27], -1
	s_and_b64 vcc, exec, s[28:29]
	s_cbranch_vccz .LBB54_350
; %bb.319:
	v_mov_b32_e32 v2, 24
	v_cmp_lt_i16_sdwa s[26:27], s33, v2 src0_sel:BYTE_0 src1_sel:DWORD
	s_mov_b64 s[22:23], -1
	s_and_b64 vcc, exec, s[26:27]
	s_cbranch_vccnz .LBB54_339
; %bb.320:
	v_cmp_gt_i16_sdwa s[26:27], s33, v2 src0_sel:BYTE_0 src1_sel:DWORD
	s_and_b64 vcc, exec, s[26:27]
	s_cbranch_vccz .LBB54_328
; %bb.321:
	v_cvt_f32_f64_e32 v2, v[0:1]
	v_and_b32_e32 v3, 0x7fffffff, v2
	s_mov_b32 s22, 0x47800000
	v_cmp_gt_u32_e32 vcc, s22, v3
	v_mov_b32_e32 v6, 0x80
	s_and_saveexec_b64 s[22:23], vcc
	s_cbranch_execz .LBB54_327
; %bb.322:
	s_mov_b32 s26, 0x37ffffff
	v_cmp_lt_u32_e32 vcc, s26, v3
	s_mov_b64 s[26:27], 0
                                        ; implicit-def: $vgpr3
	s_and_saveexec_b64 s[28:29], vcc
	s_xor_b64 s[28:29], exec, s[28:29]
	s_cbranch_execz .LBB54_529
; %bb.323:
	v_bfe_u32 v3, v2, 21, 1
	s_mov_b32 s30, 0x88fffff
	v_add3_u32 v3, v2, v3, s30
	s_mov_b64 s[26:27], exec
	v_lshrrev_b32_e32 v3, 21, v3
	s_or_saveexec_b64 s[28:29], s[28:29]
                                        ; implicit-def: $sgpr30
	s_xor_b64 exec, exec, s[28:29]
	s_cbranch_execnz .LBB54_530
.LBB54_324:
	s_or_b64 exec, exec, s[28:29]
	v_mov_b32_e32 v6, s30
	s_and_saveexec_b64 s[28:29], s[26:27]
.LBB54_325:
	v_lshrrev_b32_e32 v2, 24, v2
	s_movk_i32 s26, 0x80
	v_and_or_b32 v6, v2, s26, v3
.LBB54_326:
	s_or_b64 exec, exec, s[28:29]
.LBB54_327:
	s_or_b64 exec, exec, s[22:23]
	s_mov_b64 s[22:23], 0
	global_store_byte v[4:5], v6, off
.LBB54_328:
	s_and_b64 vcc, exec, s[22:23]
	s_cbranch_vccz .LBB54_338
; %bb.329:
	v_cvt_f32_f64_e32 v2, v[0:1]
	v_and_b32_e32 v6, 0x7fffffff, v2
	s_mov_b32 s22, 0x43f00000
	v_cmp_gt_u32_e32 vcc, s22, v6
                                        ; implicit-def: $vgpr3
	s_and_saveexec_b64 s[22:23], vcc
	s_xor_b64 s[22:23], exec, s[22:23]
	s_cbranch_execz .LBB54_335
; %bb.330:
	s_mov_b32 s26, 0x3c7fffff
	v_cmp_lt_u32_e32 vcc, s26, v6
                                        ; implicit-def: $vgpr3
	s_and_saveexec_b64 s[26:27], vcc
	s_xor_b64 s[26:27], exec, s[26:27]
; %bb.331:
	v_bfe_u32 v3, v2, 20, 1
	s_mov_b32 s28, 0x407ffff
	v_add3_u32 v3, v2, v3, s28
	v_lshrrev_b32_e32 v6, 20, v3
	v_and_b32_e32 v3, 0xff00000, v3
	s_mov_b32 s28, 0x7f00000
	v_mov_b32_e32 v7, 0x7e
	v_cmp_ne_u32_e32 vcc, s28, v3
	v_cndmask_b32_e32 v3, v7, v6, vcc
; %bb.332:
	s_andn2_saveexec_b64 s[26:27], s[26:27]
; %bb.333:
	s_mov_b32 s28, 0x46800000
	v_add_f32_e64 v3, |v2|, s28
; %bb.334:
	s_or_b64 exec, exec, s[26:27]
                                        ; implicit-def: $vgpr6
.LBB54_335:
	s_andn2_saveexec_b64 s[22:23], s[22:23]
; %bb.336:
	s_mov_b32 s26, 0x7f800000
	v_mov_b32_e32 v3, 0x7e
	v_mov_b32_e32 v7, 0x7f
	v_cmp_lt_u32_e32 vcc, s26, v6
	v_cndmask_b32_e32 v3, v3, v7, vcc
; %bb.337:
	s_or_b64 exec, exec, s[22:23]
	v_lshrrev_b32_e32 v2, 24, v2
	s_movk_i32 s22, 0x80
	v_and_or_b32 v2, v2, s22, v3
	global_store_byte v[4:5], v2, off
.LBB54_338:
	s_mov_b64 s[22:23], 0
.LBB54_339:
	s_andn2_b64 vcc, exec, s[22:23]
	s_cbranch_vccnz .LBB54_349
; %bb.340:
	v_cvt_f32_f64_e32 v2, v[0:1]
	v_and_b32_e32 v6, 0x7fffffff, v2
	s_mov_b32 s22, 0x47800000
	v_cmp_gt_u32_e32 vcc, s22, v6
                                        ; implicit-def: $vgpr3
	s_and_saveexec_b64 s[22:23], vcc
	s_xor_b64 s[22:23], exec, s[22:23]
	s_cbranch_execz .LBB54_346
; %bb.341:
	s_mov_b32 s26, 0x387fffff
	v_cmp_lt_u32_e32 vcc, s26, v6
                                        ; implicit-def: $vgpr3
	s_and_saveexec_b64 s[26:27], vcc
	s_xor_b64 s[26:27], exec, s[26:27]
; %bb.342:
	v_bfe_u32 v3, v2, 21, 1
	s_mov_b32 s28, 0x80fffff
	v_add3_u32 v3, v2, v3, s28
	v_lshrrev_b32_e32 v3, 21, v3
; %bb.343:
	s_andn2_saveexec_b64 s[26:27], s[26:27]
; %bb.344:
	s_mov_b32 s28, 0x43000000
	v_add_f32_e64 v3, |v2|, s28
; %bb.345:
	s_or_b64 exec, exec, s[26:27]
                                        ; implicit-def: $vgpr6
.LBB54_346:
	s_andn2_saveexec_b64 s[22:23], s[22:23]
; %bb.347:
	s_mov_b32 s26, 0x7f800000
	v_mov_b32_e32 v3, 0x7c
	v_mov_b32_e32 v7, 0x7f
	v_cmp_lt_u32_e32 vcc, s26, v6
	v_cndmask_b32_e32 v3, v3, v7, vcc
; %bb.348:
	s_or_b64 exec, exec, s[22:23]
	v_lshrrev_b32_e32 v2, 24, v2
	s_movk_i32 s22, 0x80
	v_and_or_b32 v2, v2, s22, v3
	global_store_byte v[4:5], v2, off
.LBB54_349:
	s_mov_b64 s[26:27], 0
	s_mov_b64 s[22:23], -1
.LBB54_350:
	s_andn2_b64 vcc, exec, s[26:27]
	s_cbranch_vccnz .LBB54_358
; %bb.351:
	v_mov_b32_e32 v2, 14
	v_cmp_gt_i16_sdwa s[28:29], s33, v2 src0_sel:BYTE_0 src1_sel:DWORD
	s_mov_b64 s[26:27], -1
	s_and_b64 vcc, exec, s[28:29]
	s_cbranch_vccz .LBB54_355
; %bb.352:
	v_mov_b32_e32 v2, 15
	v_cmp_eq_u16_sdwa s[26:27], s33, v2 src0_sel:BYTE_0 src1_sel:DWORD
	s_mov_b64 s[0:1], -1
	s_and_b64 vcc, exec, s[26:27]
	s_cbranch_vccz .LBB54_354
; %bb.353:
	v_cvt_f32_f64_e32 v2, v[0:1]
	v_bfe_u32 v3, v2, 16, 1
	s_movk_i32 s0, 0x7fff
	v_add3_u32 v3, v2, v3, s0
	v_lshrrev_b32_e32 v3, 16, v3
	v_mov_b32_e32 v6, 0x7fc0
	v_cmp_o_f32_e32 vcc, v2, v2
	v_cndmask_b32_e32 v2, v6, v3, vcc
	global_store_short v[4:5], v2, off
	s_mov_b64 s[22:23], -1
	s_mov_b64 s[0:1], 0
.LBB54_354:
	s_mov_b64 s[26:27], 0
.LBB54_355:
	s_and_b64 vcc, exec, s[26:27]
	s_cbranch_vccz .LBB54_358
; %bb.356:
	v_mov_b32_e32 v2, 11
	v_cmp_eq_u16_sdwa s[26:27], s33, v2 src0_sel:BYTE_0 src1_sel:DWORD
	s_mov_b64 s[0:1], -1
	s_and_b64 vcc, exec, s[26:27]
	s_cbranch_vccz .LBB54_358
; %bb.357:
	v_cmp_neq_f64_e32 vcc, 0, v[0:1]
	s_mov_b64 s[0:1], 0
	v_cndmask_b32_e64 v2, 0, 1, vcc
	s_mov_b64 s[22:23], -1
	global_store_byte v[4:5], v2, off
.LBB54_358:
	s_mov_b64 s[26:27], 0
.LBB54_359:
	s_and_b64 vcc, exec, s[26:27]
	s_cbranch_vccz .LBB54_398
; %bb.360:
	v_mov_b32_e32 v2, 5
	v_cmp_lt_i16_sdwa s[26:27], s33, v2 src0_sel:BYTE_0 src1_sel:DWORD
	s_mov_b64 s[22:23], -1
	s_and_b64 vcc, exec, s[26:27]
	s_cbranch_vccnz .LBB54_381
; %bb.361:
	v_mov_b32_e32 v2, 8
	v_cmp_lt_i16_sdwa s[26:27], s33, v2 src0_sel:BYTE_0 src1_sel:DWORD
	s_and_b64 vcc, exec, s[26:27]
	s_cbranch_vccnz .LBB54_371
; %bb.362:
	v_mov_b32_e32 v2, 9
	v_cmp_lt_i16_sdwa s[26:27], s33, v2 src0_sel:BYTE_0 src1_sel:DWORD
	s_and_b64 vcc, exec, s[26:27]
	s_cbranch_vccnz .LBB54_368
; %bb.363:
	v_cmp_gt_i16_sdwa s[26:27], s33, v2 src0_sel:BYTE_0 src1_sel:DWORD
	s_and_b64 vcc, exec, s[26:27]
	s_cbranch_vccz .LBB54_365
; %bb.364:
	v_mov_b32_e32 v2, 0
	v_mov_b32_e32 v3, v2
	s_mov_b64 s[22:23], 0
	global_store_dwordx4 v[4:5], v[0:3], off
.LBB54_365:
	s_andn2_b64 vcc, exec, s[22:23]
	s_cbranch_vccnz .LBB54_367
; %bb.366:
	v_cvt_f32_f64_e32 v2, v[0:1]
	v_mov_b32_e32 v3, 0
	global_store_dwordx2 v[4:5], v[2:3], off
.LBB54_367:
	s_mov_b64 s[22:23], 0
.LBB54_368:
	s_andn2_b64 vcc, exec, s[22:23]
	s_cbranch_vccnz .LBB54_370
; %bb.369:
	v_cvt_f32_f64_e32 v2, v[0:1]
	v_cvt_f16_f32_e32 v2, v2
	global_store_dword v[4:5], v2, off
.LBB54_370:
	s_mov_b64 s[22:23], 0
.LBB54_371:
	s_andn2_b64 vcc, exec, s[22:23]
	s_cbranch_vccnz .LBB54_380
; %bb.372:
	v_mov_b32_e32 v2, 6
	v_cmp_lt_i16_sdwa s[26:27], s33, v2 src0_sel:BYTE_0 src1_sel:DWORD
	s_mov_b64 s[22:23], -1
	s_and_b64 vcc, exec, s[26:27]
	s_cbranch_vccnz .LBB54_378
; %bb.373:
	v_cmp_gt_i16_sdwa s[26:27], s33, v2 src0_sel:BYTE_0 src1_sel:DWORD
	s_and_b64 vcc, exec, s[26:27]
	s_cbranch_vccz .LBB54_375
; %bb.374:
	s_mov_b64 s[22:23], 0
	global_store_dwordx2 v[4:5], v[0:1], off
.LBB54_375:
	s_andn2_b64 vcc, exec, s[22:23]
	s_cbranch_vccnz .LBB54_377
; %bb.376:
	v_cvt_f32_f64_e32 v2, v[0:1]
	global_store_dword v[4:5], v2, off
.LBB54_377:
	s_mov_b64 s[22:23], 0
.LBB54_378:
	s_andn2_b64 vcc, exec, s[22:23]
	s_cbranch_vccnz .LBB54_380
; %bb.379:
	v_cvt_f32_f64_e32 v2, v[0:1]
	v_cvt_f16_f32_e32 v2, v2
	global_store_short v[4:5], v2, off
.LBB54_380:
	s_mov_b64 s[22:23], 0
.LBB54_381:
	s_andn2_b64 vcc, exec, s[22:23]
	s_cbranch_vccnz .LBB54_397
; %bb.382:
	v_mov_b32_e32 v2, 2
	v_cmp_lt_i16_sdwa s[26:27], s33, v2 src0_sel:BYTE_0 src1_sel:DWORD
	s_mov_b64 s[22:23], -1
	s_and_b64 vcc, exec, s[26:27]
	s_cbranch_vccnz .LBB54_392
; %bb.383:
	v_mov_b32_e32 v2, 3
	v_cmp_lt_i16_sdwa s[26:27], s33, v2 src0_sel:BYTE_0 src1_sel:DWORD
	s_and_b64 vcc, exec, s[26:27]
	s_cbranch_vccnz .LBB54_389
; %bb.384:
	v_cmp_gt_i16_sdwa s[26:27], s33, v2 src0_sel:BYTE_0 src1_sel:DWORD
	s_and_b64 vcc, exec, s[26:27]
	s_cbranch_vccz .LBB54_386
; %bb.385:
	v_trunc_f64_e32 v[2:3], v[0:1]
	s_movk_i32 s22, 0xffe0
	v_ldexp_f64 v[6:7], v[2:3], s22
	v_floor_f64_e32 v[6:7], v[6:7]
	v_fmac_f64_e32 v[2:3], 0xc1f00000, v[6:7]
	v_cvt_i32_f64_e32 v9, v[6:7]
	v_cvt_u32_f64_e32 v8, v[2:3]
	s_mov_b64 s[22:23], 0
	global_store_dwordx2 v[4:5], v[8:9], off
.LBB54_386:
	s_andn2_b64 vcc, exec, s[22:23]
	s_cbranch_vccnz .LBB54_388
; %bb.387:
	v_cvt_i32_f64_e32 v2, v[0:1]
	global_store_dword v[4:5], v2, off
.LBB54_388:
	s_mov_b64 s[22:23], 0
.LBB54_389:
	s_andn2_b64 vcc, exec, s[22:23]
	s_cbranch_vccnz .LBB54_391
; %bb.390:
	v_cvt_i32_f64_e32 v2, v[0:1]
	global_store_short v[4:5], v2, off
.LBB54_391:
	s_mov_b64 s[22:23], 0
.LBB54_392:
	s_andn2_b64 vcc, exec, s[22:23]
	s_cbranch_vccnz .LBB54_397
; %bb.393:
	v_mov_b32_e32 v2, 0
	v_cmp_gt_i16_sdwa s[26:27], s33, v2 src0_sel:BYTE_0 src1_sel:DWORD
	s_mov_b64 s[22:23], -1
	s_and_b64 vcc, exec, s[26:27]
	s_cbranch_vccz .LBB54_395
; %bb.394:
	v_cvt_i32_f64_e32 v2, v[0:1]
	s_mov_b64 s[22:23], 0
	global_store_byte v[4:5], v2, off
.LBB54_395:
	s_andn2_b64 vcc, exec, s[22:23]
	s_cbranch_vccnz .LBB54_397
; %bb.396:
	v_trunc_f64_e32 v[0:1], v[0:1]
	s_movk_i32 s22, 0xffe0
	v_ldexp_f64 v[2:3], v[0:1], s22
	v_floor_f64_e32 v[2:3], v[2:3]
	v_fmac_f64_e32 v[0:1], 0xc1f00000, v[2:3]
	v_cvt_u32_f64_e32 v0, v[0:1]
	global_store_byte v[4:5], v0, off
.LBB54_397:
	s_mov_b64 s[22:23], -1
.LBB54_398:
	s_andn2_b64 vcc, exec, s[22:23]
	s_cbranch_vccnz .LBB54_400
; %bb.399:
	v_add_u32_e32 v10, 0x80, v10
	s_mov_b64 s[26:27], -1
	s_branch .LBB54_512
.LBB54_400:
	s_mov_b64 s[26:27], 0
                                        ; implicit-def: $vgpr10
	s_branch .LBB54_512
.LBB54_401:
	s_mov_b64 s[20:21], -1
                                        ; implicit-def: $vgpr2_vgpr3
.LBB54_402:
	s_mov_b64 s[22:23], 0
.LBB54_403:
	s_and_b64 vcc, exec, s[22:23]
	s_cbranch_vccz .LBB54_407
; %bb.404:
	v_cmp_eq_u16_e32 vcc, 29, v11
	s_cbranch_vccz .LBB54_406
; %bb.405:
	global_load_dwordx2 v[2:3], v[0:1], off
	s_mov_b64 s[0:1], -1
	s_mov_b64 s[20:21], 0
	s_mov_b64 s[22:23], 0
	s_waitcnt vmcnt(0)
	v_cvt_f64_u32_e32 v[4:5], v3
	v_cvt_f64_u32_e32 v[2:3], v2
	v_ldexp_f64 v[4:5], v[4:5], 32
	v_add_f64 v[2:3], v[4:5], v[2:3]
	s_branch .LBB54_408
.LBB54_406:
	s_mov_b64 s[20:21], -1
                                        ; implicit-def: $vgpr2_vgpr3
.LBB54_407:
	s_mov_b64 s[22:23], 0
.LBB54_408:
	s_and_b64 vcc, exec, s[22:23]
	s_cbranch_vccz .LBB54_426
; %bb.409:
	v_cmp_gt_i16_e32 vcc, 27, v11
	s_cbranch_vccnz .LBB54_412
; %bb.410:
	v_cmp_lt_i16_e32 vcc, 27, v11
	s_cbranch_vccz .LBB54_413
; %bb.411:
	global_load_dword v2, v[0:1], off
	s_mov_b64 s[0:1], 0
	s_waitcnt vmcnt(0)
	v_cvt_f64_u32_e32 v[2:3], v2
	s_branch .LBB54_414
.LBB54_412:
	s_mov_b64 s[0:1], -1
                                        ; implicit-def: $vgpr2_vgpr3
	s_branch .LBB54_417
.LBB54_413:
	s_mov_b64 s[0:1], -1
                                        ; implicit-def: $vgpr2_vgpr3
.LBB54_414:
	s_andn2_b64 vcc, exec, s[0:1]
	s_cbranch_vccnz .LBB54_416
; %bb.415:
	global_load_ushort v2, v[0:1], off
	s_waitcnt vmcnt(0)
	v_cvt_f64_u32_e32 v[2:3], v2
.LBB54_416:
	s_mov_b64 s[0:1], 0
.LBB54_417:
	s_andn2_b64 vcc, exec, s[0:1]
	s_cbranch_vccnz .LBB54_425
; %bb.418:
	global_load_ubyte v4, v[0:1], off
	s_movk_i32 s0, 0x7f
                                        ; implicit-def: $sgpr22_sgpr23
	s_waitcnt vmcnt(0)
	v_cmp_lt_i16_e32 vcc, s0, v4
	s_mov_b64 s[0:1], 0
	s_and_saveexec_b64 s[26:27], vcc
	s_xor_b64 s[26:27], exec, s[26:27]
	s_cbranch_execz .LBB54_439
; %bb.419:
	s_movk_i32 s0, 0x80
	v_cmp_eq_u16_e32 vcc, s0, v4
	s_mov_b64 s[28:29], -1
                                        ; implicit-def: $sgpr22_sgpr23
	s_and_saveexec_b64 s[0:1], vcc
; %bb.420:
	s_mov_b32 s23, 0x7ff80000
	s_brev_b32 s22, 4
	s_xor_b64 s[28:29], exec, -1
; %bb.421:
	s_or_b64 exec, exec, s[0:1]
	s_and_b64 s[0:1], s[28:29], exec
	s_or_saveexec_b64 s[26:27], s[26:27]
	v_pk_mov_b32 v[2:3], s[22:23], s[22:23] op_sel:[0,1]
	s_xor_b64 exec, exec, s[26:27]
	s_cbranch_execnz .LBB54_440
.LBB54_422:
	s_or_b64 exec, exec, s[26:27]
	s_and_saveexec_b64 s[22:23], s[0:1]
	s_cbranch_execz .LBB54_424
.LBB54_423:
	v_and_b32_e32 v3, 0xffff, v4
	v_lshlrev_b32_e32 v2, 24, v4
	v_and_b32_e32 v4, 7, v3
	v_ffbh_u32_e32 v6, v4
	v_min_u32_e32 v6, 32, v6
	v_subrev_u32_e32 v7, 28, v6
	v_bfe_u32 v5, v3, 3, 4
	v_lshlrev_b32_e32 v3, v7, v3
	v_sub_u32_e32 v6, 29, v6
	v_and_b32_e32 v3, 7, v3
	v_cmp_eq_u32_e32 vcc, 0, v5
	v_cndmask_b32_e32 v5, v5, v6, vcc
	v_cndmask_b32_e32 v3, v4, v3, vcc
	v_mov_b32_e32 v4, 0x3b800000
	v_lshlrev_b32_e32 v3, 20, v3
	v_and_b32_e32 v2, 0x80000000, v2
	v_lshl_add_u32 v4, v5, 23, v4
	v_or3_b32 v2, v2, v4, v3
	v_cvt_f64_f32_e32 v[2:3], v2
.LBB54_424:
	s_or_b64 exec, exec, s[22:23]
.LBB54_425:
	s_mov_b64 s[0:1], -1
.LBB54_426:
	s_mov_b64 s[22:23], 0
.LBB54_427:
	s_and_b64 vcc, exec, s[22:23]
	s_cbranch_vccz .LBB54_462
; %bb.428:
	v_cmp_lt_i16_e32 vcc, 22, v11
	s_cbranch_vccz .LBB54_438
; %bb.429:
	v_cmp_gt_i16_e32 vcc, 24, v11
	s_cbranch_vccnz .LBB54_441
; %bb.430:
	v_cmp_lt_i16_e32 vcc, 24, v11
	s_cbranch_vccz .LBB54_442
; %bb.431:
	global_load_ubyte v4, v[0:1], off
	s_movk_i32 s0, 0x7f
                                        ; implicit-def: $sgpr22_sgpr23
	s_waitcnt vmcnt(0)
	v_cmp_lt_i16_e32 vcc, s0, v4
	s_mov_b64 s[0:1], 0
	s_and_saveexec_b64 s[26:27], vcc
	s_xor_b64 s[26:27], exec, s[26:27]
	s_cbranch_execz .LBB54_454
; %bb.432:
	s_movk_i32 s0, 0x80
	v_cmp_eq_u16_e32 vcc, s0, v4
	s_mov_b64 s[28:29], -1
                                        ; implicit-def: $sgpr22_sgpr23
	s_and_saveexec_b64 s[0:1], vcc
; %bb.433:
	s_mov_b32 s23, 0x7ff80000
	s_brev_b32 s22, 4
	s_xor_b64 s[28:29], exec, -1
; %bb.434:
	s_or_b64 exec, exec, s[0:1]
	s_and_b64 s[0:1], s[28:29], exec
	s_or_saveexec_b64 s[26:27], s[26:27]
	v_pk_mov_b32 v[2:3], s[22:23], s[22:23] op_sel:[0,1]
	s_xor_b64 exec, exec, s[26:27]
	s_cbranch_execnz .LBB54_455
.LBB54_435:
	s_or_b64 exec, exec, s[26:27]
	s_and_saveexec_b64 s[22:23], s[0:1]
	s_cbranch_execz .LBB54_437
.LBB54_436:
	v_and_b32_e32 v3, 0xffff, v4
	v_lshlrev_b32_e32 v2, 24, v4
	v_and_b32_e32 v4, 3, v3
	v_ffbh_u32_e32 v6, v4
	v_min_u32_e32 v6, 32, v6
	v_subrev_u32_e32 v7, 29, v6
	v_bfe_u32 v5, v3, 2, 5
	v_lshlrev_b32_e32 v3, v7, v3
	v_sub_u32_e32 v6, 30, v6
	v_and_b32_e32 v3, 3, v3
	v_cmp_eq_u32_e32 vcc, 0, v5
	v_cndmask_b32_e32 v5, v5, v6, vcc
	v_cndmask_b32_e32 v3, v4, v3, vcc
	v_mov_b32_e32 v4, 0x37800000
	v_lshlrev_b32_e32 v3, 21, v3
	v_and_b32_e32 v2, 0x80000000, v2
	v_lshl_add_u32 v4, v5, 23, v4
	v_or3_b32 v2, v2, v4, v3
	v_cvt_f64_f32_e32 v[2:3], v2
.LBB54_437:
	s_or_b64 exec, exec, s[22:23]
	s_mov_b64 s[0:1], 0
	s_branch .LBB54_443
.LBB54_438:
	s_mov_b64 s[22:23], -1
                                        ; implicit-def: $vgpr2_vgpr3
	s_branch .LBB54_449
.LBB54_439:
	s_or_saveexec_b64 s[26:27], s[26:27]
	v_pk_mov_b32 v[2:3], s[22:23], s[22:23] op_sel:[0,1]
	s_xor_b64 exec, exec, s[26:27]
	s_cbranch_execz .LBB54_422
.LBB54_440:
	v_cmp_ne_u16_e32 vcc, 0, v4
	s_andn2_b64 s[0:1], s[0:1], exec
	s_and_b64 s[22:23], vcc, exec
	v_pk_mov_b32 v[2:3], 0, 0
	s_or_b64 s[0:1], s[0:1], s[22:23]
	s_or_b64 exec, exec, s[26:27]
	s_and_saveexec_b64 s[22:23], s[0:1]
	s_cbranch_execnz .LBB54_423
	s_branch .LBB54_424
.LBB54_441:
	s_mov_b64 s[0:1], -1
                                        ; implicit-def: $vgpr2_vgpr3
	s_branch .LBB54_446
.LBB54_442:
	s_mov_b64 s[0:1], -1
                                        ; implicit-def: $vgpr2_vgpr3
.LBB54_443:
	s_and_b64 vcc, exec, s[0:1]
	s_cbranch_vccz .LBB54_445
; %bb.444:
	global_load_ubyte v2, v[0:1], off
	s_mov_b32 s0, 0x7f800000
	s_waitcnt vmcnt(0)
	v_lshlrev_b32_e32 v2, 24, v2
	v_and_b32_e32 v3, 0x7f000000, v2
	v_ffbh_u32_e32 v4, v3
	v_min_u32_e32 v4, 32, v4
	v_sub_u32_e64 v4, v4, 4 clamp
	v_lshlrev_b32_e32 v6, v4, v3
	v_lshlrev_b32_e32 v4, 23, v4
	v_lshrrev_b32_e32 v6, 4, v6
	v_add_u32_e32 v5, 0x1000000, v3
	v_sub_u32_e32 v4, v6, v4
	v_ashrrev_i32_e32 v5, 8, v5
	v_add_u32_e32 v4, 0x3c000000, v4
	v_and_or_b32 v4, v5, s0, v4
	v_cmp_ne_u32_e32 vcc, 0, v3
	v_cndmask_b32_e32 v3, 0, v4, vcc
	s_brev_b32 s0, 1
	v_and_or_b32 v2, v2, s0, v3
	v_cvt_f64_f32_e32 v[2:3], v2
.LBB54_445:
	s_mov_b64 s[0:1], 0
.LBB54_446:
	s_andn2_b64 vcc, exec, s[0:1]
	s_cbranch_vccnz .LBB54_448
; %bb.447:
	global_load_ubyte v2, v[0:1], off
	s_movk_i32 s0, 0x7f00
	s_brev_b32 s1, 16
	s_waitcnt vmcnt(0)
	v_lshlrev_b16_e32 v3, 8, v2
	v_lshlrev_b32_e32 v2, 25, v2
	v_lshrrev_b32_e32 v4, 4, v2
	v_and_or_b32 v5, v3, s0, 0.5
	v_or_b32_e32 v4, 0x70000000, v4
	v_add_f32_e32 v5, -0.5, v5
	v_mul_f32_e32 v4, 0x7800000, v4
	v_cmp_gt_u32_e32 vcc, s1, v2
	v_bfe_i32 v3, v3, 0, 16
	v_cndmask_b32_e32 v2, v4, v5, vcc
	s_brev_b32 s0, 1
	v_and_or_b32 v2, v3, s0, v2
	v_cvt_f64_f32_e32 v[2:3], v2
.LBB54_448:
	s_mov_b64 s[22:23], 0
	s_mov_b64 s[0:1], -1
.LBB54_449:
	s_andn2_b64 vcc, exec, s[22:23]
	s_cbranch_vccnz .LBB54_462
; %bb.450:
	v_cmp_lt_i16_e32 vcc, 14, v11
	s_cbranch_vccz .LBB54_453
; %bb.451:
	v_cmp_eq_u16_e32 vcc, 15, v11
	s_cbranch_vccz .LBB54_456
; %bb.452:
	global_load_ushort v2, v[0:1], off
	s_mov_b64 s[0:1], -1
	s_mov_b64 s[20:21], 0
	s_waitcnt vmcnt(0)
	v_lshlrev_b32_e32 v2, 16, v2
	v_cvt_f64_f32_e32 v[2:3], v2
	s_branch .LBB54_457
.LBB54_453:
	s_mov_b64 s[22:23], -1
                                        ; implicit-def: $vgpr2_vgpr3
	s_branch .LBB54_458
.LBB54_454:
	s_or_saveexec_b64 s[26:27], s[26:27]
	v_pk_mov_b32 v[2:3], s[22:23], s[22:23] op_sel:[0,1]
	s_xor_b64 exec, exec, s[26:27]
	s_cbranch_execz .LBB54_435
.LBB54_455:
	v_cmp_ne_u16_e32 vcc, 0, v4
	s_andn2_b64 s[0:1], s[0:1], exec
	s_and_b64 s[22:23], vcc, exec
	v_pk_mov_b32 v[2:3], 0, 0
	s_or_b64 s[0:1], s[0:1], s[22:23]
	s_or_b64 exec, exec, s[26:27]
	s_and_saveexec_b64 s[22:23], s[0:1]
	s_cbranch_execnz .LBB54_436
	s_branch .LBB54_437
.LBB54_456:
	s_mov_b64 s[20:21], -1
                                        ; implicit-def: $vgpr2_vgpr3
.LBB54_457:
	s_mov_b64 s[22:23], 0
.LBB54_458:
	s_and_b64 vcc, exec, s[22:23]
	s_cbranch_vccz .LBB54_462
; %bb.459:
	v_cmp_eq_u16_e32 vcc, 11, v11
	s_cbranch_vccz .LBB54_461
; %bb.460:
	global_load_ubyte v2, v[0:1], off
	v_mov_b32_e32 v3, 0x3ff00000
	s_mov_b64 s[0:1], -1
	s_mov_b64 s[20:21], 0
	s_waitcnt vmcnt(0)
	v_cmp_ne_u16_e32 vcc, 0, v2
	v_cndmask_b32_e32 v3, 0, v3, vcc
	s_branch .LBB54_462
.LBB54_461:
	s_mov_b64 s[20:21], -1
                                        ; implicit-def: $vgpr2_vgpr3
.LBB54_462:
	s_branch .LBB54_265
.LBB54_463:
	v_cmp_gt_i16_e32 vcc, 5, v11
	s_cbranch_vccnz .LBB54_468
; %bb.464:
	v_cmp_gt_i16_e32 vcc, 8, v11
	s_cbranch_vccnz .LBB54_469
; %bb.465:
	;; [unrolled: 3-line block ×3, first 2 shown]
	v_cmp_lt_i16_e32 vcc, 9, v11
	s_cbranch_vccz .LBB54_471
; %bb.467:
	global_load_dwordx2 v[2:3], v[0:1], off
	s_mov_b64 s[0:1], 0
	s_branch .LBB54_472
.LBB54_468:
	s_mov_b64 s[0:1], -1
                                        ; implicit-def: $vgpr2_vgpr3
	s_branch .LBB54_490
.LBB54_469:
	s_mov_b64 s[0:1], -1
                                        ; implicit-def: $vgpr2_vgpr3
	s_branch .LBB54_478
.LBB54_470:
	s_mov_b64 s[0:1], -1
                                        ; implicit-def: $vgpr2_vgpr3
	s_branch .LBB54_475
.LBB54_471:
	s_mov_b64 s[0:1], -1
                                        ; implicit-def: $vgpr2_vgpr3
.LBB54_472:
	s_andn2_b64 vcc, exec, s[0:1]
	s_cbranch_vccnz .LBB54_474
; %bb.473:
	global_load_dword v2, v[0:1], off
	s_waitcnt vmcnt(0)
	v_cvt_f64_f32_e32 v[2:3], v2
.LBB54_474:
	s_mov_b64 s[0:1], 0
.LBB54_475:
	s_andn2_b64 vcc, exec, s[0:1]
	s_cbranch_vccnz .LBB54_477
; %bb.476:
	global_load_dword v2, v[0:1], off
	s_waitcnt vmcnt(0)
	v_cvt_f32_f16_e32 v2, v2
	v_cvt_f64_f32_e32 v[2:3], v2
.LBB54_477:
	s_mov_b64 s[0:1], 0
.LBB54_478:
	s_andn2_b64 vcc, exec, s[0:1]
	s_cbranch_vccnz .LBB54_489
; %bb.479:
	v_cmp_gt_i16_e32 vcc, 6, v11
	s_cbranch_vccnz .LBB54_482
; %bb.480:
	v_cmp_lt_i16_e32 vcc, 6, v11
	s_cbranch_vccz .LBB54_483
; %bb.481:
	global_load_dwordx2 v[2:3], v[0:1], off
	s_mov_b64 s[0:1], 0
	s_branch .LBB54_484
.LBB54_482:
	s_mov_b64 s[0:1], -1
                                        ; implicit-def: $vgpr2_vgpr3
	s_branch .LBB54_487
.LBB54_483:
	s_mov_b64 s[0:1], -1
                                        ; implicit-def: $vgpr2_vgpr3
.LBB54_484:
	s_andn2_b64 vcc, exec, s[0:1]
	s_cbranch_vccnz .LBB54_486
; %bb.485:
	global_load_dword v2, v[0:1], off
	s_waitcnt vmcnt(0)
	v_cvt_f64_f32_e32 v[2:3], v2
.LBB54_486:
	s_mov_b64 s[0:1], 0
.LBB54_487:
	s_andn2_b64 vcc, exec, s[0:1]
	s_cbranch_vccnz .LBB54_489
; %bb.488:
	global_load_ushort v2, v[0:1], off
	s_waitcnt vmcnt(0)
	v_cvt_f32_f16_e32 v2, v2
	v_cvt_f64_f32_e32 v[2:3], v2
.LBB54_489:
	s_mov_b64 s[0:1], 0
.LBB54_490:
	s_andn2_b64 vcc, exec, s[0:1]
	s_cbranch_vccnz .LBB54_510
; %bb.491:
	v_cmp_gt_i16_e32 vcc, 2, v11
	s_cbranch_vccnz .LBB54_495
; %bb.492:
	v_cmp_gt_i16_e32 vcc, 3, v11
	s_cbranch_vccnz .LBB54_496
; %bb.493:
	v_cmp_lt_i16_e32 vcc, 3, v11
	s_cbranch_vccz .LBB54_497
; %bb.494:
	global_load_dwordx2 v[2:3], v[0:1], off
	s_mov_b64 s[0:1], 0
	s_waitcnt vmcnt(0)
	v_cvt_f64_i32_e32 v[4:5], v3
	v_cvt_f64_u32_e32 v[2:3], v2
	v_ldexp_f64 v[4:5], v[4:5], 32
	v_add_f64 v[2:3], v[4:5], v[2:3]
	s_branch .LBB54_498
.LBB54_495:
	s_mov_b64 s[0:1], -1
                                        ; implicit-def: $vgpr2_vgpr3
	s_branch .LBB54_504
.LBB54_496:
	s_mov_b64 s[0:1], -1
                                        ; implicit-def: $vgpr2_vgpr3
	s_branch .LBB54_501
.LBB54_497:
	s_mov_b64 s[0:1], -1
                                        ; implicit-def: $vgpr2_vgpr3
.LBB54_498:
	s_andn2_b64 vcc, exec, s[0:1]
	s_cbranch_vccnz .LBB54_500
; %bb.499:
	global_load_dword v2, v[0:1], off
	s_waitcnt vmcnt(0)
	v_cvt_f64_i32_e32 v[2:3], v2
.LBB54_500:
	s_mov_b64 s[0:1], 0
.LBB54_501:
	s_andn2_b64 vcc, exec, s[0:1]
	s_cbranch_vccnz .LBB54_503
; %bb.502:
	global_load_sshort v2, v[0:1], off
	s_waitcnt vmcnt(0)
	v_cvt_f64_i32_e32 v[2:3], v2
.LBB54_503:
	s_mov_b64 s[0:1], 0
.LBB54_504:
	s_andn2_b64 vcc, exec, s[0:1]
	s_cbranch_vccnz .LBB54_510
; %bb.505:
	v_cmp_lt_i16_e32 vcc, 0, v11
	s_cbranch_vccz .LBB54_507
; %bb.506:
	global_load_sbyte v2, v[0:1], off
	s_mov_b64 s[0:1], 0
	s_waitcnt vmcnt(0)
	v_cvt_f64_i32_e32 v[2:3], v2
	s_branch .LBB54_508
.LBB54_507:
	s_mov_b64 s[0:1], -1
                                        ; implicit-def: $vgpr2_vgpr3
.LBB54_508:
	s_andn2_b64 vcc, exec, s[0:1]
	s_cbranch_vccnz .LBB54_510
; %bb.509:
	global_load_ubyte v0, v[0:1], off
	s_waitcnt vmcnt(0)
	v_cvt_f64_u32_e32 v[2:3], v0
.LBB54_510:
	s_branch .LBB54_266
.LBB54_511:
	s_mov_b64 s[26:27], 0
                                        ; implicit-def: $vgpr10
	s_mov_b64 s[0:1], s[14:15]
.LBB54_512:
	s_andn2_b64 s[22:23], s[14:15], exec
	s_and_b64 s[0:1], s[0:1], exec
	s_or_b64 s[22:23], s[22:23], s[0:1]
	s_andn2_b64 s[0:1], s[16:17], exec
	s_and_b64 s[20:21], s[20:21], exec
	s_or_b64 s[20:21], s[0:1], s[20:21]
	s_orn2_b64 s[0:1], s[26:27], exec
.LBB54_513:
	s_or_b64 exec, exec, s[24:25]
	s_mov_b64 s[26:27], 0
	s_mov_b64 s[28:29], 0
	s_mov_b64 s[30:31], 0
                                        ; implicit-def: $vgpr0_vgpr1
                                        ; implicit-def: $vgpr2_vgpr3
	s_and_saveexec_b64 s[24:25], s[0:1]
	s_cbranch_execz .LBB54_858
; %bb.514:
	v_cmp_gt_i32_e32 vcc, s40, v10
	s_mov_b64 s[36:37], -1
	s_mov_b64 s[0:1], s[20:21]
	s_mov_b64 s[30:31], s[22:23]
	s_and_saveexec_b64 s[26:27], vcc
	s_cbranch_execz .LBB54_772
; %bb.515:
	v_mul_lo_u32 v0, v10, s13
	v_ashrrev_i32_e32 v1, 31, v0
	s_waitcnt vmcnt(0)
	v_mov_b32_e32 v2, s11
	v_add_co_u32_e32 v0, vcc, s10, v0
	v_addc_co_u32_e32 v1, vcc, v2, v1, vcc
	v_cmp_gt_i16_e32 vcc, 11, v11
	s_cbranch_vccnz .LBB54_522
; %bb.516:
	v_cmp_lt_i16_e32 vcc, 25, v11
	s_cbranch_vccz .LBB54_523
; %bb.517:
	v_cmp_lt_i16_e32 vcc, 28, v11
	s_cbranch_vccz .LBB54_524
	;; [unrolled: 3-line block ×4, first 2 shown]
; %bb.520:
	v_cmp_eq_u16_e32 vcc, 46, v11
	s_mov_b64 s[30:31], 0
	s_cbranch_vccz .LBB54_531
; %bb.521:
	global_load_dword v2, v[0:1], off
	s_mov_b64 s[0:1], -1
	s_waitcnt vmcnt(0)
	v_lshlrev_b32_e32 v2, 16, v2
	v_cvt_f64_f32_e32 v[2:3], v2
	s_branch .LBB54_532
.LBB54_522:
	s_mov_b64 s[30:31], -1
	s_mov_b64 s[0:1], 0
                                        ; implicit-def: $vgpr2_vgpr3
	s_mov_b64 s[28:29], s[20:21]
	s_branch .LBB54_597
.LBB54_523:
	s_mov_b64 s[30:31], -1
	s_mov_b64 s[0:1], 0
	s_mov_b64 s[28:29], s[20:21]
                                        ; implicit-def: $vgpr2_vgpr3
	s_branch .LBB54_561
.LBB54_524:
	s_mov_b64 s[30:31], -1
	s_mov_b64 s[0:1], 0
	s_mov_b64 s[28:29], s[20:21]
                                        ; implicit-def: $vgpr2_vgpr3
	s_branch .LBB54_542
.LBB54_525:
	s_mov_b64 s[30:31], -1
	s_mov_b64 s[0:1], 0
	s_mov_b64 s[28:29], s[20:21]
                                        ; implicit-def: $vgpr2_vgpr3
	s_branch .LBB54_537
.LBB54_526:
	s_or_saveexec_b64 s[28:29], s[28:29]
                                        ; implicit-def: $sgpr30
	s_xor_b64 exec, exec, s[28:29]
	s_cbranch_execz .LBB54_311
.LBB54_527:
	s_mov_b32 s30, 0x46000000
	v_add_f32_e64 v3, |v2|, s30
	v_and_b32_e32 v3, 0xff, v3
	v_cmp_ne_u32_e32 vcc, 0, v3
	s_andn2_b64 s[26:27], s[26:27], exec
	s_and_b64 s[34:35], vcc, exec
	s_mov_b32 s30, 0
	s_or_b64 s[26:27], s[26:27], s[34:35]
	s_or_b64 exec, exec, s[28:29]
	v_mov_b32_e32 v6, s30
	s_and_saveexec_b64 s[28:29], s[26:27]
	s_cbranch_execnz .LBB54_312
	s_branch .LBB54_313
.LBB54_528:
	s_mov_b64 s[30:31], -1
	s_mov_b64 s[0:1], 0
	s_mov_b64 s[28:29], s[20:21]
                                        ; implicit-def: $vgpr2_vgpr3
	s_branch .LBB54_532
.LBB54_529:
	s_or_saveexec_b64 s[28:29], s[28:29]
                                        ; implicit-def: $sgpr30
	s_xor_b64 exec, exec, s[28:29]
	s_cbranch_execz .LBB54_324
.LBB54_530:
	s_mov_b32 s30, 0x42800000
	v_add_f32_e64 v3, |v2|, s30
	v_and_b32_e32 v3, 0xff, v3
	v_cmp_ne_u32_e32 vcc, 0, v3
	s_andn2_b64 s[26:27], s[26:27], exec
	s_and_b64 s[34:35], vcc, exec
	s_mov_b32 s30, 0
	s_or_b64 s[26:27], s[26:27], s[34:35]
	s_or_b64 exec, exec, s[28:29]
	v_mov_b32_e32 v6, s30
	s_and_saveexec_b64 s[28:29], s[26:27]
	s_cbranch_execnz .LBB54_325
	s_branch .LBB54_326
.LBB54_531:
	s_mov_b64 s[28:29], -1
                                        ; implicit-def: $vgpr2_vgpr3
	s_mov_b64 s[0:1], 0
.LBB54_532:
	s_and_b64 vcc, exec, s[30:31]
	s_cbranch_vccz .LBB54_536
; %bb.533:
	v_cmp_eq_u16_e32 vcc, 44, v11
	s_cbranch_vccz .LBB54_535
; %bb.534:
	global_load_ubyte v4, v[0:1], off
	s_movk_i32 s28, 0xff
	v_mov_b32_e32 v5, 0x7ff80000
	v_bfrev_b32_e32 v6, 28
	s_mov_b64 s[0:1], -1
	s_waitcnt vmcnt(0)
	v_lshlrev_b32_e32 v2, 23, v4
	v_cvt_f64_f32_e32 v[2:3], v2
	v_cmp_ne_u32_e32 vcc, s28, v4
	v_cndmask_b32_e32 v2, v5, v3, vcc
	v_cmp_ne_u32_e32 vcc, 0, v4
	v_cndmask_b32_e32 v3, v6, v2, vcc
	s_mov_b64 s[28:29], 0
	s_branch .LBB54_536
.LBB54_535:
	s_mov_b64 s[28:29], -1
                                        ; implicit-def: $vgpr2_vgpr3
.LBB54_536:
	s_mov_b64 s[30:31], 0
.LBB54_537:
	s_and_b64 vcc, exec, s[30:31]
	s_cbranch_vccz .LBB54_541
; %bb.538:
	v_cmp_eq_u16_e32 vcc, 29, v11
	s_cbranch_vccz .LBB54_540
; %bb.539:
	global_load_dwordx2 v[2:3], v[0:1], off
	s_mov_b64 s[0:1], -1
	s_mov_b64 s[28:29], 0
	s_mov_b64 s[30:31], 0
	s_waitcnt vmcnt(0)
	v_cvt_f64_u32_e32 v[4:5], v3
	v_cvt_f64_u32_e32 v[2:3], v2
	v_ldexp_f64 v[4:5], v[4:5], 32
	v_add_f64 v[2:3], v[4:5], v[2:3]
	s_branch .LBB54_542
.LBB54_540:
	s_mov_b64 s[28:29], -1
                                        ; implicit-def: $vgpr2_vgpr3
.LBB54_541:
	s_mov_b64 s[30:31], 0
.LBB54_542:
	s_and_b64 vcc, exec, s[30:31]
	s_cbranch_vccz .LBB54_560
; %bb.543:
	v_cmp_gt_i16_e32 vcc, 27, v11
	s_cbranch_vccnz .LBB54_546
; %bb.544:
	v_cmp_lt_i16_e32 vcc, 27, v11
	s_cbranch_vccz .LBB54_547
; %bb.545:
	global_load_dword v2, v[0:1], off
	s_mov_b64 s[0:1], 0
	s_waitcnt vmcnt(0)
	v_cvt_f64_u32_e32 v[2:3], v2
	s_branch .LBB54_548
.LBB54_546:
	s_mov_b64 s[0:1], -1
                                        ; implicit-def: $vgpr2_vgpr3
	s_branch .LBB54_551
.LBB54_547:
	s_mov_b64 s[0:1], -1
                                        ; implicit-def: $vgpr2_vgpr3
.LBB54_548:
	s_andn2_b64 vcc, exec, s[0:1]
	s_cbranch_vccnz .LBB54_550
; %bb.549:
	global_load_ushort v2, v[0:1], off
	s_waitcnt vmcnt(0)
	v_cvt_f64_u32_e32 v[2:3], v2
.LBB54_550:
	s_mov_b64 s[0:1], 0
.LBB54_551:
	s_andn2_b64 vcc, exec, s[0:1]
	s_cbranch_vccnz .LBB54_559
; %bb.552:
	global_load_ubyte v4, v[0:1], off
	s_movk_i32 s0, 0x7f
                                        ; implicit-def: $sgpr30_sgpr31
	s_waitcnt vmcnt(0)
	v_cmp_lt_i16_e32 vcc, s0, v4
	s_mov_b64 s[0:1], 0
	s_and_saveexec_b64 s[34:35], vcc
	s_xor_b64 s[34:35], exec, s[34:35]
	s_cbranch_execz .LBB54_573
; %bb.553:
	s_movk_i32 s0, 0x80
	v_cmp_eq_u16_e32 vcc, s0, v4
                                        ; implicit-def: $sgpr30_sgpr31
	s_and_saveexec_b64 s[0:1], vcc
; %bb.554:
	s_mov_b32 s31, 0x7ff80000
	s_brev_b32 s30, 4
	s_xor_b64 s[36:37], exec, -1
; %bb.555:
	s_or_b64 exec, exec, s[0:1]
	s_and_b64 s[0:1], s[36:37], exec
	s_or_saveexec_b64 s[34:35], s[34:35]
	v_pk_mov_b32 v[2:3], s[30:31], s[30:31] op_sel:[0,1]
	s_xor_b64 exec, exec, s[34:35]
	s_cbranch_execnz .LBB54_574
.LBB54_556:
	s_or_b64 exec, exec, s[34:35]
	s_and_saveexec_b64 s[30:31], s[0:1]
	s_cbranch_execz .LBB54_558
.LBB54_557:
	v_and_b32_e32 v3, 0xffff, v4
	v_lshlrev_b32_e32 v2, 24, v4
	v_and_b32_e32 v4, 7, v3
	v_ffbh_u32_e32 v6, v4
	v_min_u32_e32 v6, 32, v6
	v_subrev_u32_e32 v7, 28, v6
	v_bfe_u32 v5, v3, 3, 4
	v_lshlrev_b32_e32 v3, v7, v3
	v_sub_u32_e32 v6, 29, v6
	v_and_b32_e32 v3, 7, v3
	v_cmp_eq_u32_e32 vcc, 0, v5
	v_cndmask_b32_e32 v5, v5, v6, vcc
	v_cndmask_b32_e32 v3, v4, v3, vcc
	v_mov_b32_e32 v4, 0x3b800000
	v_lshlrev_b32_e32 v3, 20, v3
	v_and_b32_e32 v2, 0x80000000, v2
	v_lshl_add_u32 v4, v5, 23, v4
	v_or3_b32 v2, v2, v4, v3
	v_cvt_f64_f32_e32 v[2:3], v2
.LBB54_558:
	s_or_b64 exec, exec, s[30:31]
.LBB54_559:
	s_mov_b64 s[0:1], -1
.LBB54_560:
	s_mov_b64 s[30:31], 0
.LBB54_561:
	s_and_b64 vcc, exec, s[30:31]
	s_cbranch_vccz .LBB54_596
; %bb.562:
	v_cmp_lt_i16_e32 vcc, 22, v11
	s_cbranch_vccz .LBB54_572
; %bb.563:
	v_cmp_gt_i16_e32 vcc, 24, v11
	s_cbranch_vccnz .LBB54_575
; %bb.564:
	v_cmp_lt_i16_e32 vcc, 24, v11
	s_cbranch_vccz .LBB54_576
; %bb.565:
	global_load_ubyte v4, v[0:1], off
	s_movk_i32 s0, 0x7f
                                        ; implicit-def: $sgpr30_sgpr31
	s_waitcnt vmcnt(0)
	v_cmp_lt_i16_e32 vcc, s0, v4
	s_mov_b64 s[0:1], 0
	s_and_saveexec_b64 s[34:35], vcc
	s_xor_b64 s[34:35], exec, s[34:35]
	s_cbranch_execz .LBB54_588
; %bb.566:
	s_movk_i32 s0, 0x80
	v_cmp_eq_u16_e32 vcc, s0, v4
	s_mov_b64 s[36:37], -1
                                        ; implicit-def: $sgpr30_sgpr31
	s_and_saveexec_b64 s[0:1], vcc
; %bb.567:
	s_mov_b32 s31, 0x7ff80000
	s_brev_b32 s30, 4
	s_xor_b64 s[36:37], exec, -1
; %bb.568:
	s_or_b64 exec, exec, s[0:1]
	s_and_b64 s[0:1], s[36:37], exec
	s_or_saveexec_b64 s[34:35], s[34:35]
	v_pk_mov_b32 v[2:3], s[30:31], s[30:31] op_sel:[0,1]
	s_xor_b64 exec, exec, s[34:35]
	s_cbranch_execnz .LBB54_589
.LBB54_569:
	s_or_b64 exec, exec, s[34:35]
	s_and_saveexec_b64 s[30:31], s[0:1]
	s_cbranch_execz .LBB54_571
.LBB54_570:
	v_and_b32_e32 v3, 0xffff, v4
	v_lshlrev_b32_e32 v2, 24, v4
	v_and_b32_e32 v4, 3, v3
	v_ffbh_u32_e32 v6, v4
	v_min_u32_e32 v6, 32, v6
	v_subrev_u32_e32 v7, 29, v6
	v_bfe_u32 v5, v3, 2, 5
	v_lshlrev_b32_e32 v3, v7, v3
	v_sub_u32_e32 v6, 30, v6
	v_and_b32_e32 v3, 3, v3
	v_cmp_eq_u32_e32 vcc, 0, v5
	v_cndmask_b32_e32 v5, v5, v6, vcc
	v_cndmask_b32_e32 v3, v4, v3, vcc
	v_mov_b32_e32 v4, 0x37800000
	v_lshlrev_b32_e32 v3, 21, v3
	v_and_b32_e32 v2, 0x80000000, v2
	v_lshl_add_u32 v4, v5, 23, v4
	v_or3_b32 v2, v2, v4, v3
	v_cvt_f64_f32_e32 v[2:3], v2
.LBB54_571:
	s_or_b64 exec, exec, s[30:31]
	s_mov_b64 s[0:1], 0
	s_branch .LBB54_577
.LBB54_572:
	s_mov_b64 s[30:31], -1
                                        ; implicit-def: $vgpr2_vgpr3
	s_branch .LBB54_583
.LBB54_573:
	s_or_saveexec_b64 s[34:35], s[34:35]
	v_pk_mov_b32 v[2:3], s[30:31], s[30:31] op_sel:[0,1]
	s_xor_b64 exec, exec, s[34:35]
	s_cbranch_execz .LBB54_556
.LBB54_574:
	v_cmp_ne_u16_e32 vcc, 0, v4
	s_andn2_b64 s[0:1], s[0:1], exec
	s_and_b64 s[30:31], vcc, exec
	v_pk_mov_b32 v[2:3], 0, 0
	s_or_b64 s[0:1], s[0:1], s[30:31]
	s_or_b64 exec, exec, s[34:35]
	s_and_saveexec_b64 s[30:31], s[0:1]
	s_cbranch_execnz .LBB54_557
	s_branch .LBB54_558
.LBB54_575:
	s_mov_b64 s[0:1], -1
                                        ; implicit-def: $vgpr2_vgpr3
	s_branch .LBB54_580
.LBB54_576:
	s_mov_b64 s[0:1], -1
                                        ; implicit-def: $vgpr2_vgpr3
.LBB54_577:
	s_and_b64 vcc, exec, s[0:1]
	s_cbranch_vccz .LBB54_579
; %bb.578:
	global_load_ubyte v2, v[0:1], off
	s_mov_b32 s0, 0x7f800000
	s_waitcnt vmcnt(0)
	v_lshlrev_b32_e32 v2, 24, v2
	v_and_b32_e32 v3, 0x7f000000, v2
	v_ffbh_u32_e32 v4, v3
	v_min_u32_e32 v4, 32, v4
	v_sub_u32_e64 v4, v4, 4 clamp
	v_lshlrev_b32_e32 v6, v4, v3
	v_lshlrev_b32_e32 v4, 23, v4
	v_lshrrev_b32_e32 v6, 4, v6
	v_add_u32_e32 v5, 0x1000000, v3
	v_sub_u32_e32 v4, v6, v4
	v_ashrrev_i32_e32 v5, 8, v5
	v_add_u32_e32 v4, 0x3c000000, v4
	v_and_or_b32 v4, v5, s0, v4
	v_cmp_ne_u32_e32 vcc, 0, v3
	v_cndmask_b32_e32 v3, 0, v4, vcc
	s_brev_b32 s0, 1
	v_and_or_b32 v2, v2, s0, v3
	v_cvt_f64_f32_e32 v[2:3], v2
.LBB54_579:
	s_mov_b64 s[0:1], 0
.LBB54_580:
	s_andn2_b64 vcc, exec, s[0:1]
	s_cbranch_vccnz .LBB54_582
; %bb.581:
	global_load_ubyte v2, v[0:1], off
	s_movk_i32 s0, 0x7f00
	s_brev_b32 s1, 16
	s_waitcnt vmcnt(0)
	v_lshlrev_b16_e32 v3, 8, v2
	v_lshlrev_b32_e32 v2, 25, v2
	v_lshrrev_b32_e32 v4, 4, v2
	v_and_or_b32 v5, v3, s0, 0.5
	v_or_b32_e32 v4, 0x70000000, v4
	v_add_f32_e32 v5, -0.5, v5
	v_mul_f32_e32 v4, 0x7800000, v4
	v_cmp_gt_u32_e32 vcc, s1, v2
	v_bfe_i32 v3, v3, 0, 16
	v_cndmask_b32_e32 v2, v4, v5, vcc
	s_brev_b32 s0, 1
	v_and_or_b32 v2, v3, s0, v2
	v_cvt_f64_f32_e32 v[2:3], v2
.LBB54_582:
	s_mov_b64 s[30:31], 0
	s_mov_b64 s[0:1], -1
.LBB54_583:
	s_andn2_b64 vcc, exec, s[30:31]
	s_cbranch_vccnz .LBB54_596
; %bb.584:
	v_cmp_lt_i16_e32 vcc, 14, v11
	s_cbranch_vccz .LBB54_587
; %bb.585:
	v_cmp_eq_u16_e32 vcc, 15, v11
	s_cbranch_vccz .LBB54_590
; %bb.586:
	global_load_ushort v2, v[0:1], off
	s_mov_b64 s[0:1], -1
	s_mov_b64 s[28:29], 0
	s_waitcnt vmcnt(0)
	v_lshlrev_b32_e32 v2, 16, v2
	v_cvt_f64_f32_e32 v[2:3], v2
	s_branch .LBB54_591
.LBB54_587:
	s_mov_b64 s[30:31], -1
                                        ; implicit-def: $vgpr2_vgpr3
	s_branch .LBB54_592
.LBB54_588:
	s_or_saveexec_b64 s[34:35], s[34:35]
	v_pk_mov_b32 v[2:3], s[30:31], s[30:31] op_sel:[0,1]
	s_xor_b64 exec, exec, s[34:35]
	s_cbranch_execz .LBB54_569
.LBB54_589:
	v_cmp_ne_u16_e32 vcc, 0, v4
	s_andn2_b64 s[0:1], s[0:1], exec
	s_and_b64 s[30:31], vcc, exec
	v_pk_mov_b32 v[2:3], 0, 0
	s_or_b64 s[0:1], s[0:1], s[30:31]
	s_or_b64 exec, exec, s[34:35]
	s_and_saveexec_b64 s[30:31], s[0:1]
	s_cbranch_execnz .LBB54_570
	s_branch .LBB54_571
.LBB54_590:
	s_mov_b64 s[28:29], -1
                                        ; implicit-def: $vgpr2_vgpr3
.LBB54_591:
	s_mov_b64 s[30:31], 0
.LBB54_592:
	s_and_b64 vcc, exec, s[30:31]
	s_cbranch_vccz .LBB54_596
; %bb.593:
	v_cmp_eq_u16_e32 vcc, 11, v11
	s_cbranch_vccz .LBB54_595
; %bb.594:
	global_load_ubyte v2, v[0:1], off
	v_mov_b32_e32 v3, 0x3ff00000
	s_mov_b64 s[0:1], -1
	s_mov_b64 s[28:29], 0
	s_waitcnt vmcnt(0)
	v_cmp_ne_u16_e32 vcc, 0, v2
	v_cndmask_b32_e32 v3, 0, v3, vcc
	s_branch .LBB54_596
.LBB54_595:
	s_mov_b64 s[28:29], -1
                                        ; implicit-def: $vgpr2_vgpr3
.LBB54_596:
	s_mov_b64 s[30:31], 0
.LBB54_597:
	s_and_b64 vcc, exec, s[30:31]
	s_cbranch_vccz .LBB54_646
; %bb.598:
	v_cmp_gt_i16_e32 vcc, 5, v11
	s_cbranch_vccnz .LBB54_603
; %bb.599:
	v_cmp_gt_i16_e32 vcc, 8, v11
	s_cbranch_vccnz .LBB54_604
	;; [unrolled: 3-line block ×3, first 2 shown]
; %bb.601:
	v_cmp_lt_i16_e32 vcc, 9, v11
	s_cbranch_vccz .LBB54_606
; %bb.602:
	global_load_dwordx2 v[2:3], v[0:1], off
	s_mov_b64 s[0:1], 0
	s_branch .LBB54_607
.LBB54_603:
	s_mov_b64 s[0:1], -1
                                        ; implicit-def: $vgpr2_vgpr3
	s_branch .LBB54_625
.LBB54_604:
	s_mov_b64 s[0:1], -1
                                        ; implicit-def: $vgpr2_vgpr3
	s_branch .LBB54_613
.LBB54_605:
	s_mov_b64 s[0:1], -1
                                        ; implicit-def: $vgpr2_vgpr3
	s_branch .LBB54_610
.LBB54_606:
	s_mov_b64 s[0:1], -1
                                        ; implicit-def: $vgpr2_vgpr3
.LBB54_607:
	s_andn2_b64 vcc, exec, s[0:1]
	s_cbranch_vccnz .LBB54_609
; %bb.608:
	global_load_dword v2, v[0:1], off
	s_waitcnt vmcnt(0)
	v_cvt_f64_f32_e32 v[2:3], v2
.LBB54_609:
	s_mov_b64 s[0:1], 0
.LBB54_610:
	s_andn2_b64 vcc, exec, s[0:1]
	s_cbranch_vccnz .LBB54_612
; %bb.611:
	global_load_dword v2, v[0:1], off
	s_waitcnt vmcnt(0)
	v_cvt_f32_f16_e32 v2, v2
	v_cvt_f64_f32_e32 v[2:3], v2
.LBB54_612:
	s_mov_b64 s[0:1], 0
.LBB54_613:
	s_andn2_b64 vcc, exec, s[0:1]
	s_cbranch_vccnz .LBB54_624
; %bb.614:
	v_cmp_gt_i16_e32 vcc, 6, v11
	s_cbranch_vccnz .LBB54_617
; %bb.615:
	v_cmp_lt_i16_e32 vcc, 6, v11
	s_cbranch_vccz .LBB54_618
; %bb.616:
	global_load_dwordx2 v[2:3], v[0:1], off
	s_mov_b64 s[0:1], 0
	s_branch .LBB54_619
.LBB54_617:
	s_mov_b64 s[0:1], -1
                                        ; implicit-def: $vgpr2_vgpr3
	s_branch .LBB54_622
.LBB54_618:
	s_mov_b64 s[0:1], -1
                                        ; implicit-def: $vgpr2_vgpr3
.LBB54_619:
	s_andn2_b64 vcc, exec, s[0:1]
	s_cbranch_vccnz .LBB54_621
; %bb.620:
	global_load_dword v2, v[0:1], off
	s_waitcnt vmcnt(0)
	v_cvt_f64_f32_e32 v[2:3], v2
.LBB54_621:
	s_mov_b64 s[0:1], 0
.LBB54_622:
	s_andn2_b64 vcc, exec, s[0:1]
	s_cbranch_vccnz .LBB54_624
; %bb.623:
	global_load_ushort v2, v[0:1], off
	s_waitcnt vmcnt(0)
	v_cvt_f32_f16_e32 v2, v2
	v_cvt_f64_f32_e32 v[2:3], v2
.LBB54_624:
	s_mov_b64 s[0:1], 0
.LBB54_625:
	s_andn2_b64 vcc, exec, s[0:1]
	s_cbranch_vccnz .LBB54_645
; %bb.626:
	v_cmp_gt_i16_e32 vcc, 2, v11
	s_cbranch_vccnz .LBB54_630
; %bb.627:
	v_cmp_gt_i16_e32 vcc, 3, v11
	s_cbranch_vccnz .LBB54_631
; %bb.628:
	v_cmp_lt_i16_e32 vcc, 3, v11
	s_cbranch_vccz .LBB54_632
; %bb.629:
	global_load_dwordx2 v[2:3], v[0:1], off
	s_mov_b64 s[0:1], 0
	s_waitcnt vmcnt(0)
	v_cvt_f64_i32_e32 v[4:5], v3
	v_cvt_f64_u32_e32 v[2:3], v2
	v_ldexp_f64 v[4:5], v[4:5], 32
	v_add_f64 v[2:3], v[4:5], v[2:3]
	s_branch .LBB54_633
.LBB54_630:
	s_mov_b64 s[0:1], -1
                                        ; implicit-def: $vgpr2_vgpr3
	s_branch .LBB54_639
.LBB54_631:
	s_mov_b64 s[0:1], -1
                                        ; implicit-def: $vgpr2_vgpr3
	s_branch .LBB54_636
.LBB54_632:
	s_mov_b64 s[0:1], -1
                                        ; implicit-def: $vgpr2_vgpr3
.LBB54_633:
	s_andn2_b64 vcc, exec, s[0:1]
	s_cbranch_vccnz .LBB54_635
; %bb.634:
	global_load_dword v2, v[0:1], off
	s_waitcnt vmcnt(0)
	v_cvt_f64_i32_e32 v[2:3], v2
.LBB54_635:
	s_mov_b64 s[0:1], 0
.LBB54_636:
	s_andn2_b64 vcc, exec, s[0:1]
	s_cbranch_vccnz .LBB54_638
; %bb.637:
	global_load_sshort v2, v[0:1], off
	s_waitcnt vmcnt(0)
	v_cvt_f64_i32_e32 v[2:3], v2
.LBB54_638:
	s_mov_b64 s[0:1], 0
.LBB54_639:
	s_andn2_b64 vcc, exec, s[0:1]
	s_cbranch_vccnz .LBB54_645
; %bb.640:
	v_cmp_lt_i16_e32 vcc, 0, v11
	s_cbranch_vccz .LBB54_642
; %bb.641:
	global_load_sbyte v2, v[0:1], off
	s_mov_b64 s[0:1], 0
	s_waitcnt vmcnt(0)
	v_cvt_f64_i32_e32 v[2:3], v2
	s_branch .LBB54_643
.LBB54_642:
	s_mov_b64 s[0:1], -1
                                        ; implicit-def: $vgpr2_vgpr3
.LBB54_643:
	s_andn2_b64 vcc, exec, s[0:1]
	s_cbranch_vccnz .LBB54_645
; %bb.644:
	global_load_ubyte v0, v[0:1], off
	s_waitcnt vmcnt(0)
	v_cvt_f64_u32_e32 v[2:3], v0
.LBB54_645:
	s_mov_b64 s[0:1], -1
.LBB54_646:
	s_andn2_b64 vcc, exec, s[0:1]
	s_cbranch_vccnz .LBB54_654
; %bb.647:
	s_brev_b32 s0, -2
	v_mov_b32_e32 v0, s3
	s_waitcnt vmcnt(0)
	v_mul_lo_u32 v2, v10, s12
	v_bfi_b32 v1, s0, v0, v3
	v_ashrrev_i32_e32 v3, 31, v2
	v_mov_b32_e32 v5, s9
	v_add_co_u32_e32 v4, vcc, s8, v2
	v_mov_b32_e32 v2, 11
	v_addc_co_u32_e32 v5, vcc, v5, v3, vcc
	v_cmp_lt_i16_sdwa s[0:1], s33, v2 src0_sel:BYTE_0 src1_sel:DWORD
	v_mov_b32_e32 v0, s2
	s_and_b64 vcc, exec, s[0:1]
	s_cbranch_vccnz .LBB54_655
; %bb.648:
	v_mov_b32_e32 v2, 25
	v_cmp_gt_i16_sdwa s[0:1], s33, v2 src0_sel:BYTE_0 src1_sel:DWORD
	s_and_b64 vcc, exec, s[0:1]
	s_cbranch_vccz .LBB54_656
; %bb.649:
	v_mov_b32_e32 v2, 28
	v_cmp_gt_i16_sdwa s[0:1], s33, v2 src0_sel:BYTE_0 src1_sel:DWORD
	s_and_b64 vcc, exec, s[0:1]
	s_cbranch_vccz .LBB54_657
	;; [unrolled: 5-line block ×4, first 2 shown]
; %bb.652:
	v_mov_b32_e32 v2, 46
	v_cmp_eq_u16_sdwa s[30:31], s33, v2 src0_sel:BYTE_0 src1_sel:DWORD
	s_mov_b64 s[34:35], 0
	s_mov_b64 s[0:1], -1
	s_and_b64 vcc, exec, s[30:31]
	s_mov_b64 s[30:31], 0
	s_cbranch_vccz .LBB54_660
; %bb.653:
	v_cvt_f32_f64_e32 v2, v[0:1]
	v_bfe_u32 v3, v2, 16, 1
	s_movk_i32 s0, 0x7fff
	v_add3_u32 v3, v2, v3, s0
	v_lshrrev_b32_e32 v3, 16, v3
	v_mov_b32_e32 v6, 0x7fc0
	v_cmp_o_f32_e32 vcc, v2, v2
	v_cndmask_b32_e32 v2, v6, v3, vcc
	global_store_dword v[4:5], v2, off
	s_mov_b64 s[30:31], -1
	s_mov_b64 s[0:1], 0
	s_branch .LBB54_660
.LBB54_654:
	s_mov_b64 s[34:35], 0
                                        ; implicit-def: $vgpr10
	s_mov_b64 s[0:1], s[22:23]
	s_branch .LBB54_771
.LBB54_655:
	s_mov_b64 s[34:35], -1
	s_mov_b64 s[30:31], 0
	s_mov_b64 s[0:1], s[22:23]
	s_branch .LBB54_729
.LBB54_656:
	s_mov_b64 s[34:35], -1
	s_mov_b64 s[30:31], 0
	s_mov_b64 s[0:1], s[22:23]
	s_branch .LBB54_687
.LBB54_657:
	s_mov_b64 s[34:35], -1
	s_mov_b64 s[30:31], 0
	s_mov_b64 s[0:1], s[22:23]
	s_branch .LBB54_670
.LBB54_658:
	s_mov_b64 s[34:35], -1
	s_mov_b64 s[30:31], 0
	s_mov_b64 s[0:1], s[22:23]
	s_branch .LBB54_666
.LBB54_659:
	s_mov_b64 s[34:35], -1
	s_mov_b64 s[30:31], 0
	s_mov_b64 s[0:1], s[22:23]
.LBB54_660:
	s_and_b64 vcc, exec, s[34:35]
	s_cbranch_vccz .LBB54_665
; %bb.661:
	v_mov_b32_e32 v2, 44
	v_cmp_eq_u16_sdwa s[34:35], s33, v2 src0_sel:BYTE_0 src1_sel:DWORD
	s_mov_b64 s[0:1], -1
	s_and_b64 vcc, exec, s[34:35]
	s_cbranch_vccz .LBB54_665
; %bb.662:
	v_cvt_f32_f64_e32 v2, v[0:1]
	v_bfe_u32 v3, v2, 23, 8
	s_movk_i32 s0, 0xff
	v_cmp_ne_u32_e32 vcc, s0, v3
	v_mov_b32_e32 v6, 0xff
	s_and_saveexec_b64 s[30:31], vcc
; %bb.663:
	s_mov_b32 s0, 0x3fffff
	v_lshrrev_b32_e32 v6, 23, v2
	v_and_b32_e32 v7, 0x400000, v2
	v_and_or_b32 v2, v2, s0, v3
	v_cmp_ne_u32_e32 vcc, 0, v7
	v_cmp_ne_u32_e64 s[0:1], 0, v2
	s_and_b64 s[0:1], vcc, s[0:1]
	v_cndmask_b32_e64 v2, 0, 1, s[0:1]
	v_add_u32_e32 v6, v6, v2
; %bb.664:
	s_or_b64 exec, exec, s[30:31]
	s_mov_b64 s[30:31], -1
	s_mov_b64 s[0:1], 0
	global_store_byte v[4:5], v6, off
.LBB54_665:
	s_mov_b64 s[34:35], 0
.LBB54_666:
	s_and_b64 vcc, exec, s[34:35]
	s_cbranch_vccz .LBB54_669
; %bb.667:
	v_mov_b32_e32 v2, 29
	v_cmp_eq_u16_sdwa s[34:35], s33, v2 src0_sel:BYTE_0 src1_sel:DWORD
	s_mov_b64 s[0:1], -1
	s_and_b64 vcc, exec, s[34:35]
	s_cbranch_vccz .LBB54_669
; %bb.668:
	v_trunc_f64_e32 v[2:3], v[0:1]
	s_movk_i32 s0, 0xffe0
	v_ldexp_f64 v[6:7], v[2:3], s0
	v_floor_f64_e32 v[6:7], v[6:7]
	v_fmac_f64_e32 v[2:3], 0xc1f00000, v[6:7]
	v_cvt_u32_f64_e32 v9, v[6:7]
	v_cvt_u32_f64_e32 v8, v[2:3]
	global_store_dwordx2 v[4:5], v[8:9], off
	s_mov_b64 s[30:31], -1
	s_mov_b64 s[0:1], 0
.LBB54_669:
	s_mov_b64 s[34:35], 0
.LBB54_670:
	s_and_b64 vcc, exec, s[34:35]
	s_cbranch_vccz .LBB54_686
; %bb.671:
	v_mov_b32_e32 v2, 27
	v_cmp_lt_i16_sdwa s[34:35], s33, v2 src0_sel:BYTE_0 src1_sel:DWORD
	s_mov_b64 s[30:31], -1
	s_and_b64 vcc, exec, s[34:35]
	s_cbranch_vccnz .LBB54_677
; %bb.672:
	v_cmp_gt_i16_sdwa s[34:35], s33, v2 src0_sel:BYTE_0 src1_sel:DWORD
	s_and_b64 vcc, exec, s[34:35]
	v_cvt_u32_f64_e32 v2, v[0:1]
	s_cbranch_vccz .LBB54_674
; %bb.673:
	s_mov_b64 s[30:31], 0
	global_store_dword v[4:5], v2, off
.LBB54_674:
	s_andn2_b64 vcc, exec, s[30:31]
	s_cbranch_vccnz .LBB54_676
; %bb.675:
	global_store_short v[4:5], v2, off
.LBB54_676:
	s_mov_b64 s[30:31], 0
.LBB54_677:
	s_andn2_b64 vcc, exec, s[30:31]
	s_cbranch_vccnz .LBB54_685
; %bb.678:
	v_cvt_f32_f64_e32 v2, v[0:1]
	v_and_b32_e32 v3, 0x7fffffff, v2
	s_mov_b32 s30, 0x43800000
	v_cmp_gt_u32_e32 vcc, s30, v3
	v_mov_b32_e32 v6, 0x80
	s_and_saveexec_b64 s[30:31], vcc
	s_cbranch_execz .LBB54_684
; %bb.679:
	s_mov_b32 s34, 0x3bffffff
	v_cmp_lt_u32_e32 vcc, s34, v3
	s_mov_b64 s[34:35], 0
                                        ; implicit-def: $vgpr3
	s_and_saveexec_b64 s[36:37], vcc
	s_xor_b64 s[36:37], exec, s[36:37]
	s_cbranch_execz .LBB54_785
; %bb.680:
	v_bfe_u32 v3, v2, 20, 1
	s_mov_b32 s38, 0x487ffff
	v_add3_u32 v3, v2, v3, s38
	s_mov_b64 s[34:35], exec
	v_lshrrev_b32_e32 v3, 20, v3
	s_or_saveexec_b64 s[36:37], s[36:37]
                                        ; implicit-def: $sgpr38
	s_xor_b64 exec, exec, s[36:37]
	s_cbranch_execnz .LBB54_786
.LBB54_681:
	s_or_b64 exec, exec, s[36:37]
	v_mov_b32_e32 v6, s38
	s_and_saveexec_b64 s[36:37], s[34:35]
.LBB54_682:
	v_lshrrev_b32_e32 v2, 24, v2
	s_movk_i32 s34, 0x80
	v_and_or_b32 v6, v2, s34, v3
.LBB54_683:
	s_or_b64 exec, exec, s[36:37]
.LBB54_684:
	s_or_b64 exec, exec, s[30:31]
	global_store_byte v[4:5], v6, off
.LBB54_685:
	s_mov_b64 s[30:31], -1
.LBB54_686:
	s_mov_b64 s[34:35], 0
.LBB54_687:
	s_and_b64 vcc, exec, s[34:35]
	s_cbranch_vccz .LBB54_728
; %bb.688:
	v_mov_b32_e32 v2, 22
	v_cmp_gt_i16_sdwa s[36:37], s33, v2 src0_sel:BYTE_0 src1_sel:DWORD
	s_mov_b64 s[34:35], -1
	s_and_b64 vcc, exec, s[36:37]
	s_cbranch_vccz .LBB54_720
; %bb.689:
	v_mov_b32_e32 v2, 24
	v_cmp_lt_i16_sdwa s[34:35], s33, v2 src0_sel:BYTE_0 src1_sel:DWORD
	s_mov_b64 s[30:31], -1
	s_and_b64 vcc, exec, s[34:35]
	s_cbranch_vccnz .LBB54_709
; %bb.690:
	v_cmp_gt_i16_sdwa s[34:35], s33, v2 src0_sel:BYTE_0 src1_sel:DWORD
	s_and_b64 vcc, exec, s[34:35]
	s_cbranch_vccz .LBB54_698
; %bb.691:
	v_cvt_f32_f64_e32 v2, v[0:1]
	v_and_b32_e32 v3, 0x7fffffff, v2
	s_mov_b32 s30, 0x47800000
	v_cmp_gt_u32_e32 vcc, s30, v3
	v_mov_b32_e32 v6, 0x80
	s_and_saveexec_b64 s[30:31], vcc
	s_cbranch_execz .LBB54_697
; %bb.692:
	s_mov_b32 s34, 0x37ffffff
	v_cmp_lt_u32_e32 vcc, s34, v3
	s_mov_b64 s[34:35], 0
                                        ; implicit-def: $vgpr3
	s_and_saveexec_b64 s[36:37], vcc
	s_xor_b64 s[36:37], exec, s[36:37]
	s_cbranch_execz .LBB54_788
; %bb.693:
	v_bfe_u32 v3, v2, 21, 1
	s_mov_b32 s38, 0x88fffff
	v_add3_u32 v3, v2, v3, s38
	s_mov_b64 s[34:35], exec
	v_lshrrev_b32_e32 v3, 21, v3
	s_or_saveexec_b64 s[36:37], s[36:37]
                                        ; implicit-def: $sgpr38
	s_xor_b64 exec, exec, s[36:37]
	s_cbranch_execnz .LBB54_789
.LBB54_694:
	s_or_b64 exec, exec, s[36:37]
	v_mov_b32_e32 v6, s38
	s_and_saveexec_b64 s[36:37], s[34:35]
.LBB54_695:
	v_lshrrev_b32_e32 v2, 24, v2
	s_movk_i32 s34, 0x80
	v_and_or_b32 v6, v2, s34, v3
.LBB54_696:
	s_or_b64 exec, exec, s[36:37]
.LBB54_697:
	s_or_b64 exec, exec, s[30:31]
	s_mov_b64 s[30:31], 0
	global_store_byte v[4:5], v6, off
.LBB54_698:
	s_and_b64 vcc, exec, s[30:31]
	s_cbranch_vccz .LBB54_708
; %bb.699:
	v_cvt_f32_f64_e32 v2, v[0:1]
	v_and_b32_e32 v6, 0x7fffffff, v2
	s_mov_b32 s30, 0x43f00000
	v_cmp_gt_u32_e32 vcc, s30, v6
                                        ; implicit-def: $vgpr3
	s_and_saveexec_b64 s[30:31], vcc
	s_xor_b64 s[30:31], exec, s[30:31]
	s_cbranch_execz .LBB54_705
; %bb.700:
	s_mov_b32 s34, 0x3c7fffff
	v_cmp_lt_u32_e32 vcc, s34, v6
                                        ; implicit-def: $vgpr3
	s_and_saveexec_b64 s[34:35], vcc
	s_xor_b64 s[34:35], exec, s[34:35]
; %bb.701:
	v_bfe_u32 v3, v2, 20, 1
	s_mov_b32 s36, 0x407ffff
	v_add3_u32 v3, v2, v3, s36
	v_lshrrev_b32_e32 v6, 20, v3
	v_and_b32_e32 v3, 0xff00000, v3
	s_mov_b32 s36, 0x7f00000
	v_mov_b32_e32 v7, 0x7e
	v_cmp_ne_u32_e32 vcc, s36, v3
	v_cndmask_b32_e32 v3, v7, v6, vcc
; %bb.702:
	s_andn2_saveexec_b64 s[34:35], s[34:35]
; %bb.703:
	s_mov_b32 s36, 0x46800000
	v_add_f32_e64 v3, |v2|, s36
; %bb.704:
	s_or_b64 exec, exec, s[34:35]
                                        ; implicit-def: $vgpr6
.LBB54_705:
	s_andn2_saveexec_b64 s[30:31], s[30:31]
; %bb.706:
	s_mov_b32 s34, 0x7f800000
	v_mov_b32_e32 v3, 0x7e
	v_mov_b32_e32 v7, 0x7f
	v_cmp_lt_u32_e32 vcc, s34, v6
	v_cndmask_b32_e32 v3, v3, v7, vcc
; %bb.707:
	s_or_b64 exec, exec, s[30:31]
	v_lshrrev_b32_e32 v2, 24, v2
	s_movk_i32 s30, 0x80
	v_and_or_b32 v2, v2, s30, v3
	global_store_byte v[4:5], v2, off
.LBB54_708:
	s_mov_b64 s[30:31], 0
.LBB54_709:
	s_andn2_b64 vcc, exec, s[30:31]
	s_cbranch_vccnz .LBB54_719
; %bb.710:
	v_cvt_f32_f64_e32 v2, v[0:1]
	v_and_b32_e32 v6, 0x7fffffff, v2
	s_mov_b32 s30, 0x47800000
	v_cmp_gt_u32_e32 vcc, s30, v6
                                        ; implicit-def: $vgpr3
	s_and_saveexec_b64 s[30:31], vcc
	s_xor_b64 s[30:31], exec, s[30:31]
	s_cbranch_execz .LBB54_716
; %bb.711:
	s_mov_b32 s34, 0x387fffff
	v_cmp_lt_u32_e32 vcc, s34, v6
                                        ; implicit-def: $vgpr3
	s_and_saveexec_b64 s[34:35], vcc
	s_xor_b64 s[34:35], exec, s[34:35]
; %bb.712:
	v_bfe_u32 v3, v2, 21, 1
	s_mov_b32 s36, 0x80fffff
	v_add3_u32 v3, v2, v3, s36
	v_lshrrev_b32_e32 v3, 21, v3
; %bb.713:
	s_andn2_saveexec_b64 s[34:35], s[34:35]
; %bb.714:
	s_mov_b32 s36, 0x43000000
	v_add_f32_e64 v3, |v2|, s36
; %bb.715:
	s_or_b64 exec, exec, s[34:35]
                                        ; implicit-def: $vgpr6
.LBB54_716:
	s_andn2_saveexec_b64 s[30:31], s[30:31]
; %bb.717:
	s_mov_b32 s34, 0x7f800000
	v_mov_b32_e32 v3, 0x7c
	v_mov_b32_e32 v7, 0x7f
	v_cmp_lt_u32_e32 vcc, s34, v6
	v_cndmask_b32_e32 v3, v3, v7, vcc
; %bb.718:
	s_or_b64 exec, exec, s[30:31]
	v_lshrrev_b32_e32 v2, 24, v2
	s_movk_i32 s30, 0x80
	v_and_or_b32 v2, v2, s30, v3
	global_store_byte v[4:5], v2, off
.LBB54_719:
	s_mov_b64 s[34:35], 0
	s_mov_b64 s[30:31], -1
.LBB54_720:
	s_andn2_b64 vcc, exec, s[34:35]
	s_cbranch_vccnz .LBB54_728
; %bb.721:
	v_mov_b32_e32 v2, 14
	v_cmp_gt_i16_sdwa s[36:37], s33, v2 src0_sel:BYTE_0 src1_sel:DWORD
	s_mov_b64 s[34:35], -1
	s_and_b64 vcc, exec, s[36:37]
	s_cbranch_vccz .LBB54_725
; %bb.722:
	v_mov_b32_e32 v2, 15
	v_cmp_eq_u16_sdwa s[34:35], s33, v2 src0_sel:BYTE_0 src1_sel:DWORD
	s_mov_b64 s[0:1], -1
	s_and_b64 vcc, exec, s[34:35]
	s_cbranch_vccz .LBB54_724
; %bb.723:
	v_cvt_f32_f64_e32 v2, v[0:1]
	v_bfe_u32 v3, v2, 16, 1
	s_movk_i32 s0, 0x7fff
	v_add3_u32 v3, v2, v3, s0
	v_lshrrev_b32_e32 v3, 16, v3
	v_mov_b32_e32 v6, 0x7fc0
	v_cmp_o_f32_e32 vcc, v2, v2
	v_cndmask_b32_e32 v2, v6, v3, vcc
	global_store_short v[4:5], v2, off
	s_mov_b64 s[30:31], -1
	s_mov_b64 s[0:1], 0
.LBB54_724:
	s_mov_b64 s[34:35], 0
.LBB54_725:
	s_and_b64 vcc, exec, s[34:35]
	s_cbranch_vccz .LBB54_728
; %bb.726:
	v_mov_b32_e32 v2, 11
	v_cmp_eq_u16_sdwa s[34:35], s33, v2 src0_sel:BYTE_0 src1_sel:DWORD
	s_mov_b64 s[0:1], -1
	s_and_b64 vcc, exec, s[34:35]
	s_cbranch_vccz .LBB54_728
; %bb.727:
	v_cmp_neq_f64_e32 vcc, 0, v[0:1]
	s_mov_b64 s[0:1], 0
	v_cndmask_b32_e64 v2, 0, 1, vcc
	s_mov_b64 s[30:31], -1
	global_store_byte v[4:5], v2, off
.LBB54_728:
	s_mov_b64 s[34:35], 0
.LBB54_729:
	s_and_b64 vcc, exec, s[34:35]
	s_cbranch_vccz .LBB54_768
; %bb.730:
	v_mov_b32_e32 v2, 5
	v_cmp_lt_i16_sdwa s[34:35], s33, v2 src0_sel:BYTE_0 src1_sel:DWORD
	s_mov_b64 s[30:31], -1
	s_and_b64 vcc, exec, s[34:35]
	s_cbranch_vccnz .LBB54_751
; %bb.731:
	v_mov_b32_e32 v2, 8
	v_cmp_lt_i16_sdwa s[34:35], s33, v2 src0_sel:BYTE_0 src1_sel:DWORD
	s_and_b64 vcc, exec, s[34:35]
	s_cbranch_vccnz .LBB54_741
; %bb.732:
	v_mov_b32_e32 v2, 9
	v_cmp_lt_i16_sdwa s[34:35], s33, v2 src0_sel:BYTE_0 src1_sel:DWORD
	s_and_b64 vcc, exec, s[34:35]
	s_cbranch_vccnz .LBB54_738
; %bb.733:
	v_cmp_gt_i16_sdwa s[34:35], s33, v2 src0_sel:BYTE_0 src1_sel:DWORD
	s_and_b64 vcc, exec, s[34:35]
	s_cbranch_vccz .LBB54_735
; %bb.734:
	v_mov_b32_e32 v2, 0
	v_mov_b32_e32 v3, v2
	s_mov_b64 s[30:31], 0
	global_store_dwordx4 v[4:5], v[0:3], off
.LBB54_735:
	s_andn2_b64 vcc, exec, s[30:31]
	s_cbranch_vccnz .LBB54_737
; %bb.736:
	v_cvt_f32_f64_e32 v2, v[0:1]
	v_mov_b32_e32 v3, 0
	global_store_dwordx2 v[4:5], v[2:3], off
.LBB54_737:
	s_mov_b64 s[30:31], 0
.LBB54_738:
	s_andn2_b64 vcc, exec, s[30:31]
	s_cbranch_vccnz .LBB54_740
; %bb.739:
	v_cvt_f32_f64_e32 v2, v[0:1]
	v_cvt_f16_f32_e32 v2, v2
	global_store_dword v[4:5], v2, off
.LBB54_740:
	s_mov_b64 s[30:31], 0
.LBB54_741:
	s_andn2_b64 vcc, exec, s[30:31]
	s_cbranch_vccnz .LBB54_750
; %bb.742:
	v_mov_b32_e32 v2, 6
	v_cmp_lt_i16_sdwa s[34:35], s33, v2 src0_sel:BYTE_0 src1_sel:DWORD
	s_mov_b64 s[30:31], -1
	s_and_b64 vcc, exec, s[34:35]
	s_cbranch_vccnz .LBB54_748
; %bb.743:
	v_cmp_gt_i16_sdwa s[34:35], s33, v2 src0_sel:BYTE_0 src1_sel:DWORD
	s_and_b64 vcc, exec, s[34:35]
	s_cbranch_vccz .LBB54_745
; %bb.744:
	s_mov_b64 s[30:31], 0
	global_store_dwordx2 v[4:5], v[0:1], off
.LBB54_745:
	s_andn2_b64 vcc, exec, s[30:31]
	s_cbranch_vccnz .LBB54_747
; %bb.746:
	v_cvt_f32_f64_e32 v2, v[0:1]
	global_store_dword v[4:5], v2, off
.LBB54_747:
	s_mov_b64 s[30:31], 0
.LBB54_748:
	s_andn2_b64 vcc, exec, s[30:31]
	s_cbranch_vccnz .LBB54_750
; %bb.749:
	v_cvt_f32_f64_e32 v2, v[0:1]
	v_cvt_f16_f32_e32 v2, v2
	global_store_short v[4:5], v2, off
.LBB54_750:
	s_mov_b64 s[30:31], 0
.LBB54_751:
	s_andn2_b64 vcc, exec, s[30:31]
	s_cbranch_vccnz .LBB54_767
; %bb.752:
	v_mov_b32_e32 v2, 2
	v_cmp_lt_i16_sdwa s[34:35], s33, v2 src0_sel:BYTE_0 src1_sel:DWORD
	s_mov_b64 s[30:31], -1
	s_and_b64 vcc, exec, s[34:35]
	s_cbranch_vccnz .LBB54_762
; %bb.753:
	v_mov_b32_e32 v2, 3
	v_cmp_lt_i16_sdwa s[34:35], s33, v2 src0_sel:BYTE_0 src1_sel:DWORD
	s_and_b64 vcc, exec, s[34:35]
	s_cbranch_vccnz .LBB54_759
; %bb.754:
	v_cmp_gt_i16_sdwa s[34:35], s33, v2 src0_sel:BYTE_0 src1_sel:DWORD
	s_and_b64 vcc, exec, s[34:35]
	s_cbranch_vccz .LBB54_756
; %bb.755:
	v_trunc_f64_e32 v[2:3], v[0:1]
	s_movk_i32 s30, 0xffe0
	v_ldexp_f64 v[6:7], v[2:3], s30
	v_floor_f64_e32 v[6:7], v[6:7]
	v_fmac_f64_e32 v[2:3], 0xc1f00000, v[6:7]
	v_cvt_i32_f64_e32 v9, v[6:7]
	v_cvt_u32_f64_e32 v8, v[2:3]
	s_mov_b64 s[30:31], 0
	global_store_dwordx2 v[4:5], v[8:9], off
.LBB54_756:
	s_andn2_b64 vcc, exec, s[30:31]
	s_cbranch_vccnz .LBB54_758
; %bb.757:
	v_cvt_i32_f64_e32 v2, v[0:1]
	global_store_dword v[4:5], v2, off
.LBB54_758:
	s_mov_b64 s[30:31], 0
.LBB54_759:
	s_andn2_b64 vcc, exec, s[30:31]
	s_cbranch_vccnz .LBB54_761
; %bb.760:
	v_cvt_i32_f64_e32 v2, v[0:1]
	global_store_short v[4:5], v2, off
.LBB54_761:
	s_mov_b64 s[30:31], 0
.LBB54_762:
	s_andn2_b64 vcc, exec, s[30:31]
	s_cbranch_vccnz .LBB54_767
; %bb.763:
	v_mov_b32_e32 v2, 0
	v_cmp_gt_i16_sdwa s[34:35], s33, v2 src0_sel:BYTE_0 src1_sel:DWORD
	s_mov_b64 s[30:31], -1
	s_and_b64 vcc, exec, s[34:35]
	s_cbranch_vccz .LBB54_765
; %bb.764:
	v_cvt_i32_f64_e32 v2, v[0:1]
	s_mov_b64 s[30:31], 0
	global_store_byte v[4:5], v2, off
.LBB54_765:
	s_andn2_b64 vcc, exec, s[30:31]
	s_cbranch_vccnz .LBB54_767
; %bb.766:
	v_trunc_f64_e32 v[0:1], v[0:1]
	s_movk_i32 s30, 0xffe0
	v_ldexp_f64 v[2:3], v[0:1], s30
	v_floor_f64_e32 v[2:3], v[2:3]
	v_fmac_f64_e32 v[0:1], 0xc1f00000, v[2:3]
	v_cvt_u32_f64_e32 v0, v[0:1]
	global_store_byte v[4:5], v0, off
.LBB54_767:
	s_mov_b64 s[30:31], -1
.LBB54_768:
	s_andn2_b64 vcc, exec, s[30:31]
	s_cbranch_vccnz .LBB54_770
; %bb.769:
	v_add_u32_e32 v10, 0x80, v10
	s_mov_b64 s[34:35], -1
	s_branch .LBB54_771
.LBB54_770:
	s_mov_b64 s[34:35], 0
                                        ; implicit-def: $vgpr10
.LBB54_771:
	s_andn2_b64 s[30:31], s[22:23], exec
	s_and_b64 s[0:1], s[0:1], exec
	s_or_b64 s[30:31], s[30:31], s[0:1]
	s_andn2_b64 s[0:1], s[20:21], exec
	s_and_b64 s[28:29], s[28:29], exec
	s_or_b64 s[0:1], s[0:1], s[28:29]
	s_orn2_b64 s[36:37], s[34:35], exec
.LBB54_772:
	s_or_b64 exec, exec, s[26:27]
	s_mov_b64 s[34:35], 0
	s_mov_b64 s[28:29], 0
	;; [unrolled: 1-line block ×3, first 2 shown]
                                        ; implicit-def: $vgpr0_vgpr1
                                        ; implicit-def: $vgpr2_vgpr3
	s_and_saveexec_b64 s[26:27], s[36:37]
	s_cbranch_execz .LBB54_857
; %bb.773:
	v_cmp_gt_i32_e32 vcc, s40, v10
	s_mov_b64 s[36:37], 0
	s_mov_b64 s[40:41], s[0:1]
	;; [unrolled: 1-line block ×3, first 2 shown]
                                        ; implicit-def: $vgpr0_vgpr1
                                        ; implicit-def: $vgpr2_vgpr3
	s_and_saveexec_b64 s[28:29], vcc
	s_cbranch_execz .LBB54_856
; %bb.774:
	v_mul_lo_u32 v0, v10, s13
	v_ashrrev_i32_e32 v1, 31, v0
	s_waitcnt vmcnt(0)
	v_mov_b32_e32 v2, s11
	v_add_co_u32_e32 v0, vcc, s10, v0
	v_addc_co_u32_e32 v1, vcc, v2, v1, vcc
	v_cmp_gt_i16_e32 vcc, 11, v11
	s_cbranch_vccnz .LBB54_781
; %bb.775:
	v_cmp_lt_i16_e32 vcc, 25, v11
	s_cbranch_vccz .LBB54_782
; %bb.776:
	v_cmp_lt_i16_e32 vcc, 28, v11
	s_cbranch_vccz .LBB54_783
	;; [unrolled: 3-line block ×4, first 2 shown]
; %bb.779:
	v_cmp_eq_u16_e32 vcc, 46, v11
	s_mov_b64 s[40:41], 0
	s_cbranch_vccz .LBB54_790
; %bb.780:
	global_load_dword v2, v[0:1], off
	s_mov_b64 s[38:39], -1
	s_waitcnt vmcnt(0)
	v_lshlrev_b32_e32 v2, 16, v2
	v_cvt_f64_f32_e32 v[2:3], v2
	s_branch .LBB54_792
.LBB54_781:
	s_mov_b64 s[40:41], -1
                                        ; implicit-def: $vgpr2_vgpr3
	s_mov_b64 s[34:35], s[0:1]
	s_branch .LBB54_855
.LBB54_782:
	s_mov_b64 s[40:41], -1
	s_mov_b64 s[34:35], s[0:1]
                                        ; implicit-def: $vgpr2_vgpr3
	s_branch .LBB54_821
.LBB54_783:
	s_mov_b64 s[40:41], -1
	s_mov_b64 s[34:35], s[0:1]
                                        ; implicit-def: $vgpr2_vgpr3
	s_branch .LBB54_802
.LBB54_784:
	s_mov_b64 s[40:41], -1
	s_mov_b64 s[34:35], s[0:1]
                                        ; implicit-def: $vgpr2_vgpr3
	s_branch .LBB54_797
.LBB54_785:
	s_or_saveexec_b64 s[36:37], s[36:37]
                                        ; implicit-def: $sgpr38
	s_xor_b64 exec, exec, s[36:37]
	s_cbranch_execz .LBB54_681
.LBB54_786:
	s_mov_b32 s38, 0x46000000
	v_add_f32_e64 v3, |v2|, s38
	v_and_b32_e32 v3, 0xff, v3
	v_cmp_ne_u32_e32 vcc, 0, v3
	s_andn2_b64 s[34:35], s[34:35], exec
	s_and_b64 s[42:43], vcc, exec
	s_mov_b32 s38, 0
	s_or_b64 s[34:35], s[34:35], s[42:43]
	s_or_b64 exec, exec, s[36:37]
	v_mov_b32_e32 v6, s38
	s_and_saveexec_b64 s[36:37], s[34:35]
	s_cbranch_execnz .LBB54_682
	s_branch .LBB54_683
.LBB54_787:
	s_mov_b64 s[40:41], -1
	s_mov_b64 s[34:35], s[0:1]
	s_branch .LBB54_791
.LBB54_788:
	s_or_saveexec_b64 s[36:37], s[36:37]
                                        ; implicit-def: $sgpr38
	s_xor_b64 exec, exec, s[36:37]
	s_cbranch_execz .LBB54_694
.LBB54_789:
	s_mov_b32 s38, 0x42800000
	v_add_f32_e64 v3, |v2|, s38
	v_and_b32_e32 v3, 0xff, v3
	v_cmp_ne_u32_e32 vcc, 0, v3
	s_andn2_b64 s[34:35], s[34:35], exec
	s_and_b64 s[42:43], vcc, exec
	s_mov_b32 s38, 0
	s_or_b64 s[34:35], s[34:35], s[42:43]
	s_or_b64 exec, exec, s[36:37]
	v_mov_b32_e32 v6, s38
	s_and_saveexec_b64 s[36:37], s[34:35]
	s_cbranch_execnz .LBB54_695
	s_branch .LBB54_696
.LBB54_790:
	s_mov_b64 s[34:35], -1
.LBB54_791:
                                        ; implicit-def: $vgpr2_vgpr3
.LBB54_792:
	s_and_b64 vcc, exec, s[40:41]
	s_cbranch_vccz .LBB54_796
; %bb.793:
	v_cmp_eq_u16_e32 vcc, 44, v11
	s_cbranch_vccz .LBB54_795
; %bb.794:
	global_load_ubyte v4, v[0:1], off
	s_movk_i32 s38, 0xff
	v_mov_b32_e32 v5, 0x7ff80000
	v_bfrev_b32_e32 v6, 28
	s_mov_b64 s[34:35], 0
	s_waitcnt vmcnt(0)
	v_lshlrev_b32_e32 v2, 23, v4
	v_cvt_f64_f32_e32 v[2:3], v2
	v_cmp_ne_u32_e32 vcc, s38, v4
	v_cndmask_b32_e32 v2, v5, v3, vcc
	v_cmp_ne_u32_e32 vcc, 0, v4
	v_cndmask_b32_e32 v3, v6, v2, vcc
	s_mov_b64 s[38:39], -1
	s_branch .LBB54_796
.LBB54_795:
	s_mov_b64 s[34:35], -1
                                        ; implicit-def: $vgpr2_vgpr3
.LBB54_796:
	s_mov_b64 s[40:41], 0
.LBB54_797:
	s_and_b64 vcc, exec, s[40:41]
	s_cbranch_vccz .LBB54_801
; %bb.798:
	v_cmp_eq_u16_e32 vcc, 29, v11
	s_cbranch_vccz .LBB54_800
; %bb.799:
	global_load_dwordx2 v[2:3], v[0:1], off
	s_mov_b64 s[34:35], 0
	s_mov_b64 s[38:39], -1
	s_mov_b64 s[40:41], 0
	s_waitcnt vmcnt(0)
	v_cvt_f64_u32_e32 v[4:5], v3
	v_cvt_f64_u32_e32 v[2:3], v2
	v_ldexp_f64 v[4:5], v[4:5], 32
	v_add_f64 v[2:3], v[4:5], v[2:3]
	s_branch .LBB54_802
.LBB54_800:
	s_mov_b64 s[34:35], -1
                                        ; implicit-def: $vgpr2_vgpr3
.LBB54_801:
	s_mov_b64 s[40:41], 0
.LBB54_802:
	s_and_b64 vcc, exec, s[40:41]
	s_cbranch_vccz .LBB54_820
; %bb.803:
	v_cmp_gt_i16_e32 vcc, 27, v11
	s_cbranch_vccnz .LBB54_806
; %bb.804:
	v_cmp_lt_i16_e32 vcc, 27, v11
	s_cbranch_vccz .LBB54_807
; %bb.805:
	global_load_dword v2, v[0:1], off
	s_mov_b64 s[38:39], 0
	s_waitcnt vmcnt(0)
	v_cvt_f64_u32_e32 v[2:3], v2
	s_branch .LBB54_808
.LBB54_806:
	s_mov_b64 s[38:39], -1
                                        ; implicit-def: $vgpr2_vgpr3
	s_branch .LBB54_811
.LBB54_807:
	s_mov_b64 s[38:39], -1
                                        ; implicit-def: $vgpr2_vgpr3
.LBB54_808:
	s_andn2_b64 vcc, exec, s[38:39]
	s_cbranch_vccnz .LBB54_810
; %bb.809:
	global_load_ushort v2, v[0:1], off
	s_waitcnt vmcnt(0)
	v_cvt_f64_u32_e32 v[2:3], v2
.LBB54_810:
	s_mov_b64 s[38:39], 0
.LBB54_811:
	s_andn2_b64 vcc, exec, s[38:39]
	s_cbranch_vccnz .LBB54_819
; %bb.812:
	global_load_ubyte v4, v[0:1], off
	s_movk_i32 s38, 0x7f
                                        ; implicit-def: $sgpr40_sgpr41
	s_waitcnt vmcnt(0)
	v_cmp_lt_i16_e32 vcc, s38, v4
	s_mov_b64 s[38:39], 0
	s_and_saveexec_b64 s[42:43], vcc
	s_xor_b64 s[42:43], exec, s[42:43]
	s_cbranch_execz .LBB54_833
; %bb.813:
	s_movk_i32 s38, 0x80
	v_cmp_eq_u16_e32 vcc, s38, v4
	s_mov_b64 s[44:45], -1
                                        ; implicit-def: $sgpr40_sgpr41
	s_and_saveexec_b64 s[38:39], vcc
; %bb.814:
	s_mov_b32 s41, 0x7ff80000
	s_brev_b32 s40, 4
	s_xor_b64 s[44:45], exec, -1
; %bb.815:
	s_or_b64 exec, exec, s[38:39]
	s_and_b64 s[38:39], s[44:45], exec
	s_or_saveexec_b64 s[42:43], s[42:43]
	v_pk_mov_b32 v[2:3], s[40:41], s[40:41] op_sel:[0,1]
	s_xor_b64 exec, exec, s[42:43]
	s_cbranch_execnz .LBB54_834
.LBB54_816:
	s_or_b64 exec, exec, s[42:43]
	s_and_saveexec_b64 s[40:41], s[38:39]
	s_cbranch_execz .LBB54_818
.LBB54_817:
	v_and_b32_e32 v3, 0xffff, v4
	v_lshlrev_b32_e32 v2, 24, v4
	v_and_b32_e32 v4, 7, v3
	v_ffbh_u32_e32 v6, v4
	v_min_u32_e32 v6, 32, v6
	v_subrev_u32_e32 v7, 28, v6
	v_bfe_u32 v5, v3, 3, 4
	v_lshlrev_b32_e32 v3, v7, v3
	v_sub_u32_e32 v6, 29, v6
	v_and_b32_e32 v3, 7, v3
	v_cmp_eq_u32_e32 vcc, 0, v5
	v_cndmask_b32_e32 v5, v5, v6, vcc
	v_cndmask_b32_e32 v3, v4, v3, vcc
	v_mov_b32_e32 v4, 0x3b800000
	v_lshlrev_b32_e32 v3, 20, v3
	v_and_b32_e32 v2, 0x80000000, v2
	v_lshl_add_u32 v4, v5, 23, v4
	v_or3_b32 v2, v2, v4, v3
	v_cvt_f64_f32_e32 v[2:3], v2
.LBB54_818:
	s_or_b64 exec, exec, s[40:41]
.LBB54_819:
	s_mov_b64 s[38:39], -1
.LBB54_820:
	s_mov_b64 s[40:41], 0
.LBB54_821:
	s_and_b64 vcc, exec, s[40:41]
	s_cbranch_vccz .LBB54_854
; %bb.822:
	v_cmp_lt_i16_e32 vcc, 22, v11
	s_cbranch_vccz .LBB54_832
; %bb.823:
	v_cmp_gt_i16_e32 vcc, 24, v11
	s_cbranch_vccnz .LBB54_835
; %bb.824:
	v_cmp_lt_i16_e32 vcc, 24, v11
	s_cbranch_vccz .LBB54_836
; %bb.825:
	global_load_ubyte v4, v[0:1], off
	s_movk_i32 s36, 0x7f
                                        ; implicit-def: $sgpr38_sgpr39
	s_waitcnt vmcnt(0)
	v_cmp_lt_i16_e32 vcc, s36, v4
	s_mov_b64 s[36:37], 0
	s_and_saveexec_b64 s[40:41], vcc
	s_xor_b64 s[40:41], exec, s[40:41]
	s_cbranch_execz .LBB54_848
; %bb.826:
	s_movk_i32 s36, 0x80
	v_cmp_eq_u16_e32 vcc, s36, v4
	s_mov_b64 s[42:43], -1
                                        ; implicit-def: $sgpr38_sgpr39
	s_and_saveexec_b64 s[36:37], vcc
; %bb.827:
	s_mov_b32 s39, 0x7ff80000
	s_brev_b32 s38, 4
	s_xor_b64 s[42:43], exec, -1
; %bb.828:
	s_or_b64 exec, exec, s[36:37]
	s_and_b64 s[36:37], s[42:43], exec
	s_or_saveexec_b64 s[40:41], s[40:41]
	v_pk_mov_b32 v[2:3], s[38:39], s[38:39] op_sel:[0,1]
	s_xor_b64 exec, exec, s[40:41]
	s_cbranch_execnz .LBB54_849
.LBB54_829:
	s_or_b64 exec, exec, s[40:41]
	s_and_saveexec_b64 s[38:39], s[36:37]
	s_cbranch_execz .LBB54_831
.LBB54_830:
	v_and_b32_e32 v3, 0xffff, v4
	v_lshlrev_b32_e32 v2, 24, v4
	v_and_b32_e32 v4, 3, v3
	v_ffbh_u32_e32 v6, v4
	v_min_u32_e32 v6, 32, v6
	v_subrev_u32_e32 v7, 29, v6
	v_bfe_u32 v5, v3, 2, 5
	v_lshlrev_b32_e32 v3, v7, v3
	v_sub_u32_e32 v6, 30, v6
	v_and_b32_e32 v3, 3, v3
	v_cmp_eq_u32_e32 vcc, 0, v5
	v_cndmask_b32_e32 v5, v5, v6, vcc
	v_cndmask_b32_e32 v3, v4, v3, vcc
	v_mov_b32_e32 v4, 0x37800000
	v_lshlrev_b32_e32 v3, 21, v3
	v_and_b32_e32 v2, 0x80000000, v2
	v_lshl_add_u32 v4, v5, 23, v4
	v_or3_b32 v2, v2, v4, v3
	v_cvt_f64_f32_e32 v[2:3], v2
.LBB54_831:
	s_or_b64 exec, exec, s[38:39]
	s_mov_b64 s[36:37], 0
	s_branch .LBB54_837
.LBB54_832:
	s_mov_b64 s[36:37], -1
                                        ; implicit-def: $vgpr2_vgpr3
	s_branch .LBB54_843
.LBB54_833:
	s_or_saveexec_b64 s[42:43], s[42:43]
	v_pk_mov_b32 v[2:3], s[40:41], s[40:41] op_sel:[0,1]
	s_xor_b64 exec, exec, s[42:43]
	s_cbranch_execz .LBB54_816
.LBB54_834:
	v_cmp_ne_u16_e32 vcc, 0, v4
	s_andn2_b64 s[38:39], s[38:39], exec
	s_and_b64 s[40:41], vcc, exec
	v_pk_mov_b32 v[2:3], 0, 0
	s_or_b64 s[38:39], s[38:39], s[40:41]
	s_or_b64 exec, exec, s[42:43]
	s_and_saveexec_b64 s[40:41], s[38:39]
	s_cbranch_execnz .LBB54_817
	s_branch .LBB54_818
.LBB54_835:
	s_mov_b64 s[36:37], -1
                                        ; implicit-def: $vgpr2_vgpr3
	s_branch .LBB54_840
.LBB54_836:
	s_mov_b64 s[36:37], -1
                                        ; implicit-def: $vgpr2_vgpr3
.LBB54_837:
	s_and_b64 vcc, exec, s[36:37]
	s_cbranch_vccz .LBB54_839
; %bb.838:
	global_load_ubyte v2, v[0:1], off
	s_mov_b32 s36, 0x7f800000
	s_waitcnt vmcnt(0)
	v_lshlrev_b32_e32 v2, 24, v2
	v_and_b32_e32 v3, 0x7f000000, v2
	v_ffbh_u32_e32 v4, v3
	v_min_u32_e32 v4, 32, v4
	v_sub_u32_e64 v4, v4, 4 clamp
	v_lshlrev_b32_e32 v6, v4, v3
	v_lshlrev_b32_e32 v4, 23, v4
	v_lshrrev_b32_e32 v6, 4, v6
	v_add_u32_e32 v5, 0x1000000, v3
	v_sub_u32_e32 v4, v6, v4
	v_ashrrev_i32_e32 v5, 8, v5
	v_add_u32_e32 v4, 0x3c000000, v4
	v_and_or_b32 v4, v5, s36, v4
	v_cmp_ne_u32_e32 vcc, 0, v3
	v_cndmask_b32_e32 v3, 0, v4, vcc
	s_brev_b32 s36, 1
	v_and_or_b32 v2, v2, s36, v3
	v_cvt_f64_f32_e32 v[2:3], v2
.LBB54_839:
	s_mov_b64 s[36:37], 0
.LBB54_840:
	s_andn2_b64 vcc, exec, s[36:37]
	s_cbranch_vccnz .LBB54_842
; %bb.841:
	global_load_ubyte v2, v[0:1], off
	s_movk_i32 s36, 0x7f00
	s_brev_b32 s37, 16
	s_waitcnt vmcnt(0)
	v_lshlrev_b16_e32 v3, 8, v2
	v_lshlrev_b32_e32 v2, 25, v2
	v_lshrrev_b32_e32 v4, 4, v2
	v_and_or_b32 v5, v3, s36, 0.5
	v_or_b32_e32 v4, 0x70000000, v4
	v_add_f32_e32 v5, -0.5, v5
	v_mul_f32_e32 v4, 0x7800000, v4
	v_cmp_gt_u32_e32 vcc, s37, v2
	v_bfe_i32 v3, v3, 0, 16
	v_cndmask_b32_e32 v2, v4, v5, vcc
	s_brev_b32 s36, 1
	v_and_or_b32 v2, v3, s36, v2
	v_cvt_f64_f32_e32 v[2:3], v2
.LBB54_842:
	s_mov_b64 s[36:37], 0
	s_mov_b64 s[38:39], -1
.LBB54_843:
	s_andn2_b64 vcc, exec, s[36:37]
	s_mov_b64 s[36:37], 0
	s_cbranch_vccnz .LBB54_854
; %bb.844:
	v_cmp_lt_i16_e32 vcc, 14, v11
	s_cbranch_vccz .LBB54_847
; %bb.845:
	v_cmp_eq_u16_e32 vcc, 15, v11
	s_cbranch_vccz .LBB54_850
; %bb.846:
	global_load_ushort v2, v[0:1], off
	s_mov_b64 s[34:35], 0
	s_mov_b64 s[38:39], -1
	s_waitcnt vmcnt(0)
	v_lshlrev_b32_e32 v2, 16, v2
	v_cvt_f64_f32_e32 v[2:3], v2
	s_branch .LBB54_851
.LBB54_847:
	s_mov_b64 s[40:41], -1
                                        ; implicit-def: $vgpr2_vgpr3
	s_branch .LBB54_852
.LBB54_848:
	s_or_saveexec_b64 s[40:41], s[40:41]
	v_pk_mov_b32 v[2:3], s[38:39], s[38:39] op_sel:[0,1]
	s_xor_b64 exec, exec, s[40:41]
	s_cbranch_execz .LBB54_829
.LBB54_849:
	v_cmp_ne_u16_e32 vcc, 0, v4
	s_andn2_b64 s[36:37], s[36:37], exec
	s_and_b64 s[38:39], vcc, exec
	v_pk_mov_b32 v[2:3], 0, 0
	s_or_b64 s[36:37], s[36:37], s[38:39]
	s_or_b64 exec, exec, s[40:41]
	s_and_saveexec_b64 s[38:39], s[36:37]
	s_cbranch_execnz .LBB54_830
	s_branch .LBB54_831
.LBB54_850:
	s_mov_b64 s[34:35], -1
                                        ; implicit-def: $vgpr2_vgpr3
.LBB54_851:
	s_mov_b64 s[40:41], 0
.LBB54_852:
	s_and_b64 vcc, exec, s[40:41]
	s_cbranch_vccz .LBB54_854
; %bb.853:
	v_cmp_ne_u16_e32 vcc, 11, v11
	s_andn2_b64 s[34:35], s[34:35], exec
	s_and_b64 s[40:41], vcc, exec
	s_mov_b64 s[36:37], -1
	s_or_b64 s[34:35], s[34:35], s[40:41]
                                        ; implicit-def: $vgpr2_vgpr3
.LBB54_854:
	s_mov_b64 s[40:41], 0
.LBB54_855:
	s_and_b64 s[42:43], s[40:41], exec
	s_andn2_b64 s[40:41], s[0:1], exec
	s_and_b64 s[34:35], s[34:35], exec
	s_and_b64 s[38:39], s[38:39], exec
	;; [unrolled: 1-line block ×3, first 2 shown]
	s_or_b64 s[40:41], s[40:41], s[34:35]
.LBB54_856:
	s_or_b64 exec, exec, s[28:29]
	s_and_b64 s[34:35], s[36:37], exec
	s_andn2_b64 s[0:1], s[0:1], exec
	s_and_b64 s[36:37], s[40:41], exec
	s_and_b64 s[38:39], s[38:39], exec
	;; [unrolled: 1-line block ×3, first 2 shown]
	s_or_b64 s[0:1], s[0:1], s[36:37]
.LBB54_857:
	s_or_b64 exec, exec, s[26:27]
	s_andn2_b64 s[22:23], s[22:23], exec
	s_and_b64 s[26:27], s[30:31], exec
	s_andn2_b64 s[20:21], s[20:21], exec
	s_and_b64 s[0:1], s[0:1], exec
	s_or_b64 s[22:23], s[22:23], s[26:27]
	s_and_b64 s[30:31], s[38:39], exec
	s_and_b64 s[28:29], s[28:29], exec
	;; [unrolled: 1-line block ×3, first 2 shown]
	s_or_b64 s[20:21], s[20:21], s[0:1]
.LBB54_858:
	s_or_b64 exec, exec, s[24:25]
	s_andn2_b64 s[0:1], s[14:15], exec
	s_and_b64 s[14:15], s[22:23], exec
	s_andn2_b64 s[16:17], s[16:17], exec
	s_and_b64 s[20:21], s[20:21], exec
	s_or_b64 s[14:15], s[0:1], s[14:15]
	s_and_b64 s[0:1], s[30:31], exec
	s_and_b64 s[24:25], s[28:29], exec
	;; [unrolled: 1-line block ×3, first 2 shown]
	s_or_b64 s[16:17], s[16:17], s[20:21]
	s_or_b64 exec, exec, s[18:19]
	s_mov_b64 s[18:19], 0
	s_and_saveexec_b64 s[20:21], s[16:17]
	s_cbranch_execz .LBB54_262
.LBB54_859:
	s_mov_b64 s[18:19], exec
	s_andn2_b64 s[22:23], s[22:23], exec
	s_trap 2
                                        ; implicit-def: $vgpr2_vgpr3
	s_or_b64 exec, exec, s[20:21]
	s_and_saveexec_b64 s[16:17], s[22:23]
	s_xor_b64 s[16:17], exec, s[16:17]
	s_cbranch_execnz .LBB54_263
.LBB54_860:
	s_or_b64 exec, exec, s[16:17]
	s_and_saveexec_b64 s[16:17], s[24:25]
	s_cbranch_execz .LBB54_906
.LBB54_861:
	v_cmp_gt_i16_e32 vcc, 5, v11
	s_cbranch_vccnz .LBB54_866
; %bb.862:
	v_cmp_gt_i16_e32 vcc, 8, v11
	s_cbranch_vccnz .LBB54_867
; %bb.863:
	;; [unrolled: 3-line block ×3, first 2 shown]
	v_cmp_lt_i16_e32 vcc, 9, v11
	s_cbranch_vccz .LBB54_869
; %bb.865:
	global_load_dwordx2 v[2:3], v[0:1], off
	s_mov_b64 s[20:21], 0
	s_branch .LBB54_870
.LBB54_866:
                                        ; implicit-def: $vgpr2_vgpr3
	s_branch .LBB54_887
.LBB54_867:
                                        ; implicit-def: $vgpr2_vgpr3
	s_branch .LBB54_876
.LBB54_868:
	s_mov_b64 s[20:21], -1
                                        ; implicit-def: $vgpr2_vgpr3
	s_branch .LBB54_873
.LBB54_869:
	s_mov_b64 s[20:21], -1
                                        ; implicit-def: $vgpr2_vgpr3
.LBB54_870:
	s_andn2_b64 vcc, exec, s[20:21]
	s_cbranch_vccnz .LBB54_872
; %bb.871:
	global_load_dword v2, v[0:1], off
	s_waitcnt vmcnt(0)
	v_cvt_f64_f32_e32 v[2:3], v2
.LBB54_872:
	s_mov_b64 s[20:21], 0
.LBB54_873:
	s_andn2_b64 vcc, exec, s[20:21]
	s_cbranch_vccnz .LBB54_875
; %bb.874:
	global_load_dword v2, v[0:1], off
	s_waitcnt vmcnt(0)
	v_cvt_f32_f16_e32 v2, v2
	v_cvt_f64_f32_e32 v[2:3], v2
.LBB54_875:
	s_cbranch_execnz .LBB54_886
.LBB54_876:
	v_cmp_gt_i16_e32 vcc, 6, v11
	s_cbranch_vccnz .LBB54_879
; %bb.877:
	v_cmp_lt_i16_e32 vcc, 6, v11
	s_cbranch_vccz .LBB54_880
; %bb.878:
	global_load_dwordx2 v[2:3], v[0:1], off
	s_mov_b64 s[20:21], 0
	s_branch .LBB54_881
.LBB54_879:
	s_mov_b64 s[20:21], -1
                                        ; implicit-def: $vgpr2_vgpr3
	s_branch .LBB54_884
.LBB54_880:
	s_mov_b64 s[20:21], -1
                                        ; implicit-def: $vgpr2_vgpr3
.LBB54_881:
	s_andn2_b64 vcc, exec, s[20:21]
	s_cbranch_vccnz .LBB54_883
; %bb.882:
	global_load_dword v2, v[0:1], off
	s_waitcnt vmcnt(0)
	v_cvt_f64_f32_e32 v[2:3], v2
.LBB54_883:
	s_mov_b64 s[20:21], 0
.LBB54_884:
	s_andn2_b64 vcc, exec, s[20:21]
	s_cbranch_vccnz .LBB54_886
; %bb.885:
	global_load_ushort v2, v[0:1], off
	s_waitcnt vmcnt(0)
	v_cvt_f32_f16_e32 v2, v2
	v_cvt_f64_f32_e32 v[2:3], v2
.LBB54_886:
	s_cbranch_execnz .LBB54_905
.LBB54_887:
	v_cmp_gt_i16_e32 vcc, 2, v11
	s_cbranch_vccnz .LBB54_891
; %bb.888:
	v_cmp_gt_i16_e32 vcc, 3, v11
	s_cbranch_vccnz .LBB54_892
; %bb.889:
	v_cmp_lt_i16_e32 vcc, 3, v11
	s_cbranch_vccz .LBB54_893
; %bb.890:
	global_load_dwordx2 v[2:3], v[0:1], off
	s_mov_b64 s[20:21], 0
	s_waitcnt vmcnt(0)
	v_cvt_f64_i32_e32 v[4:5], v3
	v_cvt_f64_u32_e32 v[2:3], v2
	v_ldexp_f64 v[4:5], v[4:5], 32
	v_add_f64 v[2:3], v[4:5], v[2:3]
	s_branch .LBB54_894
.LBB54_891:
                                        ; implicit-def: $vgpr2_vgpr3
	s_branch .LBB54_900
.LBB54_892:
	s_mov_b64 s[20:21], -1
                                        ; implicit-def: $vgpr2_vgpr3
	s_branch .LBB54_897
.LBB54_893:
	s_mov_b64 s[20:21], -1
                                        ; implicit-def: $vgpr2_vgpr3
.LBB54_894:
	s_andn2_b64 vcc, exec, s[20:21]
	s_cbranch_vccnz .LBB54_896
; %bb.895:
	global_load_dword v2, v[0:1], off
	s_waitcnt vmcnt(0)
	v_cvt_f64_i32_e32 v[2:3], v2
.LBB54_896:
	s_mov_b64 s[20:21], 0
.LBB54_897:
	s_andn2_b64 vcc, exec, s[20:21]
	s_cbranch_vccnz .LBB54_899
; %bb.898:
	global_load_sshort v2, v[0:1], off
	s_waitcnt vmcnt(0)
	v_cvt_f64_i32_e32 v[2:3], v2
.LBB54_899:
	s_cbranch_execnz .LBB54_905
.LBB54_900:
	v_cmp_lt_i16_e32 vcc, 0, v11
	s_cbranch_vccz .LBB54_902
; %bb.901:
	global_load_sbyte v2, v[0:1], off
	s_mov_b64 s[20:21], 0
	s_waitcnt vmcnt(0)
	v_cvt_f64_i32_e32 v[2:3], v2
	s_branch .LBB54_903
.LBB54_902:
	s_mov_b64 s[20:21], -1
                                        ; implicit-def: $vgpr2_vgpr3
.LBB54_903:
	s_andn2_b64 vcc, exec, s[20:21]
	s_cbranch_vccnz .LBB54_905
; %bb.904:
	global_load_ubyte v0, v[0:1], off
	s_waitcnt vmcnt(0)
	v_cvt_f64_u32_e32 v[2:3], v0
.LBB54_905:
	s_or_b64 s[0:1], s[0:1], exec
.LBB54_906:
	s_or_b64 exec, exec, s[16:17]
	s_mov_b64 s[22:23], 0
	s_mov_b64 s[20:21], 0
                                        ; implicit-def: $vgpr6
                                        ; implicit-def: $vgpr4_vgpr5
                                        ; implicit-def: $vgpr0_vgpr1
	s_and_saveexec_b64 s[16:17], s[0:1]
	s_cbranch_execz .LBB54_981
; %bb.907:
	s_brev_b32 s0, -2
	v_mov_b32_e32 v0, s3
	s_waitcnt vmcnt(0)
	v_mul_lo_u32 v2, v10, s12
	v_bfi_b32 v1, s0, v0, v3
	v_ashrrev_i32_e32 v3, 31, v2
	v_mov_b32_e32 v5, s9
	v_add_co_u32_e32 v4, vcc, s8, v2
	v_mov_b32_e32 v2, 0xff
	v_addc_co_u32_e32 v5, vcc, v5, v3, vcc
	v_and_b32_e32 v6, s33, v2
	v_cmp_gt_i16_e32 vcc, 11, v6
	v_mov_b32_e32 v0, s2
	s_cbranch_vccnz .LBB54_984
; %bb.908:
	v_cmp_lt_i16_e32 vcc, 25, v6
	s_mov_b64 s[22:23], -1
	s_mov_b64 s[0:1], s[14:15]
	s_cbranch_vccz .LBB54_941
; %bb.909:
	v_cmp_lt_i16_e32 vcc, 28, v6
	s_mov_b64 s[20:21], -1
	s_mov_b64 s[0:1], s[14:15]
	s_cbranch_vccz .LBB54_925
; %bb.910:
	v_cmp_lt_i16_e32 vcc, 43, v6
	s_mov_b64 s[0:1], s[14:15]
	s_cbranch_vccz .LBB54_921
; %bb.911:
	v_cmp_lt_i16_e32 vcc, 45, v6
	s_mov_b64 s[0:1], s[14:15]
	s_cbranch_vccz .LBB54_915
; %bb.912:
	v_cmp_eq_u16_e32 vcc, 46, v6
	s_mov_b64 s[0:1], -1
	s_cbranch_vccz .LBB54_914
; %bb.913:
	v_cvt_f32_f64_e32 v2, v[0:1]
	v_bfe_u32 v3, v2, 16, 1
	s_movk_i32 s0, 0x7fff
	v_add3_u32 v3, v2, v3, s0
	v_lshrrev_b32_e32 v3, 16, v3
	v_mov_b32_e32 v7, 0x7fc0
	v_cmp_o_f32_e32 vcc, v2, v2
	v_cndmask_b32_e32 v2, v7, v3, vcc
	global_store_dword v[4:5], v2, off
	s_mov_b64 s[0:1], 0
.LBB54_914:
	s_mov_b64 s[20:21], 0
.LBB54_915:
	s_and_b64 vcc, exec, s[20:21]
	s_cbranch_vccz .LBB54_920
; %bb.916:
	v_cmp_eq_u16_e32 vcc, 44, v6
	s_mov_b64 s[0:1], -1
	s_cbranch_vccz .LBB54_920
; %bb.917:
	v_cvt_f32_f64_e32 v2, v[0:1]
	v_bfe_u32 v3, v2, 23, 8
	s_movk_i32 s0, 0xff
	v_cmp_ne_u32_e32 vcc, s0, v3
	v_mov_b32_e32 v7, 0xff
	s_and_saveexec_b64 s[20:21], vcc
; %bb.918:
	s_mov_b32 s0, 0x3fffff
	v_lshrrev_b32_e32 v7, 23, v2
	v_and_b32_e32 v8, 0x400000, v2
	v_and_or_b32 v2, v2, s0, v3
	v_cmp_ne_u32_e32 vcc, 0, v8
	v_cmp_ne_u32_e64 s[0:1], 0, v2
	s_and_b64 s[0:1], vcc, s[0:1]
	v_cndmask_b32_e64 v2, 0, 1, s[0:1]
	v_add_u32_e32 v7, v7, v2
; %bb.919:
	s_or_b64 exec, exec, s[20:21]
	s_mov_b64 s[0:1], 0
	global_store_byte v[4:5], v7, off
.LBB54_920:
	s_mov_b64 s[20:21], 0
.LBB54_921:
	s_and_b64 vcc, exec, s[20:21]
	s_cbranch_vccz .LBB54_924
; %bb.922:
	v_cmp_eq_u16_e32 vcc, 29, v6
	s_mov_b64 s[0:1], -1
	s_cbranch_vccz .LBB54_924
; %bb.923:
	v_trunc_f64_e32 v[2:3], v[0:1]
	s_movk_i32 s0, 0xffe0
	v_ldexp_f64 v[8:9], v[2:3], s0
	v_floor_f64_e32 v[8:9], v[8:9]
	v_fmac_f64_e32 v[2:3], 0xc1f00000, v[8:9]
	v_cvt_u32_f64_e32 v11, v[8:9]
	v_cvt_u32_f64_e32 v10, v[2:3]
	global_store_dwordx2 v[4:5], v[10:11], off
	s_mov_b64 s[0:1], 0
.LBB54_924:
	s_mov_b64 s[20:21], 0
.LBB54_925:
	s_and_b64 vcc, exec, s[20:21]
	s_cbranch_vccz .LBB54_940
; %bb.926:
	v_cmp_gt_i16_e32 vcc, 27, v6
	s_mov_b64 s[20:21], -1
	s_cbranch_vccnz .LBB54_932
; %bb.927:
	v_cmp_lt_i16_e32 vcc, 27, v6
	v_cvt_u32_f64_e32 v2, v[0:1]
	s_cbranch_vccz .LBB54_929
; %bb.928:
	s_mov_b64 s[20:21], 0
	global_store_dword v[4:5], v2, off
.LBB54_929:
	s_andn2_b64 vcc, exec, s[20:21]
	s_cbranch_vccnz .LBB54_931
; %bb.930:
	global_store_short v[4:5], v2, off
.LBB54_931:
	s_mov_b64 s[20:21], 0
.LBB54_932:
	s_andn2_b64 vcc, exec, s[20:21]
	s_cbranch_vccnz .LBB54_940
; %bb.933:
	v_cvt_f32_f64_e32 v2, v[0:1]
	v_and_b32_e32 v3, 0x7fffffff, v2
	s_mov_b32 s20, 0x43800000
	v_cmp_gt_u32_e32 vcc, s20, v3
	v_mov_b32_e32 v7, 0x80
	s_and_saveexec_b64 s[20:21], vcc
	s_cbranch_execz .LBB54_939
; %bb.934:
	s_mov_b32 s22, 0x3bffffff
	v_cmp_lt_u32_e32 vcc, s22, v3
	s_mov_b64 s[22:23], 0
                                        ; implicit-def: $vgpr3
	s_and_saveexec_b64 s[24:25], vcc
	s_xor_b64 s[24:25], exec, s[24:25]
	s_cbranch_execz .LBB54_1041
; %bb.935:
	v_bfe_u32 v3, v2, 20, 1
	s_mov_b32 s26, 0x487ffff
	v_add3_u32 v3, v2, v3, s26
	s_mov_b64 s[22:23], exec
	v_lshrrev_b32_e32 v3, 20, v3
	s_or_saveexec_b64 s[24:25], s[24:25]
                                        ; implicit-def: $sgpr26
	s_xor_b64 exec, exec, s[24:25]
	s_cbranch_execnz .LBB54_1042
.LBB54_936:
	s_or_b64 exec, exec, s[24:25]
	v_mov_b32_e32 v7, s26
	s_and_saveexec_b64 s[24:25], s[22:23]
.LBB54_937:
	v_lshrrev_b32_e32 v2, 24, v2
	s_movk_i32 s22, 0x80
	v_and_or_b32 v7, v2, s22, v3
.LBB54_938:
	s_or_b64 exec, exec, s[24:25]
.LBB54_939:
	s_or_b64 exec, exec, s[20:21]
	global_store_byte v[4:5], v7, off
.LBB54_940:
	s_mov_b64 s[22:23], 0
.LBB54_941:
	s_mov_b64 s[20:21], 0
	s_and_b64 vcc, exec, s[22:23]
	s_cbranch_vccz .LBB54_985
; %bb.942:
	v_cmp_lt_i16_e32 vcc, 22, v6
	s_mov_b64 s[22:23], -1
	s_cbranch_vccz .LBB54_974
; %bb.943:
	v_cmp_gt_i16_e32 vcc, 24, v6
	s_cbranch_vccnz .LBB54_963
; %bb.944:
	v_cmp_lt_i16_e32 vcc, 24, v6
	s_cbranch_vccz .LBB54_952
; %bb.945:
	v_cvt_f32_f64_e32 v2, v[0:1]
	v_and_b32_e32 v3, 0x7fffffff, v2
	s_mov_b32 s22, 0x47800000
	v_cmp_gt_u32_e32 vcc, s22, v3
	v_mov_b32_e32 v7, 0x80
	s_and_saveexec_b64 s[22:23], vcc
	s_cbranch_execz .LBB54_951
; %bb.946:
	s_mov_b32 s24, 0x37ffffff
	v_cmp_lt_u32_e32 vcc, s24, v3
	s_mov_b64 s[24:25], 0
                                        ; implicit-def: $vgpr3
	s_and_saveexec_b64 s[26:27], vcc
	s_xor_b64 s[26:27], exec, s[26:27]
	s_cbranch_execz .LBB54_1166
; %bb.947:
	v_bfe_u32 v3, v2, 21, 1
	s_mov_b32 s28, 0x88fffff
	v_add3_u32 v3, v2, v3, s28
	s_mov_b64 s[24:25], exec
	v_lshrrev_b32_e32 v3, 21, v3
	s_or_saveexec_b64 s[26:27], s[26:27]
                                        ; implicit-def: $sgpr28
	s_xor_b64 exec, exec, s[26:27]
	s_cbranch_execnz .LBB54_1167
.LBB54_948:
	s_or_b64 exec, exec, s[26:27]
	v_mov_b32_e32 v7, s28
	s_and_saveexec_b64 s[26:27], s[24:25]
.LBB54_949:
	v_lshrrev_b32_e32 v2, 24, v2
	s_movk_i32 s24, 0x80
	v_and_or_b32 v7, v2, s24, v3
.LBB54_950:
	s_or_b64 exec, exec, s[26:27]
.LBB54_951:
	s_or_b64 exec, exec, s[22:23]
	s_mov_b64 s[22:23], 0
	global_store_byte v[4:5], v7, off
.LBB54_952:
	s_and_b64 vcc, exec, s[22:23]
	s_cbranch_vccz .LBB54_962
; %bb.953:
	v_cvt_f32_f64_e32 v2, v[0:1]
	v_and_b32_e32 v7, 0x7fffffff, v2
	s_mov_b32 s22, 0x43f00000
	v_cmp_gt_u32_e32 vcc, s22, v7
                                        ; implicit-def: $vgpr3
	s_and_saveexec_b64 s[22:23], vcc
	s_xor_b64 s[22:23], exec, s[22:23]
	s_cbranch_execz .LBB54_959
; %bb.954:
	s_mov_b32 s24, 0x3c7fffff
	v_cmp_lt_u32_e32 vcc, s24, v7
                                        ; implicit-def: $vgpr3
	s_and_saveexec_b64 s[24:25], vcc
	s_xor_b64 s[24:25], exec, s[24:25]
; %bb.955:
	v_bfe_u32 v3, v2, 20, 1
	s_mov_b32 s26, 0x407ffff
	v_add3_u32 v3, v2, v3, s26
	v_lshrrev_b32_e32 v7, 20, v3
	v_and_b32_e32 v3, 0xff00000, v3
	s_mov_b32 s26, 0x7f00000
	v_mov_b32_e32 v8, 0x7e
	v_cmp_ne_u32_e32 vcc, s26, v3
	v_cndmask_b32_e32 v3, v8, v7, vcc
; %bb.956:
	s_andn2_saveexec_b64 s[24:25], s[24:25]
; %bb.957:
	s_mov_b32 s26, 0x46800000
	v_add_f32_e64 v3, |v2|, s26
; %bb.958:
	s_or_b64 exec, exec, s[24:25]
                                        ; implicit-def: $vgpr7
.LBB54_959:
	s_andn2_saveexec_b64 s[22:23], s[22:23]
; %bb.960:
	s_mov_b32 s24, 0x7f800000
	v_mov_b32_e32 v3, 0x7e
	v_mov_b32_e32 v8, 0x7f
	v_cmp_lt_u32_e32 vcc, s24, v7
	v_cndmask_b32_e32 v3, v3, v8, vcc
; %bb.961:
	s_or_b64 exec, exec, s[22:23]
	v_lshrrev_b32_e32 v2, 24, v2
	s_movk_i32 s22, 0x80
	v_and_or_b32 v2, v2, s22, v3
	global_store_byte v[4:5], v2, off
.LBB54_962:
	s_mov_b64 s[22:23], 0
.LBB54_963:
	s_andn2_b64 vcc, exec, s[22:23]
	s_cbranch_vccnz .LBB54_973
; %bb.964:
	v_cvt_f32_f64_e32 v2, v[0:1]
	v_and_b32_e32 v7, 0x7fffffff, v2
	s_mov_b32 s22, 0x47800000
	v_cmp_gt_u32_e32 vcc, s22, v7
                                        ; implicit-def: $vgpr3
	s_and_saveexec_b64 s[22:23], vcc
	s_xor_b64 s[22:23], exec, s[22:23]
	s_cbranch_execz .LBB54_970
; %bb.965:
	s_mov_b32 s24, 0x387fffff
	v_cmp_lt_u32_e32 vcc, s24, v7
                                        ; implicit-def: $vgpr3
	s_and_saveexec_b64 s[24:25], vcc
	s_xor_b64 s[24:25], exec, s[24:25]
; %bb.966:
	v_bfe_u32 v3, v2, 21, 1
	s_mov_b32 s26, 0x80fffff
	v_add3_u32 v3, v2, v3, s26
	v_lshrrev_b32_e32 v3, 21, v3
; %bb.967:
	s_andn2_saveexec_b64 s[24:25], s[24:25]
; %bb.968:
	s_mov_b32 s26, 0x43000000
	v_add_f32_e64 v3, |v2|, s26
; %bb.969:
	s_or_b64 exec, exec, s[24:25]
                                        ; implicit-def: $vgpr7
.LBB54_970:
	s_andn2_saveexec_b64 s[22:23], s[22:23]
; %bb.971:
	s_mov_b32 s24, 0x7f800000
	v_mov_b32_e32 v3, 0x7c
	v_mov_b32_e32 v8, 0x7f
	v_cmp_lt_u32_e32 vcc, s24, v7
	v_cndmask_b32_e32 v3, v3, v8, vcc
; %bb.972:
	s_or_b64 exec, exec, s[22:23]
	v_lshrrev_b32_e32 v2, 24, v2
	s_movk_i32 s22, 0x80
	v_and_or_b32 v2, v2, s22, v3
	global_store_byte v[4:5], v2, off
.LBB54_973:
	s_mov_b64 s[22:23], 0
.LBB54_974:
	s_andn2_b64 vcc, exec, s[22:23]
	s_mov_b64 s[22:23], 0
	s_cbranch_vccnz .LBB54_986
; %bb.975:
	v_cmp_lt_i16_e32 vcc, 14, v6
	s_mov_b64 s[24:25], -1
	s_cbranch_vccz .LBB54_979
; %bb.976:
	v_cmp_eq_u16_e32 vcc, 15, v6
	s_mov_b64 s[0:1], -1
	s_cbranch_vccz .LBB54_978
; %bb.977:
	v_cvt_f32_f64_e32 v2, v[0:1]
	v_bfe_u32 v3, v2, 16, 1
	s_movk_i32 s0, 0x7fff
	v_add3_u32 v3, v2, v3, s0
	v_lshrrev_b32_e32 v3, 16, v3
	v_mov_b32_e32 v7, 0x7fc0
	v_cmp_o_f32_e32 vcc, v2, v2
	v_cndmask_b32_e32 v2, v7, v3, vcc
	global_store_short v[4:5], v2, off
	s_mov_b64 s[0:1], 0
.LBB54_978:
	s_mov_b64 s[24:25], 0
.LBB54_979:
	s_and_b64 vcc, exec, s[24:25]
	s_cbranch_vccz .LBB54_986
; %bb.980:
	v_cmp_ne_u16_e32 vcc, 11, v6
	s_andn2_b64 s[0:1], s[0:1], exec
	s_and_b64 s[24:25], vcc, exec
	s_mov_b64 s[22:23], -1
	s_or_b64 s[0:1], s[0:1], s[24:25]
	s_branch .LBB54_986
.LBB54_981:
	s_or_b64 exec, exec, s[16:17]
	s_and_saveexec_b64 s[0:1], s[14:15]
	s_cbranch_execnz .LBB54_987
.LBB54_982:
	s_or_b64 exec, exec, s[0:1]
	s_and_saveexec_b64 s[0:1], s[22:23]
	s_xor_b64 s[0:1], exec, s[0:1]
	s_cbranch_execz .LBB54_988
.LBB54_983:
	v_cmp_neq_f64_e32 vcc, 0, v[0:1]
	s_waitcnt vmcnt(0)
	v_cndmask_b32_e64 v2, 0, 1, vcc
	global_store_byte v[4:5], v2, off
	s_or_b64 exec, exec, s[0:1]
	s_and_saveexec_b64 s[0:1], s[20:21]
	s_xor_b64 s[0:1], exec, s[0:1]
	s_cbranch_execz .LBB54_1026
	s_branch .LBB54_989
.LBB54_984:
	s_mov_b64 s[20:21], -1
	s_mov_b64 s[0:1], s[14:15]
	s_branch .LBB54_986
.LBB54_985:
	s_mov_b64 s[22:23], 0
.LBB54_986:
	s_andn2_b64 s[14:15], s[14:15], exec
	s_and_b64 s[0:1], s[0:1], exec
	s_and_b64 s[20:21], s[20:21], exec
	;; [unrolled: 1-line block ×3, first 2 shown]
	s_or_b64 s[14:15], s[14:15], s[0:1]
	s_or_b64 exec, exec, s[16:17]
	s_and_saveexec_b64 s[0:1], s[14:15]
	s_cbranch_execz .LBB54_982
.LBB54_987:
	s_or_b64 s[18:19], s[18:19], exec
	s_andn2_b64 s[22:23], s[22:23], exec
	s_trap 2
	s_or_b64 exec, exec, s[0:1]
	s_and_saveexec_b64 s[0:1], s[22:23]
	s_xor_b64 s[0:1], exec, s[0:1]
	s_cbranch_execnz .LBB54_983
.LBB54_988:
	s_or_b64 exec, exec, s[0:1]
	s_and_saveexec_b64 s[0:1], s[20:21]
	s_xor_b64 s[0:1], exec, s[0:1]
	s_cbranch_execz .LBB54_1026
.LBB54_989:
	v_cmp_gt_i16_e32 vcc, 5, v6
	s_mov_b64 s[14:15], -1
	s_cbranch_vccnz .LBB54_1010
; %bb.990:
	v_cmp_gt_i16_e32 vcc, 8, v6
	s_cbranch_vccnz .LBB54_1000
; %bb.991:
	v_cmp_gt_i16_e32 vcc, 9, v6
	s_cbranch_vccnz .LBB54_997
; %bb.992:
	v_cmp_lt_i16_e32 vcc, 9, v6
	s_cbranch_vccz .LBB54_994
; %bb.993:
	s_waitcnt vmcnt(0)
	v_mov_b32_e32 v2, 0
	v_mov_b32_e32 v3, v2
	s_mov_b64 s[14:15], 0
	global_store_dwordx4 v[4:5], v[0:3], off
.LBB54_994:
	s_andn2_b64 vcc, exec, s[14:15]
	s_cbranch_vccnz .LBB54_996
; %bb.995:
	s_waitcnt vmcnt(0)
	v_cvt_f32_f64_e32 v2, v[0:1]
	v_mov_b32_e32 v3, 0
	global_store_dwordx2 v[4:5], v[2:3], off
.LBB54_996:
	s_mov_b64 s[14:15], 0
.LBB54_997:
	s_andn2_b64 vcc, exec, s[14:15]
	s_cbranch_vccnz .LBB54_999
; %bb.998:
	s_waitcnt vmcnt(0)
	v_cvt_f32_f64_e32 v2, v[0:1]
	v_cvt_f16_f32_e32 v2, v2
	global_store_dword v[4:5], v2, off
.LBB54_999:
	s_mov_b64 s[14:15], 0
.LBB54_1000:
	s_andn2_b64 vcc, exec, s[14:15]
	s_cbranch_vccnz .LBB54_1009
; %bb.1001:
	v_cmp_gt_i16_e32 vcc, 6, v6
	s_mov_b64 s[14:15], -1
	s_cbranch_vccnz .LBB54_1007
; %bb.1002:
	v_cmp_lt_i16_e32 vcc, 6, v6
	s_cbranch_vccz .LBB54_1004
; %bb.1003:
	s_mov_b64 s[14:15], 0
	global_store_dwordx2 v[4:5], v[0:1], off
.LBB54_1004:
	s_andn2_b64 vcc, exec, s[14:15]
	s_cbranch_vccnz .LBB54_1006
; %bb.1005:
	s_waitcnt vmcnt(0)
	v_cvt_f32_f64_e32 v2, v[0:1]
	global_store_dword v[4:5], v2, off
.LBB54_1006:
	s_mov_b64 s[14:15], 0
.LBB54_1007:
	s_andn2_b64 vcc, exec, s[14:15]
	s_cbranch_vccnz .LBB54_1009
; %bb.1008:
	s_waitcnt vmcnt(0)
	v_cvt_f32_f64_e32 v2, v[0:1]
	v_cvt_f16_f32_e32 v2, v2
	global_store_short v[4:5], v2, off
.LBB54_1009:
	s_mov_b64 s[14:15], 0
.LBB54_1010:
	s_andn2_b64 vcc, exec, s[14:15]
	s_cbranch_vccnz .LBB54_1026
; %bb.1011:
	v_cmp_gt_i16_e32 vcc, 2, v6
	s_mov_b64 s[14:15], -1
	s_cbranch_vccnz .LBB54_1021
; %bb.1012:
	v_cmp_gt_i16_e32 vcc, 3, v6
	s_cbranch_vccnz .LBB54_1018
; %bb.1013:
	v_cmp_lt_i16_e32 vcc, 3, v6
	s_cbranch_vccz .LBB54_1015
; %bb.1014:
	s_waitcnt vmcnt(0)
	v_trunc_f64_e32 v[2:3], v[0:1]
	s_movk_i32 s14, 0xffe0
	v_ldexp_f64 v[8:9], v[2:3], s14
	v_floor_f64_e32 v[8:9], v[8:9]
	v_fmac_f64_e32 v[2:3], 0xc1f00000, v[8:9]
	v_cvt_i32_f64_e32 v11, v[8:9]
	v_cvt_u32_f64_e32 v10, v[2:3]
	s_mov_b64 s[14:15], 0
	global_store_dwordx2 v[4:5], v[10:11], off
.LBB54_1015:
	s_andn2_b64 vcc, exec, s[14:15]
	s_cbranch_vccnz .LBB54_1017
; %bb.1016:
	s_waitcnt vmcnt(0)
	v_cvt_i32_f64_e32 v2, v[0:1]
	global_store_dword v[4:5], v2, off
.LBB54_1017:
	s_mov_b64 s[14:15], 0
.LBB54_1018:
	s_andn2_b64 vcc, exec, s[14:15]
	s_cbranch_vccnz .LBB54_1020
; %bb.1019:
	s_waitcnt vmcnt(0)
	v_cvt_i32_f64_e32 v2, v[0:1]
	global_store_short v[4:5], v2, off
.LBB54_1020:
	s_mov_b64 s[14:15], 0
.LBB54_1021:
	s_andn2_b64 vcc, exec, s[14:15]
	s_cbranch_vccnz .LBB54_1026
; %bb.1022:
	v_cmp_lt_i16_e32 vcc, 0, v6
	s_mov_b64 s[14:15], -1
	s_cbranch_vccz .LBB54_1024
; %bb.1023:
	s_waitcnt vmcnt(0)
	v_cvt_i32_f64_e32 v2, v[0:1]
	s_mov_b64 s[14:15], 0
	global_store_byte v[4:5], v2, off
.LBB54_1024:
	s_andn2_b64 vcc, exec, s[14:15]
	s_cbranch_vccnz .LBB54_1026
; %bb.1025:
	v_trunc_f64_e32 v[0:1], v[0:1]
	s_movk_i32 s14, 0xffe0
	s_waitcnt vmcnt(0)
	v_ldexp_f64 v[2:3], v[0:1], s14
	v_floor_f64_e32 v[2:3], v[2:3]
	v_fmac_f64_e32 v[0:1], 0xc1f00000, v[2:3]
	v_cvt_u32_f64_e32 v0, v[0:1]
	global_store_byte v[4:5], v0, off
.LBB54_1026:
	s_or_b64 exec, exec, s[0:1]
	s_and_b64 s[14:15], s[18:19], exec
                                        ; implicit-def: $vgpr10
                                        ; implicit-def: $vgpr11
.LBB54_1027:
	s_or_saveexec_b64 s[6:7], s[6:7]
	s_mov_b64 s[0:1], 0
                                        ; implicit-def: $vgpr6
                                        ; implicit-def: $vgpr4_vgpr5
                                        ; implicit-def: $vgpr0_vgpr1
	s_xor_b64 exec, exec, s[6:7]
	s_cbranch_execz .LBB54_1995
; %bb.1028:
	v_mul_lo_u32 v4, s13, v10
	v_ashrrev_i32_e32 v0, 31, v4
	v_mov_b32_e32 v1, s11
	s_waitcnt vmcnt(0)
	v_add_co_u32_e32 v2, vcc, s10, v4
	v_addc_co_u32_e32 v3, vcc, v1, v0, vcc
	v_cmp_gt_i16_e64 s[0:1], 11, v11
	s_and_b64 vcc, exec, s[0:1]
	s_cbranch_vccnz .LBB54_1035
; %bb.1029:
	v_cmp_lt_i16_e32 vcc, 25, v11
	s_mov_b64 s[18:19], 0
	s_cbranch_vccz .LBB54_1037
; %bb.1030:
	v_cmp_lt_i16_e32 vcc, 28, v11
	s_cbranch_vccz .LBB54_1038
; %bb.1031:
	v_cmp_lt_i16_e32 vcc, 43, v11
	;; [unrolled: 3-line block ×3, first 2 shown]
	s_cbranch_vccz .LBB54_1040
; %bb.1033:
	v_cmp_eq_u16_e32 vcc, 46, v11
	s_mov_b64 s[16:17], 0
	s_cbranch_vccz .LBB54_1043
; %bb.1034:
	global_load_dword v0, v[2:3], off
	s_mov_b64 s[20:21], -1
	s_waitcnt vmcnt(0)
	v_lshlrev_b32_e32 v0, 16, v0
	v_cvt_f64_f32_e32 v[0:1], v0
	s_branch .LBB54_1044
.LBB54_1035:
	s_mov_b64 s[20:21], 0
                                        ; implicit-def: $vgpr0_vgpr1
	s_mov_b64 s[16:17], s[14:15]
	s_cbranch_execnz .LBB54_1107
.LBB54_1036:
	s_andn2_b64 vcc, exec, s[20:21]
                                        ; implicit-def: $vgpr2_vgpr3
	s_cbranch_vccz .LBB54_1152
	s_branch .LBB54_1993
.LBB54_1037:
	s_mov_b64 s[20:21], 0
                                        ; implicit-def: $vgpr0_vgpr1
	s_cbranch_execnz .LBB54_1072
	s_branch .LBB54_1103
.LBB54_1038:
	s_mov_b64 s[16:17], -1
	s_mov_b64 s[20:21], 0
                                        ; implicit-def: $vgpr0_vgpr1
	s_branch .LBB54_1053
.LBB54_1039:
	s_mov_b64 s[20:21], 0
                                        ; implicit-def: $vgpr0_vgpr1
	s_cbranch_execnz .LBB54_1049
	s_branch .LBB54_1052
.LBB54_1040:
	s_mov_b64 s[16:17], -1
	s_mov_b64 s[20:21], 0
                                        ; implicit-def: $vgpr0_vgpr1
	s_branch .LBB54_1044
.LBB54_1041:
	s_or_saveexec_b64 s[24:25], s[24:25]
                                        ; implicit-def: $sgpr26
	s_xor_b64 exec, exec, s[24:25]
	s_cbranch_execz .LBB54_936
.LBB54_1042:
	s_mov_b32 s26, 0x46000000
	v_add_f32_e64 v3, |v2|, s26
	v_and_b32_e32 v3, 0xff, v3
	v_cmp_ne_u32_e32 vcc, 0, v3
	s_andn2_b64 s[22:23], s[22:23], exec
	s_and_b64 s[28:29], vcc, exec
	s_mov_b32 s26, 0
	s_or_b64 s[22:23], s[22:23], s[28:29]
	s_or_b64 exec, exec, s[24:25]
	v_mov_b32_e32 v7, s26
	s_and_saveexec_b64 s[24:25], s[22:23]
	s_cbranch_execnz .LBB54_937
	s_branch .LBB54_938
.LBB54_1043:
	s_mov_b64 s[4:5], -1
                                        ; implicit-def: $vgpr0_vgpr1
	s_mov_b64 s[20:21], 0
.LBB54_1044:
	s_and_b64 vcc, exec, s[16:17]
	s_cbranch_vccz .LBB54_1047
; %bb.1045:
	v_cmp_eq_u16_e32 vcc, 44, v11
	s_cbranch_vccz .LBB54_1048
; %bb.1046:
	global_load_ubyte v5, v[2:3], off
	s_movk_i32 s16, 0xff
	v_mov_b32_e32 v6, 0x7ff80000
	v_bfrev_b32_e32 v7, 28
	s_mov_b64 s[4:5], 0
	s_mov_b64 s[20:21], -1
	s_waitcnt vmcnt(0)
	v_lshlrev_b32_e32 v0, 23, v5
	v_cvt_f64_f32_e32 v[0:1], v0
	v_cmp_ne_u32_e32 vcc, s16, v5
	v_cndmask_b32_e32 v0, v6, v1, vcc
	v_cmp_ne_u32_e32 vcc, 0, v5
	v_cndmask_b32_e32 v1, v7, v0, vcc
.LBB54_1047:
	s_branch .LBB54_1052
.LBB54_1048:
	s_mov_b64 s[4:5], -1
                                        ; implicit-def: $vgpr0_vgpr1
	s_branch .LBB54_1052
.LBB54_1049:
	v_cmp_eq_u16_e32 vcc, 29, v11
	s_cbranch_vccz .LBB54_1051
; %bb.1050:
	global_load_dwordx2 v[0:1], v[2:3], off
	s_mov_b64 s[4:5], 0
	s_mov_b64 s[20:21], -1
	s_mov_b64 s[16:17], 0
	s_waitcnt vmcnt(0)
	v_cvt_f64_u32_e32 v[6:7], v1
	v_cvt_f64_u32_e32 v[0:1], v0
	v_ldexp_f64 v[6:7], v[6:7], 32
	v_add_f64 v[0:1], v[6:7], v[0:1]
	s_branch .LBB54_1053
.LBB54_1051:
	s_mov_b64 s[4:5], -1
                                        ; implicit-def: $vgpr0_vgpr1
.LBB54_1052:
	s_mov_b64 s[16:17], 0
.LBB54_1053:
	s_and_b64 vcc, exec, s[16:17]
	s_cbranch_vccz .LBB54_1071
; %bb.1054:
	v_cmp_gt_i16_e32 vcc, 27, v11
	s_cbranch_vccnz .LBB54_1057
; %bb.1055:
	v_cmp_lt_i16_e32 vcc, 27, v11
	s_cbranch_vccz .LBB54_1058
; %bb.1056:
	global_load_dword v0, v[2:3], off
	s_mov_b64 s[16:17], 0
	s_waitcnt vmcnt(0)
	v_cvt_f64_u32_e32 v[0:1], v0
	s_branch .LBB54_1059
.LBB54_1057:
	s_mov_b64 s[16:17], -1
                                        ; implicit-def: $vgpr0_vgpr1
	s_branch .LBB54_1062
.LBB54_1058:
	s_mov_b64 s[16:17], -1
                                        ; implicit-def: $vgpr0_vgpr1
.LBB54_1059:
	s_andn2_b64 vcc, exec, s[16:17]
	s_cbranch_vccnz .LBB54_1061
; %bb.1060:
	global_load_ushort v0, v[2:3], off
	s_waitcnt vmcnt(0)
	v_cvt_f64_u32_e32 v[0:1], v0
.LBB54_1061:
	s_mov_b64 s[16:17], 0
.LBB54_1062:
	s_andn2_b64 vcc, exec, s[16:17]
	s_cbranch_vccnz .LBB54_1070
; %bb.1063:
	global_load_ubyte v5, v[2:3], off
	s_movk_i32 s16, 0x7f
                                        ; implicit-def: $sgpr20_sgpr21
	s_waitcnt vmcnt(0)
	v_cmp_lt_i16_e32 vcc, s16, v5
	s_mov_b64 s[16:17], 0
	s_and_saveexec_b64 s[22:23], vcc
	s_xor_b64 s[22:23], exec, s[22:23]
	s_cbranch_execz .LBB54_1083
; %bb.1064:
	s_movk_i32 s16, 0x80
	v_cmp_eq_u16_e32 vcc, s16, v5
	s_mov_b64 s[24:25], -1
                                        ; implicit-def: $sgpr20_sgpr21
	s_and_saveexec_b64 s[16:17], vcc
; %bb.1065:
	s_mov_b32 s21, 0x7ff80000
	s_brev_b32 s20, 4
	s_xor_b64 s[24:25], exec, -1
; %bb.1066:
	s_or_b64 exec, exec, s[16:17]
	s_and_b64 s[16:17], s[24:25], exec
	s_or_saveexec_b64 s[22:23], s[22:23]
	v_pk_mov_b32 v[0:1], s[20:21], s[20:21] op_sel:[0,1]
	s_xor_b64 exec, exec, s[22:23]
	s_cbranch_execnz .LBB54_1084
.LBB54_1067:
	s_or_b64 exec, exec, s[22:23]
	s_and_saveexec_b64 s[20:21], s[16:17]
	s_cbranch_execz .LBB54_1069
.LBB54_1068:
	v_and_b32_e32 v1, 0xffff, v5
	v_lshlrev_b32_e32 v0, 24, v5
	v_and_b32_e32 v5, 7, v1
	v_ffbh_u32_e32 v7, v5
	v_min_u32_e32 v7, 32, v7
	v_subrev_u32_e32 v8, 28, v7
	v_bfe_u32 v6, v1, 3, 4
	v_lshlrev_b32_e32 v1, v8, v1
	v_sub_u32_e32 v7, 29, v7
	v_and_b32_e32 v1, 7, v1
	v_cmp_eq_u32_e32 vcc, 0, v6
	v_cndmask_b32_e32 v6, v6, v7, vcc
	v_cndmask_b32_e32 v1, v5, v1, vcc
	v_mov_b32_e32 v5, 0x3b800000
	v_lshlrev_b32_e32 v1, 20, v1
	v_and_b32_e32 v0, 0x80000000, v0
	v_lshl_add_u32 v5, v6, 23, v5
	v_or3_b32 v0, v0, v5, v1
	v_cvt_f64_f32_e32 v[0:1], v0
.LBB54_1069:
	s_or_b64 exec, exec, s[20:21]
.LBB54_1070:
	s_mov_b64 s[20:21], -1
.LBB54_1071:
	s_branch .LBB54_1103
.LBB54_1072:
	v_cmp_lt_i16_e32 vcc, 22, v11
	s_cbranch_vccz .LBB54_1082
; %bb.1073:
	v_cmp_gt_i16_e32 vcc, 24, v11
	s_cbranch_vccnz .LBB54_1085
; %bb.1074:
	v_cmp_lt_i16_e32 vcc, 24, v11
	s_cbranch_vccz .LBB54_1086
; %bb.1075:
	global_load_ubyte v5, v[2:3], off
	s_movk_i32 s16, 0x7f
                                        ; implicit-def: $sgpr18_sgpr19
	s_waitcnt vmcnt(0)
	v_cmp_lt_i16_e32 vcc, s16, v5
	s_mov_b64 s[16:17], 0
	s_and_saveexec_b64 s[20:21], vcc
	s_xor_b64 s[20:21], exec, s[20:21]
	s_cbranch_execz .LBB54_1097
; %bb.1076:
	s_movk_i32 s16, 0x80
	v_cmp_eq_u16_e32 vcc, s16, v5
	s_mov_b64 s[22:23], -1
                                        ; implicit-def: $sgpr18_sgpr19
	s_and_saveexec_b64 s[16:17], vcc
; %bb.1077:
	s_mov_b32 s19, 0x7ff80000
	s_brev_b32 s18, 4
	s_xor_b64 s[22:23], exec, -1
; %bb.1078:
	s_or_b64 exec, exec, s[16:17]
	s_and_b64 s[16:17], s[22:23], exec
	s_or_saveexec_b64 s[20:21], s[20:21]
	v_pk_mov_b32 v[0:1], s[18:19], s[18:19] op_sel:[0,1]
	s_xor_b64 exec, exec, s[20:21]
	s_cbranch_execnz .LBB54_1098
.LBB54_1079:
	s_or_b64 exec, exec, s[20:21]
	s_and_saveexec_b64 s[18:19], s[16:17]
	s_cbranch_execz .LBB54_1081
.LBB54_1080:
	v_and_b32_e32 v1, 0xffff, v5
	v_lshlrev_b32_e32 v0, 24, v5
	v_and_b32_e32 v5, 3, v1
	v_ffbh_u32_e32 v7, v5
	v_min_u32_e32 v7, 32, v7
	v_subrev_u32_e32 v8, 29, v7
	v_bfe_u32 v6, v1, 2, 5
	v_lshlrev_b32_e32 v1, v8, v1
	v_sub_u32_e32 v7, 30, v7
	v_and_b32_e32 v1, 3, v1
	v_cmp_eq_u32_e32 vcc, 0, v6
	v_cndmask_b32_e32 v6, v6, v7, vcc
	v_cndmask_b32_e32 v1, v5, v1, vcc
	v_mov_b32_e32 v5, 0x37800000
	v_lshlrev_b32_e32 v1, 21, v1
	v_and_b32_e32 v0, 0x80000000, v0
	v_lshl_add_u32 v5, v6, 23, v5
	v_or3_b32 v0, v0, v5, v1
	v_cvt_f64_f32_e32 v[0:1], v0
.LBB54_1081:
	s_or_b64 exec, exec, s[18:19]
	s_mov_b64 s[16:17], 0
	s_branch .LBB54_1087
.LBB54_1082:
                                        ; implicit-def: $vgpr0_vgpr1
	s_mov_b64 s[18:19], 0
	s_branch .LBB54_1093
.LBB54_1083:
	s_or_saveexec_b64 s[22:23], s[22:23]
	v_pk_mov_b32 v[0:1], s[20:21], s[20:21] op_sel:[0,1]
	s_xor_b64 exec, exec, s[22:23]
	s_cbranch_execz .LBB54_1067
.LBB54_1084:
	v_cmp_ne_u16_e32 vcc, 0, v5
	s_andn2_b64 s[16:17], s[16:17], exec
	s_and_b64 s[20:21], vcc, exec
	v_pk_mov_b32 v[0:1], 0, 0
	s_or_b64 s[16:17], s[16:17], s[20:21]
	s_or_b64 exec, exec, s[22:23]
	s_and_saveexec_b64 s[20:21], s[16:17]
	s_cbranch_execnz .LBB54_1068
	s_branch .LBB54_1069
.LBB54_1085:
	s_mov_b64 s[16:17], -1
                                        ; implicit-def: $vgpr0_vgpr1
	s_branch .LBB54_1090
.LBB54_1086:
	s_mov_b64 s[16:17], -1
                                        ; implicit-def: $vgpr0_vgpr1
.LBB54_1087:
	s_and_b64 vcc, exec, s[16:17]
	s_cbranch_vccz .LBB54_1089
; %bb.1088:
	global_load_ubyte v0, v[2:3], off
	s_mov_b32 s16, 0x7f800000
	s_waitcnt vmcnt(0)
	v_lshlrev_b32_e32 v0, 24, v0
	v_and_b32_e32 v1, 0x7f000000, v0
	v_ffbh_u32_e32 v5, v1
	v_min_u32_e32 v5, 32, v5
	v_sub_u32_e64 v5, v5, 4 clamp
	v_lshlrev_b32_e32 v7, v5, v1
	v_lshlrev_b32_e32 v5, 23, v5
	v_lshrrev_b32_e32 v7, 4, v7
	v_add_u32_e32 v6, 0x1000000, v1
	v_sub_u32_e32 v5, v7, v5
	v_ashrrev_i32_e32 v6, 8, v6
	v_add_u32_e32 v5, 0x3c000000, v5
	v_and_or_b32 v5, v6, s16, v5
	v_cmp_ne_u32_e32 vcc, 0, v1
	v_cndmask_b32_e32 v1, 0, v5, vcc
	s_brev_b32 s16, 1
	v_and_or_b32 v0, v0, s16, v1
	v_cvt_f64_f32_e32 v[0:1], v0
.LBB54_1089:
	s_mov_b64 s[16:17], 0
.LBB54_1090:
	s_andn2_b64 vcc, exec, s[16:17]
	s_cbranch_vccnz .LBB54_1092
; %bb.1091:
	global_load_ubyte v0, v[2:3], off
	s_movk_i32 s16, 0x7f00
	s_brev_b32 s17, 16
	s_waitcnt vmcnt(0)
	v_lshlrev_b16_e32 v1, 8, v0
	v_lshlrev_b32_e32 v0, 25, v0
	v_lshrrev_b32_e32 v5, 4, v0
	v_and_or_b32 v6, v1, s16, 0.5
	v_or_b32_e32 v5, 0x70000000, v5
	v_add_f32_e32 v6, -0.5, v6
	v_mul_f32_e32 v5, 0x7800000, v5
	v_cmp_gt_u32_e32 vcc, s17, v0
	v_bfe_i32 v1, v1, 0, 16
	v_cndmask_b32_e32 v0, v5, v6, vcc
	s_brev_b32 s16, 1
	v_and_or_b32 v0, v1, s16, v0
	v_cvt_f64_f32_e32 v[0:1], v0
.LBB54_1092:
	s_mov_b64 s[20:21], -1
	s_mov_b64 s[18:19], 0
	s_cbranch_execnz .LBB54_1103
.LBB54_1093:
	v_cmp_lt_i16_e32 vcc, 14, v11
	s_cbranch_vccz .LBB54_1096
; %bb.1094:
	v_cmp_eq_u16_e32 vcc, 15, v11
	s_cbranch_vccz .LBB54_1099
; %bb.1095:
	global_load_ushort v0, v[2:3], off
	s_mov_b64 s[4:5], 0
	s_mov_b64 s[20:21], -1
	s_waitcnt vmcnt(0)
	v_lshlrev_b32_e32 v0, 16, v0
	v_cvt_f64_f32_e32 v[0:1], v0
	s_branch .LBB54_1100
.LBB54_1096:
	s_mov_b64 s[16:17], -1
                                        ; implicit-def: $vgpr0_vgpr1
	s_branch .LBB54_1101
.LBB54_1097:
	s_or_saveexec_b64 s[20:21], s[20:21]
	v_pk_mov_b32 v[0:1], s[18:19], s[18:19] op_sel:[0,1]
	s_xor_b64 exec, exec, s[20:21]
	s_cbranch_execz .LBB54_1079
.LBB54_1098:
	v_cmp_ne_u16_e32 vcc, 0, v5
	s_andn2_b64 s[16:17], s[16:17], exec
	s_and_b64 s[18:19], vcc, exec
	v_pk_mov_b32 v[0:1], 0, 0
	s_or_b64 s[16:17], s[16:17], s[18:19]
	s_or_b64 exec, exec, s[20:21]
	s_and_saveexec_b64 s[18:19], s[16:17]
	s_cbranch_execnz .LBB54_1080
	s_branch .LBB54_1081
.LBB54_1099:
	s_mov_b64 s[4:5], -1
                                        ; implicit-def: $vgpr0_vgpr1
.LBB54_1100:
	s_mov_b64 s[16:17], 0
.LBB54_1101:
	s_and_b64 vcc, exec, s[16:17]
	s_cbranch_vccz .LBB54_1103
; %bb.1102:
	v_cmp_ne_u16_e64 s[4:5], 11, v11
	s_mov_b64 s[18:19], -1
                                        ; implicit-def: $vgpr0_vgpr1
.LBB54_1103:
	s_and_b64 vcc, exec, s[4:5]
	s_mov_b64 s[16:17], s[14:15]
	s_cbranch_vccnz .LBB54_1164
; %bb.1104:
	s_andn2_b64 vcc, exec, s[18:19]
	s_cbranch_vccnz .LBB54_1106
.LBB54_1105:
	global_load_ubyte v0, v[2:3], off
	v_mov_b32_e32 v1, 0x3ff00000
	s_mov_b64 s[20:21], -1
	s_waitcnt vmcnt(0)
	v_cmp_ne_u16_e32 vcc, 0, v0
	v_cndmask_b32_e32 v1, 0, v1, vcc
.LBB54_1106:
	s_branch .LBB54_1036
.LBB54_1107:
	v_cmp_gt_i16_e32 vcc, 5, v11
	s_cbranch_vccnz .LBB54_1112
; %bb.1108:
	v_cmp_gt_i16_e32 vcc, 8, v11
	s_cbranch_vccnz .LBB54_1113
; %bb.1109:
	;; [unrolled: 3-line block ×3, first 2 shown]
	v_cmp_lt_i16_e32 vcc, 9, v11
	s_cbranch_vccz .LBB54_1115
; %bb.1111:
	global_load_dwordx2 v[0:1], v[2:3], off
	s_mov_b64 s[4:5], 0
	s_branch .LBB54_1116
.LBB54_1112:
                                        ; implicit-def: $vgpr0_vgpr1
	s_branch .LBB54_1133
.LBB54_1113:
                                        ; implicit-def: $vgpr0_vgpr1
	s_branch .LBB54_1122
.LBB54_1114:
	s_mov_b64 s[4:5], -1
                                        ; implicit-def: $vgpr0_vgpr1
	s_branch .LBB54_1119
.LBB54_1115:
	s_mov_b64 s[4:5], -1
                                        ; implicit-def: $vgpr0_vgpr1
.LBB54_1116:
	s_andn2_b64 vcc, exec, s[4:5]
	s_cbranch_vccnz .LBB54_1118
; %bb.1117:
	global_load_dword v0, v[2:3], off
	s_waitcnt vmcnt(0)
	v_cvt_f64_f32_e32 v[0:1], v0
.LBB54_1118:
	s_mov_b64 s[4:5], 0
.LBB54_1119:
	s_andn2_b64 vcc, exec, s[4:5]
	s_cbranch_vccnz .LBB54_1121
; %bb.1120:
	global_load_dword v0, v[2:3], off
	s_waitcnt vmcnt(0)
	v_cvt_f32_f16_e32 v0, v0
	v_cvt_f64_f32_e32 v[0:1], v0
.LBB54_1121:
	s_cbranch_execnz .LBB54_1132
.LBB54_1122:
	v_cmp_gt_i16_e32 vcc, 6, v11
	s_cbranch_vccnz .LBB54_1125
; %bb.1123:
	v_cmp_lt_i16_e32 vcc, 6, v11
	s_cbranch_vccz .LBB54_1126
; %bb.1124:
	global_load_dwordx2 v[0:1], v[2:3], off
	s_mov_b64 s[4:5], 0
	s_branch .LBB54_1127
.LBB54_1125:
	s_mov_b64 s[4:5], -1
                                        ; implicit-def: $vgpr0_vgpr1
	s_branch .LBB54_1130
.LBB54_1126:
	s_mov_b64 s[4:5], -1
                                        ; implicit-def: $vgpr0_vgpr1
.LBB54_1127:
	s_andn2_b64 vcc, exec, s[4:5]
	s_cbranch_vccnz .LBB54_1129
; %bb.1128:
	global_load_dword v0, v[2:3], off
	s_waitcnt vmcnt(0)
	v_cvt_f64_f32_e32 v[0:1], v0
.LBB54_1129:
	s_mov_b64 s[4:5], 0
.LBB54_1130:
	s_andn2_b64 vcc, exec, s[4:5]
	s_cbranch_vccnz .LBB54_1132
; %bb.1131:
	global_load_ushort v0, v[2:3], off
	s_waitcnt vmcnt(0)
	v_cvt_f32_f16_e32 v0, v0
	v_cvt_f64_f32_e32 v[0:1], v0
.LBB54_1132:
	s_cbranch_execnz .LBB54_1151
.LBB54_1133:
	v_cmp_gt_i16_e32 vcc, 2, v11
	s_cbranch_vccnz .LBB54_1137
; %bb.1134:
	v_cmp_gt_i16_e32 vcc, 3, v11
	s_cbranch_vccnz .LBB54_1138
; %bb.1135:
	v_cmp_lt_i16_e32 vcc, 3, v11
	s_cbranch_vccz .LBB54_1139
; %bb.1136:
	global_load_dwordx2 v[0:1], v[2:3], off
	s_mov_b64 s[4:5], 0
	s_waitcnt vmcnt(0)
	v_cvt_f64_i32_e32 v[6:7], v1
	v_cvt_f64_u32_e32 v[0:1], v0
	v_ldexp_f64 v[6:7], v[6:7], 32
	v_add_f64 v[0:1], v[6:7], v[0:1]
	s_branch .LBB54_1140
.LBB54_1137:
                                        ; implicit-def: $vgpr0_vgpr1
	s_branch .LBB54_1146
.LBB54_1138:
	s_mov_b64 s[4:5], -1
                                        ; implicit-def: $vgpr0_vgpr1
	s_branch .LBB54_1143
.LBB54_1139:
	s_mov_b64 s[4:5], -1
                                        ; implicit-def: $vgpr0_vgpr1
.LBB54_1140:
	s_andn2_b64 vcc, exec, s[4:5]
	s_cbranch_vccnz .LBB54_1142
; %bb.1141:
	global_load_dword v0, v[2:3], off
	s_waitcnt vmcnt(0)
	v_cvt_f64_i32_e32 v[0:1], v0
.LBB54_1142:
	s_mov_b64 s[4:5], 0
.LBB54_1143:
	s_andn2_b64 vcc, exec, s[4:5]
	s_cbranch_vccnz .LBB54_1145
; %bb.1144:
	global_load_sshort v0, v[2:3], off
	s_waitcnt vmcnt(0)
	v_cvt_f64_i32_e32 v[0:1], v0
.LBB54_1145:
	s_cbranch_execnz .LBB54_1151
.LBB54_1146:
	v_cmp_lt_i16_e32 vcc, 0, v11
	s_cbranch_vccz .LBB54_1148
; %bb.1147:
	global_load_sbyte v0, v[2:3], off
	s_mov_b64 s[4:5], 0
	s_waitcnt vmcnt(0)
	v_cvt_f64_i32_e32 v[0:1], v0
	s_branch .LBB54_1149
.LBB54_1148:
	s_mov_b64 s[4:5], -1
                                        ; implicit-def: $vgpr0_vgpr1
.LBB54_1149:
	s_andn2_b64 vcc, exec, s[4:5]
	s_cbranch_vccnz .LBB54_1151
; %bb.1150:
	global_load_ubyte v0, v[2:3], off
	s_waitcnt vmcnt(0)
	v_cvt_f64_u32_e32 v[0:1], v0
.LBB54_1151:
                                        ; implicit-def: $vgpr2_vgpr3
.LBB54_1152:
	s_lshl_b32 s13, s13, 7
	s_waitcnt vmcnt(0)
	v_add_u32_e32 v0, s13, v4
	v_ashrrev_i32_e32 v3, 31, v0
	v_mov_b32_e32 v4, s11
	v_add_co_u32_e32 v2, vcc, s10, v0
	v_addc_co_u32_e32 v3, vcc, v4, v3, vcc
	s_and_b64 vcc, exec, s[0:1]
	s_cbranch_vccnz .LBB54_1159
; %bb.1153:
	v_cmp_lt_i16_e32 vcc, 25, v11
	s_mov_b64 s[18:19], 0
	s_cbranch_vccz .LBB54_1161
; %bb.1154:
	v_cmp_lt_i16_e32 vcc, 28, v11
	s_cbranch_vccz .LBB54_1162
; %bb.1155:
	v_cmp_lt_i16_e32 vcc, 43, v11
	;; [unrolled: 3-line block ×3, first 2 shown]
	s_cbranch_vccz .LBB54_1165
; %bb.1157:
	v_cmp_eq_u16_e32 vcc, 46, v11
	s_mov_b64 s[22:23], 0
	s_cbranch_vccz .LBB54_1168
; %bb.1158:
	global_load_dword v4, v[2:3], off
	s_mov_b64 s[4:5], 0
	s_mov_b64 s[20:21], -1
	s_waitcnt vmcnt(0)
	v_lshlrev_b32_e32 v4, 16, v4
	v_cvt_f64_f32_e32 v[4:5], v4
	s_branch .LBB54_1169
.LBB54_1159:
	s_mov_b64 s[20:21], 0
                                        ; implicit-def: $vgpr4_vgpr5
	s_cbranch_execnz .LBB54_1234
.LBB54_1160:
	s_andn2_b64 vcc, exec, s[20:21]
	s_cbranch_vccnz .LBB54_1993
	s_branch .LBB54_1281
.LBB54_1161:
	s_mov_b64 s[20:21], 0
	s_mov_b64 s[4:5], 0
                                        ; implicit-def: $vgpr4_vgpr5
	s_cbranch_execnz .LBB54_1198
	s_branch .LBB54_1230
.LBB54_1162:
	s_mov_b64 s[22:23], -1
	s_mov_b64 s[20:21], 0
	s_mov_b64 s[4:5], 0
                                        ; implicit-def: $vgpr4_vgpr5
	s_branch .LBB54_1179
.LBB54_1163:
	s_mov_b64 s[22:23], -1
	s_mov_b64 s[20:21], 0
	s_mov_b64 s[4:5], 0
                                        ; implicit-def: $vgpr4_vgpr5
	s_branch .LBB54_1174
.LBB54_1164:
	s_or_b64 s[16:17], s[14:15], exec
	s_trap 2
                                        ; implicit-def: $vgpr0_vgpr1
	s_cbranch_execz .LBB54_1105
	s_branch .LBB54_1106
.LBB54_1165:
	s_mov_b64 s[22:23], -1
	s_mov_b64 s[20:21], 0
	s_mov_b64 s[4:5], 0
                                        ; implicit-def: $vgpr4_vgpr5
	s_branch .LBB54_1169
.LBB54_1166:
	s_or_saveexec_b64 s[26:27], s[26:27]
                                        ; implicit-def: $sgpr28
	s_xor_b64 exec, exec, s[26:27]
	s_cbranch_execz .LBB54_948
.LBB54_1167:
	s_mov_b32 s28, 0x42800000
	v_add_f32_e64 v3, |v2|, s28
	v_and_b32_e32 v3, 0xff, v3
	v_cmp_ne_u32_e32 vcc, 0, v3
	s_andn2_b64 s[24:25], s[24:25], exec
	s_and_b64 s[30:31], vcc, exec
	s_mov_b32 s28, 0
	s_or_b64 s[24:25], s[24:25], s[30:31]
	s_or_b64 exec, exec, s[26:27]
	v_mov_b32_e32 v7, s28
	s_and_saveexec_b64 s[26:27], s[24:25]
	s_cbranch_execnz .LBB54_949
	s_branch .LBB54_950
.LBB54_1168:
	s_mov_b64 s[4:5], -1
                                        ; implicit-def: $vgpr4_vgpr5
	s_mov_b64 s[20:21], 0
.LBB54_1169:
	s_and_b64 vcc, exec, s[22:23]
	s_cbranch_vccz .LBB54_1173
; %bb.1170:
	v_cmp_eq_u16_e32 vcc, 44, v11
	s_cbranch_vccz .LBB54_1172
; %bb.1171:
	global_load_ubyte v6, v[2:3], off
	s_movk_i32 s20, 0xff
	v_mov_b32_e32 v7, 0x7ff80000
	v_bfrev_b32_e32 v8, 28
	s_mov_b64 s[4:5], 0
	s_waitcnt vmcnt(0)
	v_lshlrev_b32_e32 v4, 23, v6
	v_cvt_f64_f32_e32 v[4:5], v4
	v_cmp_ne_u32_e32 vcc, s20, v6
	v_cndmask_b32_e32 v4, v7, v5, vcc
	v_cmp_ne_u32_e32 vcc, 0, v6
	v_cndmask_b32_e32 v5, v8, v4, vcc
	s_mov_b64 s[20:21], -1
	s_branch .LBB54_1173
.LBB54_1172:
	s_mov_b64 s[4:5], -1
                                        ; implicit-def: $vgpr4_vgpr5
.LBB54_1173:
	s_mov_b64 s[22:23], 0
.LBB54_1174:
	s_and_b64 vcc, exec, s[22:23]
	s_cbranch_vccz .LBB54_1178
; %bb.1175:
	v_cmp_eq_u16_e32 vcc, 29, v11
	s_cbranch_vccz .LBB54_1177
; %bb.1176:
	global_load_dwordx2 v[4:5], v[2:3], off
	s_mov_b64 s[4:5], 0
	s_mov_b64 s[20:21], -1
	s_mov_b64 s[22:23], 0
	s_waitcnt vmcnt(0)
	v_cvt_f64_u32_e32 v[6:7], v5
	v_cvt_f64_u32_e32 v[4:5], v4
	v_ldexp_f64 v[6:7], v[6:7], 32
	v_add_f64 v[4:5], v[6:7], v[4:5]
	s_branch .LBB54_1179
.LBB54_1177:
	s_mov_b64 s[4:5], -1
                                        ; implicit-def: $vgpr4_vgpr5
.LBB54_1178:
	s_mov_b64 s[22:23], 0
.LBB54_1179:
	s_and_b64 vcc, exec, s[22:23]
	s_cbranch_vccz .LBB54_1197
; %bb.1180:
	v_cmp_gt_i16_e32 vcc, 27, v11
	s_cbranch_vccnz .LBB54_1183
; %bb.1181:
	v_cmp_lt_i16_e32 vcc, 27, v11
	s_cbranch_vccz .LBB54_1184
; %bb.1182:
	global_load_dword v4, v[2:3], off
	s_mov_b64 s[20:21], 0
	s_waitcnt vmcnt(0)
	v_cvt_f64_u32_e32 v[4:5], v4
	s_branch .LBB54_1185
.LBB54_1183:
	s_mov_b64 s[20:21], -1
                                        ; implicit-def: $vgpr4_vgpr5
	s_branch .LBB54_1188
.LBB54_1184:
	s_mov_b64 s[20:21], -1
                                        ; implicit-def: $vgpr4_vgpr5
.LBB54_1185:
	s_andn2_b64 vcc, exec, s[20:21]
	s_cbranch_vccnz .LBB54_1187
; %bb.1186:
	global_load_ushort v4, v[2:3], off
	s_waitcnt vmcnt(0)
	v_cvt_f64_u32_e32 v[4:5], v4
.LBB54_1187:
	s_mov_b64 s[20:21], 0
.LBB54_1188:
	s_andn2_b64 vcc, exec, s[20:21]
	s_cbranch_vccnz .LBB54_1196
; %bb.1189:
	global_load_ubyte v6, v[2:3], off
	s_movk_i32 s20, 0x7f
                                        ; implicit-def: $sgpr22_sgpr23
	s_waitcnt vmcnt(0)
	v_cmp_lt_i16_e32 vcc, s20, v6
	s_mov_b64 s[20:21], 0
	s_and_saveexec_b64 s[24:25], vcc
	s_xor_b64 s[24:25], exec, s[24:25]
	s_cbranch_execz .LBB54_1209
; %bb.1190:
	s_movk_i32 s20, 0x80
	v_cmp_eq_u16_e32 vcc, s20, v6
	s_mov_b64 s[26:27], -1
                                        ; implicit-def: $sgpr22_sgpr23
	s_and_saveexec_b64 s[20:21], vcc
; %bb.1191:
	s_mov_b32 s23, 0x7ff80000
	s_brev_b32 s22, 4
	s_xor_b64 s[26:27], exec, -1
; %bb.1192:
	s_or_b64 exec, exec, s[20:21]
	s_and_b64 s[20:21], s[26:27], exec
	s_or_saveexec_b64 s[24:25], s[24:25]
	v_pk_mov_b32 v[4:5], s[22:23], s[22:23] op_sel:[0,1]
	s_xor_b64 exec, exec, s[24:25]
	s_cbranch_execnz .LBB54_1210
.LBB54_1193:
	s_or_b64 exec, exec, s[24:25]
	s_and_saveexec_b64 s[22:23], s[20:21]
	s_cbranch_execz .LBB54_1195
.LBB54_1194:
	v_and_b32_e32 v5, 0xffff, v6
	v_lshlrev_b32_e32 v4, 24, v6
	v_and_b32_e32 v6, 7, v5
	v_ffbh_u32_e32 v8, v6
	v_min_u32_e32 v8, 32, v8
	v_subrev_u32_e32 v9, 28, v8
	v_bfe_u32 v7, v5, 3, 4
	v_lshlrev_b32_e32 v5, v9, v5
	v_sub_u32_e32 v8, 29, v8
	v_and_b32_e32 v5, 7, v5
	v_cmp_eq_u32_e32 vcc, 0, v7
	v_cndmask_b32_e32 v7, v7, v8, vcc
	v_cndmask_b32_e32 v5, v6, v5, vcc
	v_mov_b32_e32 v6, 0x3b800000
	v_lshlrev_b32_e32 v5, 20, v5
	v_and_b32_e32 v4, 0x80000000, v4
	v_lshl_add_u32 v6, v7, 23, v6
	v_or3_b32 v4, v4, v6, v5
	v_cvt_f64_f32_e32 v[4:5], v4
.LBB54_1195:
	s_or_b64 exec, exec, s[22:23]
.LBB54_1196:
	s_mov_b64 s[20:21], -1
.LBB54_1197:
	s_branch .LBB54_1230
.LBB54_1198:
	v_cmp_lt_i16_e32 vcc, 22, v11
	s_cbranch_vccz .LBB54_1208
; %bb.1199:
	v_cmp_gt_i16_e32 vcc, 24, v11
	s_cbranch_vccnz .LBB54_1211
; %bb.1200:
	v_cmp_lt_i16_e32 vcc, 24, v11
	s_cbranch_vccz .LBB54_1212
; %bb.1201:
	global_load_ubyte v6, v[2:3], off
	s_movk_i32 s18, 0x7f
                                        ; implicit-def: $sgpr20_sgpr21
	s_waitcnt vmcnt(0)
	v_cmp_lt_i16_e32 vcc, s18, v6
	s_mov_b64 s[18:19], 0
	s_and_saveexec_b64 s[22:23], vcc
	s_xor_b64 s[22:23], exec, s[22:23]
	s_cbranch_execz .LBB54_1224
; %bb.1202:
	s_movk_i32 s18, 0x80
	v_cmp_eq_u16_e32 vcc, s18, v6
	s_mov_b64 s[24:25], -1
                                        ; implicit-def: $sgpr20_sgpr21
	s_and_saveexec_b64 s[18:19], vcc
; %bb.1203:
	s_mov_b32 s21, 0x7ff80000
	s_brev_b32 s20, 4
	s_xor_b64 s[24:25], exec, -1
; %bb.1204:
	s_or_b64 exec, exec, s[18:19]
	s_and_b64 s[18:19], s[24:25], exec
	s_or_saveexec_b64 s[22:23], s[22:23]
	v_pk_mov_b32 v[4:5], s[20:21], s[20:21] op_sel:[0,1]
	s_xor_b64 exec, exec, s[22:23]
	s_cbranch_execnz .LBB54_1225
.LBB54_1205:
	s_or_b64 exec, exec, s[22:23]
	s_and_saveexec_b64 s[20:21], s[18:19]
	s_cbranch_execz .LBB54_1207
.LBB54_1206:
	v_and_b32_e32 v5, 0xffff, v6
	v_lshlrev_b32_e32 v4, 24, v6
	v_and_b32_e32 v6, 3, v5
	v_ffbh_u32_e32 v8, v6
	v_min_u32_e32 v8, 32, v8
	v_subrev_u32_e32 v9, 29, v8
	v_bfe_u32 v7, v5, 2, 5
	v_lshlrev_b32_e32 v5, v9, v5
	v_sub_u32_e32 v8, 30, v8
	v_and_b32_e32 v5, 3, v5
	v_cmp_eq_u32_e32 vcc, 0, v7
	v_cndmask_b32_e32 v7, v7, v8, vcc
	v_cndmask_b32_e32 v5, v6, v5, vcc
	v_mov_b32_e32 v6, 0x37800000
	v_lshlrev_b32_e32 v5, 21, v5
	v_and_b32_e32 v4, 0x80000000, v4
	v_lshl_add_u32 v6, v7, 23, v6
	v_or3_b32 v4, v4, v6, v5
	v_cvt_f64_f32_e32 v[4:5], v4
.LBB54_1207:
	s_or_b64 exec, exec, s[20:21]
	s_mov_b64 s[18:19], 0
	s_branch .LBB54_1213
.LBB54_1208:
	s_mov_b64 s[18:19], -1
                                        ; implicit-def: $vgpr4_vgpr5
	s_branch .LBB54_1219
.LBB54_1209:
	s_or_saveexec_b64 s[24:25], s[24:25]
	v_pk_mov_b32 v[4:5], s[22:23], s[22:23] op_sel:[0,1]
	s_xor_b64 exec, exec, s[24:25]
	s_cbranch_execz .LBB54_1193
.LBB54_1210:
	v_cmp_ne_u16_e32 vcc, 0, v6
	s_andn2_b64 s[20:21], s[20:21], exec
	s_and_b64 s[22:23], vcc, exec
	v_pk_mov_b32 v[4:5], 0, 0
	s_or_b64 s[20:21], s[20:21], s[22:23]
	s_or_b64 exec, exec, s[24:25]
	s_and_saveexec_b64 s[22:23], s[20:21]
	s_cbranch_execnz .LBB54_1194
	s_branch .LBB54_1195
.LBB54_1211:
	s_mov_b64 s[18:19], -1
                                        ; implicit-def: $vgpr4_vgpr5
	s_branch .LBB54_1216
.LBB54_1212:
	s_mov_b64 s[18:19], -1
                                        ; implicit-def: $vgpr4_vgpr5
.LBB54_1213:
	s_and_b64 vcc, exec, s[18:19]
	s_cbranch_vccz .LBB54_1215
; %bb.1214:
	global_load_ubyte v4, v[2:3], off
	s_mov_b32 s18, 0x7f800000
	s_waitcnt vmcnt(0)
	v_lshlrev_b32_e32 v4, 24, v4
	v_and_b32_e32 v5, 0x7f000000, v4
	v_ffbh_u32_e32 v6, v5
	v_min_u32_e32 v6, 32, v6
	v_sub_u32_e64 v6, v6, 4 clamp
	v_lshlrev_b32_e32 v8, v6, v5
	v_lshlrev_b32_e32 v6, 23, v6
	v_lshrrev_b32_e32 v8, 4, v8
	v_add_u32_e32 v7, 0x1000000, v5
	v_sub_u32_e32 v6, v8, v6
	v_ashrrev_i32_e32 v7, 8, v7
	v_add_u32_e32 v6, 0x3c000000, v6
	v_and_or_b32 v6, v7, s18, v6
	v_cmp_ne_u32_e32 vcc, 0, v5
	v_cndmask_b32_e32 v5, 0, v6, vcc
	s_brev_b32 s18, 1
	v_and_or_b32 v4, v4, s18, v5
	v_cvt_f64_f32_e32 v[4:5], v4
.LBB54_1215:
	s_mov_b64 s[18:19], 0
.LBB54_1216:
	s_andn2_b64 vcc, exec, s[18:19]
	s_cbranch_vccnz .LBB54_1218
; %bb.1217:
	global_load_ubyte v4, v[2:3], off
	s_movk_i32 s18, 0x7f00
	s_brev_b32 s19, 16
	s_waitcnt vmcnt(0)
	v_lshlrev_b16_e32 v5, 8, v4
	v_lshlrev_b32_e32 v4, 25, v4
	v_lshrrev_b32_e32 v6, 4, v4
	v_and_or_b32 v7, v5, s18, 0.5
	v_or_b32_e32 v6, 0x70000000, v6
	v_add_f32_e32 v7, -0.5, v7
	v_mul_f32_e32 v6, 0x7800000, v6
	v_cmp_gt_u32_e32 vcc, s19, v4
	v_bfe_i32 v5, v5, 0, 16
	v_cndmask_b32_e32 v4, v6, v7, vcc
	s_brev_b32 s18, 1
	v_and_or_b32 v4, v5, s18, v4
	v_cvt_f64_f32_e32 v[4:5], v4
.LBB54_1218:
	s_mov_b64 s[18:19], 0
	s_mov_b64 s[20:21], -1
.LBB54_1219:
	s_andn2_b64 vcc, exec, s[18:19]
	s_mov_b64 s[18:19], 0
	s_cbranch_vccnz .LBB54_1230
; %bb.1220:
	v_cmp_lt_i16_e32 vcc, 14, v11
	s_cbranch_vccz .LBB54_1223
; %bb.1221:
	v_cmp_eq_u16_e32 vcc, 15, v11
	s_cbranch_vccz .LBB54_1226
; %bb.1222:
	global_load_ushort v4, v[2:3], off
	s_mov_b64 s[4:5], 0
	s_mov_b64 s[20:21], -1
	s_waitcnt vmcnt(0)
	v_lshlrev_b32_e32 v4, 16, v4
	v_cvt_f64_f32_e32 v[4:5], v4
	s_branch .LBB54_1227
.LBB54_1223:
	s_mov_b64 s[22:23], -1
                                        ; implicit-def: $vgpr4_vgpr5
	s_branch .LBB54_1228
.LBB54_1224:
	s_or_saveexec_b64 s[22:23], s[22:23]
	v_pk_mov_b32 v[4:5], s[20:21], s[20:21] op_sel:[0,1]
	s_xor_b64 exec, exec, s[22:23]
	s_cbranch_execz .LBB54_1205
.LBB54_1225:
	v_cmp_ne_u16_e32 vcc, 0, v6
	s_andn2_b64 s[18:19], s[18:19], exec
	s_and_b64 s[20:21], vcc, exec
	v_pk_mov_b32 v[4:5], 0, 0
	s_or_b64 s[18:19], s[18:19], s[20:21]
	s_or_b64 exec, exec, s[22:23]
	s_and_saveexec_b64 s[20:21], s[18:19]
	s_cbranch_execnz .LBB54_1206
	s_branch .LBB54_1207
.LBB54_1226:
	s_mov_b64 s[4:5], -1
                                        ; implicit-def: $vgpr4_vgpr5
.LBB54_1227:
	s_mov_b64 s[22:23], 0
.LBB54_1228:
	s_and_b64 vcc, exec, s[22:23]
	s_cbranch_vccz .LBB54_1230
; %bb.1229:
	v_cmp_ne_u16_e64 s[4:5], 11, v11
	s_mov_b64 s[18:19], -1
                                        ; implicit-def: $vgpr4_vgpr5
.LBB54_1230:
	s_and_b64 vcc, exec, s[4:5]
	s_cbranch_vccnz .LBB54_1293
; %bb.1231:
	s_andn2_b64 vcc, exec, s[18:19]
	s_cbranch_vccnz .LBB54_1233
.LBB54_1232:
	global_load_ubyte v4, v[2:3], off
	v_mov_b32_e32 v5, 0x3ff00000
	s_mov_b64 s[20:21], -1
	s_waitcnt vmcnt(0)
	v_cmp_ne_u16_e32 vcc, 0, v4
	v_cndmask_b32_e32 v5, 0, v5, vcc
.LBB54_1233:
	s_branch .LBB54_1160
.LBB54_1234:
	v_cmp_gt_i16_e32 vcc, 5, v11
	s_cbranch_vccnz .LBB54_1239
; %bb.1235:
	v_cmp_gt_i16_e32 vcc, 8, v11
	s_cbranch_vccnz .LBB54_1240
; %bb.1236:
	;; [unrolled: 3-line block ×3, first 2 shown]
	v_cmp_lt_i16_e32 vcc, 9, v11
	s_cbranch_vccz .LBB54_1242
; %bb.1238:
	global_load_dwordx2 v[4:5], v[2:3], off
	s_mov_b64 s[4:5], 0
	s_branch .LBB54_1243
.LBB54_1239:
                                        ; implicit-def: $vgpr4_vgpr5
	s_branch .LBB54_1261
.LBB54_1240:
	s_mov_b64 s[4:5], -1
                                        ; implicit-def: $vgpr4_vgpr5
	s_branch .LBB54_1249
.LBB54_1241:
	s_mov_b64 s[4:5], -1
                                        ; implicit-def: $vgpr4_vgpr5
	s_branch .LBB54_1246
.LBB54_1242:
	s_mov_b64 s[4:5], -1
                                        ; implicit-def: $vgpr4_vgpr5
.LBB54_1243:
	s_andn2_b64 vcc, exec, s[4:5]
	s_cbranch_vccnz .LBB54_1245
; %bb.1244:
	global_load_dword v4, v[2:3], off
	s_waitcnt vmcnt(0)
	v_cvt_f64_f32_e32 v[4:5], v4
.LBB54_1245:
	s_mov_b64 s[4:5], 0
.LBB54_1246:
	s_andn2_b64 vcc, exec, s[4:5]
	s_cbranch_vccnz .LBB54_1248
; %bb.1247:
	global_load_dword v4, v[2:3], off
	s_waitcnt vmcnt(0)
	v_cvt_f32_f16_e32 v4, v4
	v_cvt_f64_f32_e32 v[4:5], v4
.LBB54_1248:
	s_mov_b64 s[4:5], 0
.LBB54_1249:
	s_andn2_b64 vcc, exec, s[4:5]
	s_cbranch_vccnz .LBB54_1260
; %bb.1250:
	v_cmp_gt_i16_e32 vcc, 6, v11
	s_cbranch_vccnz .LBB54_1253
; %bb.1251:
	v_cmp_lt_i16_e32 vcc, 6, v11
	s_cbranch_vccz .LBB54_1254
; %bb.1252:
	global_load_dwordx2 v[4:5], v[2:3], off
	s_mov_b64 s[4:5], 0
	s_branch .LBB54_1255
.LBB54_1253:
	s_mov_b64 s[4:5], -1
                                        ; implicit-def: $vgpr4_vgpr5
	s_branch .LBB54_1258
.LBB54_1254:
	s_mov_b64 s[4:5], -1
                                        ; implicit-def: $vgpr4_vgpr5
.LBB54_1255:
	s_andn2_b64 vcc, exec, s[4:5]
	s_cbranch_vccnz .LBB54_1257
; %bb.1256:
	global_load_dword v4, v[2:3], off
	s_waitcnt vmcnt(0)
	v_cvt_f64_f32_e32 v[4:5], v4
.LBB54_1257:
	s_mov_b64 s[4:5], 0
.LBB54_1258:
	s_andn2_b64 vcc, exec, s[4:5]
	s_cbranch_vccnz .LBB54_1260
; %bb.1259:
	global_load_ushort v4, v[2:3], off
	s_waitcnt vmcnt(0)
	v_cvt_f32_f16_e32 v4, v4
	v_cvt_f64_f32_e32 v[4:5], v4
.LBB54_1260:
	s_cbranch_execnz .LBB54_1280
.LBB54_1261:
	v_cmp_gt_i16_e32 vcc, 2, v11
	s_cbranch_vccnz .LBB54_1265
; %bb.1262:
	v_cmp_gt_i16_e32 vcc, 3, v11
	s_cbranch_vccnz .LBB54_1266
; %bb.1263:
	v_cmp_lt_i16_e32 vcc, 3, v11
	s_cbranch_vccz .LBB54_1267
; %bb.1264:
	global_load_dwordx2 v[4:5], v[2:3], off
	s_mov_b64 s[4:5], 0
	s_waitcnt vmcnt(0)
	v_cvt_f64_i32_e32 v[6:7], v5
	v_cvt_f64_u32_e32 v[4:5], v4
	v_ldexp_f64 v[6:7], v[6:7], 32
	v_add_f64 v[4:5], v[6:7], v[4:5]
	s_branch .LBB54_1268
.LBB54_1265:
	s_mov_b64 s[4:5], -1
                                        ; implicit-def: $vgpr4_vgpr5
	s_branch .LBB54_1274
.LBB54_1266:
	s_mov_b64 s[4:5], -1
                                        ; implicit-def: $vgpr4_vgpr5
	s_branch .LBB54_1271
.LBB54_1267:
	s_mov_b64 s[4:5], -1
                                        ; implicit-def: $vgpr4_vgpr5
.LBB54_1268:
	s_andn2_b64 vcc, exec, s[4:5]
	s_cbranch_vccnz .LBB54_1270
; %bb.1269:
	global_load_dword v4, v[2:3], off
	s_waitcnt vmcnt(0)
	v_cvt_f64_i32_e32 v[4:5], v4
.LBB54_1270:
	s_mov_b64 s[4:5], 0
.LBB54_1271:
	s_andn2_b64 vcc, exec, s[4:5]
	s_cbranch_vccnz .LBB54_1273
; %bb.1272:
	global_load_sshort v4, v[2:3], off
	s_waitcnt vmcnt(0)
	v_cvt_f64_i32_e32 v[4:5], v4
.LBB54_1273:
	s_mov_b64 s[4:5], 0
.LBB54_1274:
	s_andn2_b64 vcc, exec, s[4:5]
	s_cbranch_vccnz .LBB54_1280
; %bb.1275:
	v_cmp_lt_i16_e32 vcc, 0, v11
	s_cbranch_vccz .LBB54_1277
; %bb.1276:
	global_load_sbyte v4, v[2:3], off
	s_mov_b64 s[4:5], 0
	s_waitcnt vmcnt(0)
	v_cvt_f64_i32_e32 v[4:5], v4
	s_branch .LBB54_1278
.LBB54_1277:
	s_mov_b64 s[4:5], -1
                                        ; implicit-def: $vgpr4_vgpr5
.LBB54_1278:
	s_andn2_b64 vcc, exec, s[4:5]
	s_cbranch_vccnz .LBB54_1280
; %bb.1279:
	global_load_ubyte v2, v[2:3], off
	s_waitcnt vmcnt(0)
	v_cvt_f64_u32_e32 v[4:5], v2
.LBB54_1280:
.LBB54_1281:
	v_add_u32_e32 v0, s13, v0
	v_ashrrev_i32_e32 v3, 31, v0
	s_waitcnt vmcnt(0)
	v_mov_b32_e32 v4, s11
	v_add_co_u32_e32 v2, vcc, s10, v0
	v_addc_co_u32_e32 v3, vcc, v4, v3, vcc
	s_and_b64 vcc, exec, s[0:1]
	s_cbranch_vccnz .LBB54_1288
; %bb.1282:
	v_cmp_lt_i16_e32 vcc, 25, v11
	s_mov_b64 s[18:19], 0
	s_cbranch_vccz .LBB54_1290
; %bb.1283:
	v_cmp_lt_i16_e32 vcc, 28, v11
	s_cbranch_vccz .LBB54_1291
; %bb.1284:
	v_cmp_lt_i16_e32 vcc, 43, v11
	;; [unrolled: 3-line block ×3, first 2 shown]
	s_cbranch_vccz .LBB54_1294
; %bb.1286:
	v_cmp_eq_u16_e32 vcc, 46, v11
	s_mov_b64 s[22:23], 0
	s_cbranch_vccz .LBB54_1295
; %bb.1287:
	global_load_dword v4, v[2:3], off
	s_mov_b64 s[4:5], 0
	s_mov_b64 s[20:21], -1
	s_waitcnt vmcnt(0)
	v_lshlrev_b32_e32 v4, 16, v4
	v_cvt_f64_f32_e32 v[6:7], v4
	s_branch .LBB54_1296
.LBB54_1288:
	s_mov_b64 s[20:21], 0
                                        ; implicit-def: $vgpr6_vgpr7
	s_cbranch_execnz .LBB54_1362
.LBB54_1289:
	s_andn2_b64 vcc, exec, s[20:21]
	s_cbranch_vccnz .LBB54_1993
	s_branch .LBB54_1410
.LBB54_1290:
	s_mov_b64 s[22:23], -1
	s_mov_b64 s[20:21], 0
	s_mov_b64 s[4:5], 0
                                        ; implicit-def: $vgpr6_vgpr7
	s_branch .LBB54_1325
.LBB54_1291:
	s_mov_b64 s[22:23], -1
	s_mov_b64 s[20:21], 0
	s_mov_b64 s[4:5], 0
                                        ; implicit-def: $vgpr6_vgpr7
	s_branch .LBB54_1306
.LBB54_1292:
	s_mov_b64 s[22:23], -1
	s_mov_b64 s[20:21], 0
	s_mov_b64 s[4:5], 0
                                        ; implicit-def: $vgpr6_vgpr7
	s_branch .LBB54_1301
.LBB54_1293:
	s_trap 2
	s_or_b64 s[16:17], s[16:17], exec
                                        ; implicit-def: $vgpr4_vgpr5
	s_cbranch_execz .LBB54_1232
	s_branch .LBB54_1233
.LBB54_1294:
	s_mov_b64 s[22:23], -1
	s_mov_b64 s[20:21], 0
	s_mov_b64 s[4:5], 0
                                        ; implicit-def: $vgpr6_vgpr7
	s_branch .LBB54_1296
.LBB54_1295:
	s_mov_b64 s[4:5], -1
                                        ; implicit-def: $vgpr6_vgpr7
	s_mov_b64 s[20:21], 0
.LBB54_1296:
	s_and_b64 vcc, exec, s[22:23]
	s_cbranch_vccz .LBB54_1300
; %bb.1297:
	v_cmp_eq_u16_e32 vcc, 44, v11
	s_cbranch_vccz .LBB54_1299
; %bb.1298:
	global_load_ubyte v4, v[2:3], off
	s_movk_i32 s20, 0xff
	v_mov_b32_e32 v8, 0x7ff80000
	v_bfrev_b32_e32 v9, 28
	s_mov_b64 s[4:5], 0
	s_waitcnt vmcnt(0)
	v_lshlrev_b32_e32 v6, 23, v4
	v_cvt_f64_f32_e32 v[6:7], v6
	v_cmp_ne_u32_e32 vcc, s20, v4
	v_cndmask_b32_e32 v6, v8, v7, vcc
	v_cmp_ne_u32_e32 vcc, 0, v4
	v_cndmask_b32_e32 v7, v9, v6, vcc
	s_mov_b64 s[20:21], -1
	s_branch .LBB54_1300
.LBB54_1299:
	s_mov_b64 s[4:5], -1
                                        ; implicit-def: $vgpr6_vgpr7
.LBB54_1300:
	s_mov_b64 s[22:23], 0
.LBB54_1301:
	s_and_b64 vcc, exec, s[22:23]
	s_cbranch_vccz .LBB54_1305
; %bb.1302:
	v_cmp_eq_u16_e32 vcc, 29, v11
	s_cbranch_vccz .LBB54_1304
; %bb.1303:
	global_load_dwordx2 v[6:7], v[2:3], off
	s_mov_b64 s[4:5], 0
	s_mov_b64 s[20:21], -1
	s_mov_b64 s[22:23], 0
	s_waitcnt vmcnt(0)
	v_cvt_f64_u32_e32 v[8:9], v7
	v_cvt_f64_u32_e32 v[6:7], v6
	v_ldexp_f64 v[8:9], v[8:9], 32
	v_add_f64 v[6:7], v[8:9], v[6:7]
	s_branch .LBB54_1306
.LBB54_1304:
	s_mov_b64 s[4:5], -1
                                        ; implicit-def: $vgpr6_vgpr7
.LBB54_1305:
	s_mov_b64 s[22:23], 0
.LBB54_1306:
	s_and_b64 vcc, exec, s[22:23]
	s_cbranch_vccz .LBB54_1324
; %bb.1307:
	v_cmp_gt_i16_e32 vcc, 27, v11
	s_cbranch_vccnz .LBB54_1310
; %bb.1308:
	v_cmp_lt_i16_e32 vcc, 27, v11
	s_cbranch_vccz .LBB54_1311
; %bb.1309:
	global_load_dword v4, v[2:3], off
	s_mov_b64 s[20:21], 0
	s_waitcnt vmcnt(0)
	v_cvt_f64_u32_e32 v[6:7], v4
	s_branch .LBB54_1312
.LBB54_1310:
	s_mov_b64 s[20:21], -1
                                        ; implicit-def: $vgpr6_vgpr7
	s_branch .LBB54_1315
.LBB54_1311:
	s_mov_b64 s[20:21], -1
                                        ; implicit-def: $vgpr6_vgpr7
.LBB54_1312:
	s_andn2_b64 vcc, exec, s[20:21]
	s_cbranch_vccnz .LBB54_1314
; %bb.1313:
	global_load_ushort v4, v[2:3], off
	s_waitcnt vmcnt(0)
	v_cvt_f64_u32_e32 v[6:7], v4
.LBB54_1314:
	s_mov_b64 s[20:21], 0
.LBB54_1315:
	s_andn2_b64 vcc, exec, s[20:21]
	s_cbranch_vccnz .LBB54_1323
; %bb.1316:
	global_load_ubyte v4, v[2:3], off
	s_movk_i32 s20, 0x7f
                                        ; implicit-def: $sgpr22_sgpr23
	s_waitcnt vmcnt(0)
	v_cmp_lt_i16_e32 vcc, s20, v4
	s_mov_b64 s[20:21], 0
	s_and_saveexec_b64 s[24:25], vcc
	s_xor_b64 s[24:25], exec, s[24:25]
	s_cbranch_execz .LBB54_1337
; %bb.1317:
	s_movk_i32 s20, 0x80
	v_cmp_eq_u16_e32 vcc, s20, v4
	s_mov_b64 s[26:27], -1
                                        ; implicit-def: $sgpr22_sgpr23
	s_and_saveexec_b64 s[20:21], vcc
; %bb.1318:
	s_mov_b32 s23, 0x7ff80000
	s_brev_b32 s22, 4
	s_xor_b64 s[26:27], exec, -1
; %bb.1319:
	s_or_b64 exec, exec, s[20:21]
	s_and_b64 s[20:21], s[26:27], exec
	s_or_saveexec_b64 s[24:25], s[24:25]
	v_pk_mov_b32 v[6:7], s[22:23], s[22:23] op_sel:[0,1]
	s_xor_b64 exec, exec, s[24:25]
	s_cbranch_execnz .LBB54_1338
.LBB54_1320:
	s_or_b64 exec, exec, s[24:25]
	s_and_saveexec_b64 s[22:23], s[20:21]
	s_cbranch_execz .LBB54_1322
.LBB54_1321:
	v_lshlrev_b32_e32 v6, 24, v4
	v_and_b32_e32 v4, 0xffff, v4
	v_and_b32_e32 v7, 7, v4
	v_ffbh_u32_e32 v9, v7
	v_min_u32_e32 v9, 32, v9
	v_subrev_u32_e32 v12, 28, v9
	v_bfe_u32 v8, v4, 3, 4
	v_lshlrev_b32_e32 v4, v12, v4
	v_sub_u32_e32 v9, 29, v9
	v_and_b32_e32 v4, 7, v4
	v_cmp_eq_u32_e32 vcc, 0, v8
	v_cndmask_b32_e32 v8, v8, v9, vcc
	v_cndmask_b32_e32 v4, v7, v4, vcc
	v_mov_b32_e32 v7, 0x3b800000
	v_lshlrev_b32_e32 v4, 20, v4
	v_and_b32_e32 v6, 0x80000000, v6
	v_lshl_add_u32 v7, v8, 23, v7
	v_or3_b32 v4, v6, v7, v4
	v_cvt_f64_f32_e32 v[6:7], v4
.LBB54_1322:
	s_or_b64 exec, exec, s[22:23]
.LBB54_1323:
	s_mov_b64 s[20:21], -1
.LBB54_1324:
	s_mov_b64 s[22:23], 0
.LBB54_1325:
	s_and_b64 vcc, exec, s[22:23]
	s_cbranch_vccz .LBB54_1358
; %bb.1326:
	v_cmp_lt_i16_e32 vcc, 22, v11
	s_cbranch_vccz .LBB54_1336
; %bb.1327:
	v_cmp_gt_i16_e32 vcc, 24, v11
	s_cbranch_vccnz .LBB54_1339
; %bb.1328:
	v_cmp_lt_i16_e32 vcc, 24, v11
	s_cbranch_vccz .LBB54_1340
; %bb.1329:
	global_load_ubyte v4, v[2:3], off
	s_movk_i32 s18, 0x7f
                                        ; implicit-def: $sgpr20_sgpr21
	s_waitcnt vmcnt(0)
	v_cmp_lt_i16_e32 vcc, s18, v4
	s_mov_b64 s[18:19], 0
	s_and_saveexec_b64 s[22:23], vcc
	s_xor_b64 s[22:23], exec, s[22:23]
	s_cbranch_execz .LBB54_1352
; %bb.1330:
	s_movk_i32 s18, 0x80
	v_cmp_eq_u16_e32 vcc, s18, v4
	s_mov_b64 s[24:25], -1
                                        ; implicit-def: $sgpr20_sgpr21
	s_and_saveexec_b64 s[18:19], vcc
; %bb.1331:
	s_mov_b32 s21, 0x7ff80000
	s_brev_b32 s20, 4
	s_xor_b64 s[24:25], exec, -1
; %bb.1332:
	s_or_b64 exec, exec, s[18:19]
	s_and_b64 s[18:19], s[24:25], exec
	s_or_saveexec_b64 s[22:23], s[22:23]
	v_pk_mov_b32 v[6:7], s[20:21], s[20:21] op_sel:[0,1]
	s_xor_b64 exec, exec, s[22:23]
	s_cbranch_execnz .LBB54_1353
.LBB54_1333:
	s_or_b64 exec, exec, s[22:23]
	s_and_saveexec_b64 s[20:21], s[18:19]
	s_cbranch_execz .LBB54_1335
.LBB54_1334:
	v_lshlrev_b32_e32 v6, 24, v4
	v_and_b32_e32 v4, 0xffff, v4
	v_and_b32_e32 v7, 3, v4
	v_ffbh_u32_e32 v9, v7
	v_min_u32_e32 v9, 32, v9
	v_subrev_u32_e32 v12, 29, v9
	v_bfe_u32 v8, v4, 2, 5
	v_lshlrev_b32_e32 v4, v12, v4
	v_sub_u32_e32 v9, 30, v9
	v_and_b32_e32 v4, 3, v4
	v_cmp_eq_u32_e32 vcc, 0, v8
	v_cndmask_b32_e32 v8, v8, v9, vcc
	v_cndmask_b32_e32 v4, v7, v4, vcc
	v_mov_b32_e32 v7, 0x37800000
	v_lshlrev_b32_e32 v4, 21, v4
	v_and_b32_e32 v6, 0x80000000, v6
	v_lshl_add_u32 v7, v8, 23, v7
	v_or3_b32 v4, v6, v7, v4
	v_cvt_f64_f32_e32 v[6:7], v4
.LBB54_1335:
	s_or_b64 exec, exec, s[20:21]
	s_mov_b64 s[18:19], 0
	s_branch .LBB54_1341
.LBB54_1336:
	s_mov_b64 s[18:19], -1
                                        ; implicit-def: $vgpr6_vgpr7
	s_branch .LBB54_1347
.LBB54_1337:
	s_or_saveexec_b64 s[24:25], s[24:25]
	v_pk_mov_b32 v[6:7], s[22:23], s[22:23] op_sel:[0,1]
	s_xor_b64 exec, exec, s[24:25]
	s_cbranch_execz .LBB54_1320
.LBB54_1338:
	v_cmp_ne_u16_e32 vcc, 0, v4
	s_andn2_b64 s[20:21], s[20:21], exec
	s_and_b64 s[22:23], vcc, exec
	v_pk_mov_b32 v[6:7], 0, 0
	s_or_b64 s[20:21], s[20:21], s[22:23]
	s_or_b64 exec, exec, s[24:25]
	s_and_saveexec_b64 s[22:23], s[20:21]
	s_cbranch_execnz .LBB54_1321
	s_branch .LBB54_1322
.LBB54_1339:
	s_mov_b64 s[18:19], -1
                                        ; implicit-def: $vgpr6_vgpr7
	s_branch .LBB54_1344
.LBB54_1340:
	s_mov_b64 s[18:19], -1
                                        ; implicit-def: $vgpr6_vgpr7
.LBB54_1341:
	s_and_b64 vcc, exec, s[18:19]
	s_cbranch_vccz .LBB54_1343
; %bb.1342:
	global_load_ubyte v4, v[2:3], off
	s_mov_b32 s18, 0x7f800000
	s_waitcnt vmcnt(0)
	v_lshlrev_b32_e32 v4, 24, v4
	v_and_b32_e32 v6, 0x7f000000, v4
	v_ffbh_u32_e32 v7, v6
	v_min_u32_e32 v7, 32, v7
	v_sub_u32_e64 v7, v7, 4 clamp
	v_lshlrev_b32_e32 v9, v7, v6
	v_lshlrev_b32_e32 v7, 23, v7
	v_lshrrev_b32_e32 v9, 4, v9
	v_add_u32_e32 v8, 0x1000000, v6
	v_sub_u32_e32 v7, v9, v7
	v_ashrrev_i32_e32 v8, 8, v8
	v_add_u32_e32 v7, 0x3c000000, v7
	v_and_or_b32 v7, v8, s18, v7
	v_cmp_ne_u32_e32 vcc, 0, v6
	v_cndmask_b32_e32 v6, 0, v7, vcc
	s_brev_b32 s18, 1
	v_and_or_b32 v4, v4, s18, v6
	v_cvt_f64_f32_e32 v[6:7], v4
.LBB54_1343:
	s_mov_b64 s[18:19], 0
.LBB54_1344:
	s_andn2_b64 vcc, exec, s[18:19]
	s_cbranch_vccnz .LBB54_1346
; %bb.1345:
	global_load_ubyte v4, v[2:3], off
	s_movk_i32 s18, 0x7f00
	s_brev_b32 s19, 16
	s_waitcnt vmcnt(0)
	v_lshlrev_b16_e32 v6, 8, v4
	v_lshlrev_b32_e32 v4, 25, v4
	v_lshrrev_b32_e32 v7, 4, v4
	v_and_or_b32 v8, v6, s18, 0.5
	v_or_b32_e32 v7, 0x70000000, v7
	v_add_f32_e32 v8, -0.5, v8
	v_mul_f32_e32 v7, 0x7800000, v7
	v_cmp_gt_u32_e32 vcc, s19, v4
	v_bfe_i32 v6, v6, 0, 16
	v_cndmask_b32_e32 v4, v7, v8, vcc
	s_brev_b32 s18, 1
	v_and_or_b32 v4, v6, s18, v4
	v_cvt_f64_f32_e32 v[6:7], v4
.LBB54_1346:
	s_mov_b64 s[18:19], 0
	s_mov_b64 s[20:21], -1
.LBB54_1347:
	s_andn2_b64 vcc, exec, s[18:19]
	s_mov_b64 s[18:19], 0
	s_cbranch_vccnz .LBB54_1358
; %bb.1348:
	v_cmp_lt_i16_e32 vcc, 14, v11
	s_cbranch_vccz .LBB54_1351
; %bb.1349:
	v_cmp_eq_u16_e32 vcc, 15, v11
	s_cbranch_vccz .LBB54_1354
; %bb.1350:
	global_load_ushort v4, v[2:3], off
	s_mov_b64 s[4:5], 0
	s_mov_b64 s[20:21], -1
	s_waitcnt vmcnt(0)
	v_lshlrev_b32_e32 v4, 16, v4
	v_cvt_f64_f32_e32 v[6:7], v4
	s_branch .LBB54_1355
.LBB54_1351:
	s_mov_b64 s[22:23], -1
                                        ; implicit-def: $vgpr6_vgpr7
	s_branch .LBB54_1356
.LBB54_1352:
	s_or_saveexec_b64 s[22:23], s[22:23]
	v_pk_mov_b32 v[6:7], s[20:21], s[20:21] op_sel:[0,1]
	s_xor_b64 exec, exec, s[22:23]
	s_cbranch_execz .LBB54_1333
.LBB54_1353:
	v_cmp_ne_u16_e32 vcc, 0, v4
	s_andn2_b64 s[18:19], s[18:19], exec
	s_and_b64 s[20:21], vcc, exec
	v_pk_mov_b32 v[6:7], 0, 0
	s_or_b64 s[18:19], s[18:19], s[20:21]
	s_or_b64 exec, exec, s[22:23]
	s_and_saveexec_b64 s[20:21], s[18:19]
	s_cbranch_execnz .LBB54_1334
	s_branch .LBB54_1335
.LBB54_1354:
	s_mov_b64 s[4:5], -1
                                        ; implicit-def: $vgpr6_vgpr7
.LBB54_1355:
	s_mov_b64 s[22:23], 0
.LBB54_1356:
	s_and_b64 vcc, exec, s[22:23]
	s_cbranch_vccz .LBB54_1358
; %bb.1357:
	v_cmp_ne_u16_e64 s[4:5], 11, v11
	s_mov_b64 s[18:19], -1
                                        ; implicit-def: $vgpr6_vgpr7
.LBB54_1358:
	s_and_b64 vcc, exec, s[4:5]
	s_cbranch_vccnz .LBB54_1421
; %bb.1359:
	s_andn2_b64 vcc, exec, s[18:19]
	s_cbranch_vccnz .LBB54_1361
.LBB54_1360:
	global_load_ubyte v4, v[2:3], off
	v_mov_b32_e32 v6, 0x3ff00000
	s_mov_b64 s[20:21], -1
	s_waitcnt vmcnt(0)
	v_cmp_ne_u16_e32 vcc, 0, v4
	v_cndmask_b32_e32 v7, 0, v6, vcc
.LBB54_1361:
	s_branch .LBB54_1289
.LBB54_1362:
	v_cmp_gt_i16_e32 vcc, 5, v11
	s_cbranch_vccnz .LBB54_1367
; %bb.1363:
	v_cmp_gt_i16_e32 vcc, 8, v11
	s_cbranch_vccnz .LBB54_1368
; %bb.1364:
	;; [unrolled: 3-line block ×3, first 2 shown]
	v_cmp_lt_i16_e32 vcc, 9, v11
	s_cbranch_vccz .LBB54_1370
; %bb.1366:
	global_load_dwordx2 v[6:7], v[2:3], off
	s_mov_b64 s[4:5], 0
	s_branch .LBB54_1371
.LBB54_1367:
	s_mov_b64 s[4:5], -1
                                        ; implicit-def: $vgpr6_vgpr7
	s_branch .LBB54_1389
.LBB54_1368:
	s_mov_b64 s[4:5], -1
                                        ; implicit-def: $vgpr6_vgpr7
	s_branch .LBB54_1377
.LBB54_1369:
	s_mov_b64 s[4:5], -1
                                        ; implicit-def: $vgpr6_vgpr7
	s_branch .LBB54_1374
.LBB54_1370:
	s_mov_b64 s[4:5], -1
                                        ; implicit-def: $vgpr6_vgpr7
.LBB54_1371:
	s_andn2_b64 vcc, exec, s[4:5]
	s_cbranch_vccnz .LBB54_1373
; %bb.1372:
	global_load_dword v4, v[2:3], off
	s_waitcnt vmcnt(0)
	v_cvt_f64_f32_e32 v[6:7], v4
.LBB54_1373:
	s_mov_b64 s[4:5], 0
.LBB54_1374:
	s_andn2_b64 vcc, exec, s[4:5]
	s_cbranch_vccnz .LBB54_1376
; %bb.1375:
	global_load_dword v4, v[2:3], off
	s_waitcnt vmcnt(0)
	v_cvt_f32_f16_e32 v4, v4
	v_cvt_f64_f32_e32 v[6:7], v4
.LBB54_1376:
	s_mov_b64 s[4:5], 0
.LBB54_1377:
	s_andn2_b64 vcc, exec, s[4:5]
	s_cbranch_vccnz .LBB54_1388
; %bb.1378:
	v_cmp_gt_i16_e32 vcc, 6, v11
	s_cbranch_vccnz .LBB54_1381
; %bb.1379:
	v_cmp_lt_i16_e32 vcc, 6, v11
	s_cbranch_vccz .LBB54_1382
; %bb.1380:
	global_load_dwordx2 v[6:7], v[2:3], off
	s_mov_b64 s[4:5], 0
	s_branch .LBB54_1383
.LBB54_1381:
	s_mov_b64 s[4:5], -1
                                        ; implicit-def: $vgpr6_vgpr7
	s_branch .LBB54_1386
.LBB54_1382:
	s_mov_b64 s[4:5], -1
                                        ; implicit-def: $vgpr6_vgpr7
.LBB54_1383:
	s_andn2_b64 vcc, exec, s[4:5]
	s_cbranch_vccnz .LBB54_1385
; %bb.1384:
	global_load_dword v4, v[2:3], off
	s_waitcnt vmcnt(0)
	v_cvt_f64_f32_e32 v[6:7], v4
.LBB54_1385:
	s_mov_b64 s[4:5], 0
.LBB54_1386:
	s_andn2_b64 vcc, exec, s[4:5]
	s_cbranch_vccnz .LBB54_1388
; %bb.1387:
	global_load_ushort v4, v[2:3], off
	s_waitcnt vmcnt(0)
	v_cvt_f32_f16_e32 v4, v4
	v_cvt_f64_f32_e32 v[6:7], v4
.LBB54_1388:
	s_mov_b64 s[4:5], 0
.LBB54_1389:
	s_andn2_b64 vcc, exec, s[4:5]
	s_cbranch_vccnz .LBB54_1409
; %bb.1390:
	v_cmp_gt_i16_e32 vcc, 2, v11
	s_cbranch_vccnz .LBB54_1394
; %bb.1391:
	v_cmp_gt_i16_e32 vcc, 3, v11
	s_cbranch_vccnz .LBB54_1395
; %bb.1392:
	v_cmp_lt_i16_e32 vcc, 3, v11
	s_cbranch_vccz .LBB54_1396
; %bb.1393:
	global_load_dwordx2 v[6:7], v[2:3], off
	s_mov_b64 s[4:5], 0
	s_waitcnt vmcnt(0)
	v_cvt_f64_i32_e32 v[8:9], v7
	v_cvt_f64_u32_e32 v[6:7], v6
	v_ldexp_f64 v[8:9], v[8:9], 32
	v_add_f64 v[6:7], v[8:9], v[6:7]
	s_branch .LBB54_1397
.LBB54_1394:
	s_mov_b64 s[4:5], -1
                                        ; implicit-def: $vgpr6_vgpr7
	s_branch .LBB54_1403
.LBB54_1395:
	s_mov_b64 s[4:5], -1
                                        ; implicit-def: $vgpr6_vgpr7
	s_branch .LBB54_1400
.LBB54_1396:
	s_mov_b64 s[4:5], -1
                                        ; implicit-def: $vgpr6_vgpr7
.LBB54_1397:
	s_andn2_b64 vcc, exec, s[4:5]
	s_cbranch_vccnz .LBB54_1399
; %bb.1398:
	global_load_dword v4, v[2:3], off
	s_waitcnt vmcnt(0)
	v_cvt_f64_i32_e32 v[6:7], v4
.LBB54_1399:
	s_mov_b64 s[4:5], 0
.LBB54_1400:
	s_andn2_b64 vcc, exec, s[4:5]
	s_cbranch_vccnz .LBB54_1402
; %bb.1401:
	global_load_sshort v4, v[2:3], off
	s_waitcnt vmcnt(0)
	v_cvt_f64_i32_e32 v[6:7], v4
.LBB54_1402:
	s_mov_b64 s[4:5], 0
.LBB54_1403:
	s_andn2_b64 vcc, exec, s[4:5]
	s_cbranch_vccnz .LBB54_1409
; %bb.1404:
	v_cmp_lt_i16_e32 vcc, 0, v11
	s_cbranch_vccz .LBB54_1406
; %bb.1405:
	global_load_sbyte v4, v[2:3], off
	s_mov_b64 s[4:5], 0
	s_waitcnt vmcnt(0)
	v_cvt_f64_i32_e32 v[6:7], v4
	s_branch .LBB54_1407
.LBB54_1406:
	s_mov_b64 s[4:5], -1
                                        ; implicit-def: $vgpr6_vgpr7
.LBB54_1407:
	s_andn2_b64 vcc, exec, s[4:5]
	s_cbranch_vccnz .LBB54_1409
; %bb.1408:
	global_load_ubyte v2, v[2:3], off
	s_waitcnt vmcnt(0)
	v_cvt_f64_u32_e32 v[6:7], v2
.LBB54_1409:
.LBB54_1410:
	v_add_u32_e32 v0, s13, v0
	v_ashrrev_i32_e32 v3, 31, v0
	v_mov_b32_e32 v4, s11
	v_add_co_u32_e32 v2, vcc, s10, v0
	v_addc_co_u32_e32 v3, vcc, v4, v3, vcc
	s_and_b64 vcc, exec, s[0:1]
	s_cbranch_vccnz .LBB54_1417
; %bb.1411:
	v_cmp_lt_i16_e32 vcc, 25, v11
	s_mov_b64 s[4:5], 0
	s_cbranch_vccz .LBB54_1418
; %bb.1412:
	v_cmp_lt_i16_e32 vcc, 28, v11
	s_cbranch_vccz .LBB54_1419
; %bb.1413:
	v_cmp_lt_i16_e32 vcc, 43, v11
	;; [unrolled: 3-line block ×3, first 2 shown]
	s_cbranch_vccz .LBB54_1422
; %bb.1415:
	v_cmp_eq_u16_e32 vcc, 46, v11
	s_mov_b64 s[18:19], 0
	s_cbranch_vccz .LBB54_1423
; %bb.1416:
	global_load_dword v0, v[2:3], off
	s_mov_b64 s[0:1], 0
	s_mov_b64 s[10:11], -1
	s_waitcnt vmcnt(0)
	v_lshlrev_b32_e32 v0, 16, v0
	v_cvt_f64_f32_e32 v[8:9], v0
	s_branch .LBB54_1424
.LBB54_1417:
	s_mov_b64 s[0:1], -1
	s_mov_b64 s[10:11], 0
                                        ; implicit-def: $vgpr8_vgpr9
	s_branch .LBB54_1490
.LBB54_1418:
	s_mov_b64 s[18:19], -1
	s_mov_b64 s[10:11], 0
	s_mov_b64 s[0:1], 0
                                        ; implicit-def: $vgpr8_vgpr9
	s_branch .LBB54_1453
.LBB54_1419:
	s_mov_b64 s[18:19], -1
	s_mov_b64 s[10:11], 0
	s_mov_b64 s[0:1], 0
                                        ; implicit-def: $vgpr8_vgpr9
	s_branch .LBB54_1434
.LBB54_1420:
	s_mov_b64 s[18:19], -1
	s_mov_b64 s[10:11], 0
	s_mov_b64 s[0:1], 0
                                        ; implicit-def: $vgpr8_vgpr9
	s_branch .LBB54_1429
.LBB54_1421:
	s_trap 2
	s_or_b64 s[16:17], s[16:17], exec
                                        ; implicit-def: $vgpr6_vgpr7
	s_cbranch_execz .LBB54_1360
	s_branch .LBB54_1361
.LBB54_1422:
	s_mov_b64 s[18:19], -1
	s_mov_b64 s[10:11], 0
	s_mov_b64 s[0:1], 0
                                        ; implicit-def: $vgpr8_vgpr9
	s_branch .LBB54_1424
.LBB54_1423:
	s_mov_b64 s[0:1], -1
                                        ; implicit-def: $vgpr8_vgpr9
	s_mov_b64 s[10:11], 0
.LBB54_1424:
	s_and_b64 vcc, exec, s[18:19]
	s_cbranch_vccz .LBB54_1428
; %bb.1425:
	v_cmp_eq_u16_e32 vcc, 44, v11
	s_cbranch_vccz .LBB54_1427
; %bb.1426:
	global_load_ubyte v0, v[2:3], off
	s_movk_i32 s10, 0xff
	v_mov_b32_e32 v4, 0x7ff80000
	s_waitcnt vmcnt(1)
	v_bfrev_b32_e32 v6, 28
	s_mov_b64 s[0:1], 0
	s_waitcnt vmcnt(0)
	v_lshlrev_b32_e32 v8, 23, v0
	v_cvt_f64_f32_e32 v[8:9], v8
	v_cmp_ne_u32_e32 vcc, s10, v0
	v_cndmask_b32_e32 v4, v4, v9, vcc
	v_cmp_ne_u32_e32 vcc, 0, v0
	v_cndmask_b32_e32 v9, v6, v4, vcc
	s_mov_b64 s[10:11], -1
	s_branch .LBB54_1428
.LBB54_1427:
	s_mov_b64 s[0:1], -1
                                        ; implicit-def: $vgpr8_vgpr9
.LBB54_1428:
	s_mov_b64 s[18:19], 0
.LBB54_1429:
	s_and_b64 vcc, exec, s[18:19]
	s_cbranch_vccz .LBB54_1433
; %bb.1430:
	v_cmp_eq_u16_e32 vcc, 29, v11
	s_cbranch_vccz .LBB54_1432
; %bb.1431:
	global_load_dwordx2 v[8:9], v[2:3], off
	s_mov_b64 s[0:1], 0
	s_mov_b64 s[10:11], -1
	s_mov_b64 s[18:19], 0
	s_waitcnt vmcnt(0)
	v_cvt_f64_u32_e32 v[12:13], v9
	v_cvt_f64_u32_e32 v[8:9], v8
	v_ldexp_f64 v[12:13], v[12:13], 32
	v_add_f64 v[8:9], v[12:13], v[8:9]
	s_branch .LBB54_1434
.LBB54_1432:
	s_mov_b64 s[0:1], -1
                                        ; implicit-def: $vgpr8_vgpr9
.LBB54_1433:
	s_mov_b64 s[18:19], 0
.LBB54_1434:
	s_and_b64 vcc, exec, s[18:19]
	s_cbranch_vccz .LBB54_1452
; %bb.1435:
	v_cmp_gt_i16_e32 vcc, 27, v11
	s_cbranch_vccnz .LBB54_1438
; %bb.1436:
	v_cmp_lt_i16_e32 vcc, 27, v11
	s_cbranch_vccz .LBB54_1439
; %bb.1437:
	global_load_dword v0, v[2:3], off
	s_mov_b64 s[10:11], 0
	s_waitcnt vmcnt(0)
	v_cvt_f64_u32_e32 v[8:9], v0
	s_branch .LBB54_1440
.LBB54_1438:
	s_mov_b64 s[10:11], -1
                                        ; implicit-def: $vgpr8_vgpr9
	s_branch .LBB54_1443
.LBB54_1439:
	s_mov_b64 s[10:11], -1
                                        ; implicit-def: $vgpr8_vgpr9
.LBB54_1440:
	s_andn2_b64 vcc, exec, s[10:11]
	s_cbranch_vccnz .LBB54_1442
; %bb.1441:
	global_load_ushort v0, v[2:3], off
	s_waitcnt vmcnt(0)
	v_cvt_f64_u32_e32 v[8:9], v0
.LBB54_1442:
	s_mov_b64 s[10:11], 0
.LBB54_1443:
	s_andn2_b64 vcc, exec, s[10:11]
	s_cbranch_vccnz .LBB54_1451
; %bb.1444:
	global_load_ubyte v0, v[2:3], off
	s_movk_i32 s10, 0x7f
                                        ; implicit-def: $sgpr18_sgpr19
	s_waitcnt vmcnt(0)
	v_cmp_lt_i16_e32 vcc, s10, v0
	s_mov_b64 s[10:11], 0
	s_and_saveexec_b64 s[20:21], vcc
	s_xor_b64 s[20:21], exec, s[20:21]
	s_cbranch_execz .LBB54_1465
; %bb.1445:
	s_movk_i32 s10, 0x80
	v_cmp_eq_u16_e32 vcc, s10, v0
	s_mov_b64 s[22:23], -1
                                        ; implicit-def: $sgpr18_sgpr19
	s_and_saveexec_b64 s[10:11], vcc
; %bb.1446:
	s_mov_b32 s19, 0x7ff80000
	s_brev_b32 s18, 4
	s_xor_b64 s[22:23], exec, -1
; %bb.1447:
	s_or_b64 exec, exec, s[10:11]
	s_and_b64 s[10:11], s[22:23], exec
	s_or_saveexec_b64 s[20:21], s[20:21]
	v_pk_mov_b32 v[8:9], s[18:19], s[18:19] op_sel:[0,1]
	s_xor_b64 exec, exec, s[20:21]
	s_cbranch_execnz .LBB54_1466
.LBB54_1448:
	s_or_b64 exec, exec, s[20:21]
	s_and_saveexec_b64 s[18:19], s[10:11]
	s_cbranch_execz .LBB54_1450
.LBB54_1449:
	v_lshlrev_b32_e32 v4, 24, v0
	v_and_b32_e32 v0, 0xffff, v0
	v_and_b32_e32 v6, 7, v0
	v_ffbh_u32_e32 v9, v6
	v_min_u32_e32 v9, 32, v9
	v_subrev_u32_e32 v12, 28, v9
	v_bfe_u32 v8, v0, 3, 4
	v_lshlrev_b32_e32 v0, v12, v0
	v_sub_u32_e32 v9, 29, v9
	v_and_b32_e32 v0, 7, v0
	v_cmp_eq_u32_e32 vcc, 0, v8
	v_cndmask_b32_e32 v8, v8, v9, vcc
	v_cndmask_b32_e32 v0, v6, v0, vcc
	v_mov_b32_e32 v6, 0x3b800000
	v_lshlrev_b32_e32 v0, 20, v0
	v_and_b32_e32 v4, 0x80000000, v4
	v_lshl_add_u32 v6, v8, 23, v6
	v_or3_b32 v0, v4, v6, v0
	v_cvt_f64_f32_e32 v[8:9], v0
.LBB54_1450:
	s_or_b64 exec, exec, s[18:19]
.LBB54_1451:
	s_mov_b64 s[10:11], -1
.LBB54_1452:
	s_mov_b64 s[18:19], 0
.LBB54_1453:
	s_and_b64 vcc, exec, s[18:19]
	s_cbranch_vccz .LBB54_1486
; %bb.1454:
	v_cmp_lt_i16_e32 vcc, 22, v11
	s_cbranch_vccz .LBB54_1464
; %bb.1455:
	v_cmp_gt_i16_e32 vcc, 24, v11
	s_cbranch_vccnz .LBB54_1467
; %bb.1456:
	v_cmp_lt_i16_e32 vcc, 24, v11
	s_cbranch_vccz .LBB54_1468
; %bb.1457:
	global_load_ubyte v0, v[2:3], off
	s_movk_i32 s4, 0x7f
                                        ; implicit-def: $sgpr10_sgpr11
	s_waitcnt vmcnt(0)
	v_cmp_lt_i16_e32 vcc, s4, v0
	s_mov_b64 s[4:5], 0
	s_and_saveexec_b64 s[18:19], vcc
	s_xor_b64 s[18:19], exec, s[18:19]
	s_cbranch_execz .LBB54_1480
; %bb.1458:
	s_movk_i32 s4, 0x80
	v_cmp_eq_u16_e32 vcc, s4, v0
	s_mov_b64 s[20:21], -1
                                        ; implicit-def: $sgpr10_sgpr11
	s_and_saveexec_b64 s[4:5], vcc
; %bb.1459:
	s_mov_b32 s11, 0x7ff80000
	s_brev_b32 s10, 4
	s_xor_b64 s[20:21], exec, -1
; %bb.1460:
	s_or_b64 exec, exec, s[4:5]
	s_and_b64 s[4:5], s[20:21], exec
	s_or_saveexec_b64 s[18:19], s[18:19]
	v_pk_mov_b32 v[8:9], s[10:11], s[10:11] op_sel:[0,1]
	s_xor_b64 exec, exec, s[18:19]
	s_cbranch_execnz .LBB54_1481
.LBB54_1461:
	s_or_b64 exec, exec, s[18:19]
	s_and_saveexec_b64 s[10:11], s[4:5]
	s_cbranch_execz .LBB54_1463
.LBB54_1462:
	v_lshlrev_b32_e32 v4, 24, v0
	v_and_b32_e32 v0, 0xffff, v0
	v_and_b32_e32 v6, 3, v0
	v_ffbh_u32_e32 v9, v6
	v_min_u32_e32 v9, 32, v9
	v_subrev_u32_e32 v12, 29, v9
	v_bfe_u32 v8, v0, 2, 5
	v_lshlrev_b32_e32 v0, v12, v0
	v_sub_u32_e32 v9, 30, v9
	v_and_b32_e32 v0, 3, v0
	v_cmp_eq_u32_e32 vcc, 0, v8
	v_cndmask_b32_e32 v8, v8, v9, vcc
	v_cndmask_b32_e32 v0, v6, v0, vcc
	v_mov_b32_e32 v6, 0x37800000
	v_lshlrev_b32_e32 v0, 21, v0
	v_and_b32_e32 v4, 0x80000000, v4
	v_lshl_add_u32 v6, v8, 23, v6
	v_or3_b32 v0, v4, v6, v0
	v_cvt_f64_f32_e32 v[8:9], v0
.LBB54_1463:
	s_or_b64 exec, exec, s[10:11]
	s_mov_b64 s[4:5], 0
	s_branch .LBB54_1469
.LBB54_1464:
	s_mov_b64 s[4:5], -1
                                        ; implicit-def: $vgpr8_vgpr9
	s_branch .LBB54_1475
.LBB54_1465:
	s_or_saveexec_b64 s[20:21], s[20:21]
	v_pk_mov_b32 v[8:9], s[18:19], s[18:19] op_sel:[0,1]
	s_xor_b64 exec, exec, s[20:21]
	s_cbranch_execz .LBB54_1448
.LBB54_1466:
	v_cmp_ne_u16_e32 vcc, 0, v0
	s_andn2_b64 s[10:11], s[10:11], exec
	s_and_b64 s[18:19], vcc, exec
	v_pk_mov_b32 v[8:9], 0, 0
	s_or_b64 s[10:11], s[10:11], s[18:19]
	s_or_b64 exec, exec, s[20:21]
	s_and_saveexec_b64 s[18:19], s[10:11]
	s_cbranch_execnz .LBB54_1449
	s_branch .LBB54_1450
.LBB54_1467:
	s_mov_b64 s[4:5], -1
                                        ; implicit-def: $vgpr8_vgpr9
	s_branch .LBB54_1472
.LBB54_1468:
	s_mov_b64 s[4:5], -1
                                        ; implicit-def: $vgpr8_vgpr9
.LBB54_1469:
	s_and_b64 vcc, exec, s[4:5]
	s_cbranch_vccz .LBB54_1471
; %bb.1470:
	global_load_ubyte v0, v[2:3], off
	s_mov_b32 s4, 0x7f800000
	s_waitcnt vmcnt(0)
	v_lshlrev_b32_e32 v0, 24, v0
	v_and_b32_e32 v4, 0x7f000000, v0
	v_ffbh_u32_e32 v6, v4
	v_min_u32_e32 v6, 32, v6
	v_sub_u32_e64 v6, v6, 4 clamp
	v_lshlrev_b32_e32 v9, v6, v4
	v_lshlrev_b32_e32 v6, 23, v6
	v_lshrrev_b32_e32 v9, 4, v9
	v_add_u32_e32 v8, 0x1000000, v4
	v_sub_u32_e32 v6, v9, v6
	v_ashrrev_i32_e32 v8, 8, v8
	v_add_u32_e32 v6, 0x3c000000, v6
	v_and_or_b32 v6, v8, s4, v6
	v_cmp_ne_u32_e32 vcc, 0, v4
	v_cndmask_b32_e32 v4, 0, v6, vcc
	s_brev_b32 s4, 1
	v_and_or_b32 v0, v0, s4, v4
	v_cvt_f64_f32_e32 v[8:9], v0
.LBB54_1471:
	s_mov_b64 s[4:5], 0
.LBB54_1472:
	s_andn2_b64 vcc, exec, s[4:5]
	s_cbranch_vccnz .LBB54_1474
; %bb.1473:
	global_load_ubyte v0, v[2:3], off
	s_movk_i32 s4, 0x7f00
	s_brev_b32 s5, 16
	s_waitcnt vmcnt(0)
	v_lshlrev_b16_e32 v4, 8, v0
	v_lshlrev_b32_e32 v0, 25, v0
	v_lshrrev_b32_e32 v6, 4, v0
	v_and_or_b32 v8, v4, s4, 0.5
	v_or_b32_e32 v6, 0x70000000, v6
	v_add_f32_e32 v8, -0.5, v8
	v_mul_f32_e32 v6, 0x7800000, v6
	v_cmp_gt_u32_e32 vcc, s5, v0
	v_bfe_i32 v4, v4, 0, 16
	v_cndmask_b32_e32 v0, v6, v8, vcc
	s_brev_b32 s4, 1
	v_and_or_b32 v0, v4, s4, v0
	v_cvt_f64_f32_e32 v[8:9], v0
.LBB54_1474:
	s_mov_b64 s[4:5], 0
	s_mov_b64 s[10:11], -1
.LBB54_1475:
	s_andn2_b64 vcc, exec, s[4:5]
	s_mov_b64 s[4:5], 0
	s_cbranch_vccnz .LBB54_1486
; %bb.1476:
	v_cmp_lt_i16_e32 vcc, 14, v11
	s_cbranch_vccz .LBB54_1479
; %bb.1477:
	v_cmp_eq_u16_e32 vcc, 15, v11
	s_cbranch_vccz .LBB54_1482
; %bb.1478:
	global_load_ushort v0, v[2:3], off
	s_mov_b64 s[0:1], 0
	s_mov_b64 s[10:11], -1
	s_waitcnt vmcnt(0)
	v_lshlrev_b32_e32 v0, 16, v0
	v_cvt_f64_f32_e32 v[8:9], v0
	s_branch .LBB54_1483
.LBB54_1479:
	s_mov_b64 s[18:19], -1
                                        ; implicit-def: $vgpr8_vgpr9
	s_branch .LBB54_1484
.LBB54_1480:
	s_or_saveexec_b64 s[18:19], s[18:19]
	v_pk_mov_b32 v[8:9], s[10:11], s[10:11] op_sel:[0,1]
	s_xor_b64 exec, exec, s[18:19]
	s_cbranch_execz .LBB54_1461
.LBB54_1481:
	v_cmp_ne_u16_e32 vcc, 0, v0
	s_andn2_b64 s[4:5], s[4:5], exec
	s_and_b64 s[10:11], vcc, exec
	v_pk_mov_b32 v[8:9], 0, 0
	s_or_b64 s[4:5], s[4:5], s[10:11]
	s_or_b64 exec, exec, s[18:19]
	s_and_saveexec_b64 s[10:11], s[4:5]
	s_cbranch_execnz .LBB54_1462
	s_branch .LBB54_1463
.LBB54_1482:
	s_mov_b64 s[0:1], -1
                                        ; implicit-def: $vgpr8_vgpr9
.LBB54_1483:
	s_mov_b64 s[18:19], 0
.LBB54_1484:
	s_and_b64 vcc, exec, s[18:19]
	s_cbranch_vccz .LBB54_1486
; %bb.1485:
	v_cmp_ne_u16_e64 s[0:1], 11, v11
	s_mov_b64 s[4:5], -1
                                        ; implicit-def: $vgpr8_vgpr9
.LBB54_1486:
	s_and_b64 vcc, exec, s[0:1]
	s_cbranch_vccnz .LBB54_1550
; %bb.1487:
	s_andn2_b64 vcc, exec, s[4:5]
	s_cbranch_vccnz .LBB54_1489
.LBB54_1488:
	global_load_ubyte v0, v[2:3], off
	v_mov_b32_e32 v4, 0x3ff00000
	s_mov_b64 s[10:11], -1
	s_waitcnt vmcnt(0)
	v_cmp_ne_u16_e32 vcc, 0, v0
	v_cndmask_b32_e32 v9, 0, v4, vcc
.LBB54_1489:
	s_mov_b64 s[0:1], 0
.LBB54_1490:
	s_and_b64 vcc, exec, s[0:1]
	s_cbranch_vccz .LBB54_1539
; %bb.1491:
	v_cmp_gt_i16_e32 vcc, 5, v11
	s_cbranch_vccnz .LBB54_1496
; %bb.1492:
	v_cmp_gt_i16_e32 vcc, 8, v11
	s_cbranch_vccnz .LBB54_1497
	;; [unrolled: 3-line block ×3, first 2 shown]
; %bb.1494:
	v_cmp_lt_i16_e32 vcc, 9, v11
	s_cbranch_vccz .LBB54_1499
; %bb.1495:
	global_load_dwordx2 v[8:9], v[2:3], off
	s_mov_b64 s[0:1], 0
	s_branch .LBB54_1500
.LBB54_1496:
	s_mov_b64 s[0:1], -1
                                        ; implicit-def: $vgpr8_vgpr9
	s_branch .LBB54_1518
.LBB54_1497:
	s_mov_b64 s[0:1], -1
                                        ; implicit-def: $vgpr8_vgpr9
	s_branch .LBB54_1506
.LBB54_1498:
	s_mov_b64 s[0:1], -1
                                        ; implicit-def: $vgpr8_vgpr9
	s_branch .LBB54_1503
.LBB54_1499:
	s_mov_b64 s[0:1], -1
                                        ; implicit-def: $vgpr8_vgpr9
.LBB54_1500:
	s_andn2_b64 vcc, exec, s[0:1]
	s_cbranch_vccnz .LBB54_1502
; %bb.1501:
	global_load_dword v0, v[2:3], off
	s_waitcnt vmcnt(0)
	v_cvt_f64_f32_e32 v[8:9], v0
.LBB54_1502:
	s_mov_b64 s[0:1], 0
.LBB54_1503:
	s_andn2_b64 vcc, exec, s[0:1]
	s_cbranch_vccnz .LBB54_1505
; %bb.1504:
	global_load_dword v0, v[2:3], off
	s_waitcnt vmcnt(0)
	v_cvt_f32_f16_e32 v0, v0
	v_cvt_f64_f32_e32 v[8:9], v0
.LBB54_1505:
	s_mov_b64 s[0:1], 0
.LBB54_1506:
	s_andn2_b64 vcc, exec, s[0:1]
	s_cbranch_vccnz .LBB54_1517
; %bb.1507:
	v_cmp_gt_i16_e32 vcc, 6, v11
	s_cbranch_vccnz .LBB54_1510
; %bb.1508:
	v_cmp_lt_i16_e32 vcc, 6, v11
	s_cbranch_vccz .LBB54_1511
; %bb.1509:
	global_load_dwordx2 v[8:9], v[2:3], off
	s_mov_b64 s[0:1], 0
	s_branch .LBB54_1512
.LBB54_1510:
	s_mov_b64 s[0:1], -1
                                        ; implicit-def: $vgpr8_vgpr9
	s_branch .LBB54_1515
.LBB54_1511:
	s_mov_b64 s[0:1], -1
                                        ; implicit-def: $vgpr8_vgpr9
.LBB54_1512:
	s_andn2_b64 vcc, exec, s[0:1]
	s_cbranch_vccnz .LBB54_1514
; %bb.1513:
	global_load_dword v0, v[2:3], off
	s_waitcnt vmcnt(0)
	v_cvt_f64_f32_e32 v[8:9], v0
.LBB54_1514:
	s_mov_b64 s[0:1], 0
.LBB54_1515:
	s_andn2_b64 vcc, exec, s[0:1]
	s_cbranch_vccnz .LBB54_1517
; %bb.1516:
	global_load_ushort v0, v[2:3], off
	s_waitcnt vmcnt(0)
	v_cvt_f32_f16_e32 v0, v0
	v_cvt_f64_f32_e32 v[8:9], v0
.LBB54_1517:
	s_mov_b64 s[0:1], 0
.LBB54_1518:
	s_andn2_b64 vcc, exec, s[0:1]
	s_cbranch_vccnz .LBB54_1538
; %bb.1519:
	v_cmp_gt_i16_e32 vcc, 2, v11
	s_cbranch_vccnz .LBB54_1523
; %bb.1520:
	v_cmp_gt_i16_e32 vcc, 3, v11
	s_cbranch_vccnz .LBB54_1524
; %bb.1521:
	v_cmp_lt_i16_e32 vcc, 3, v11
	s_cbranch_vccz .LBB54_1525
; %bb.1522:
	global_load_dwordx2 v[8:9], v[2:3], off
	s_mov_b64 s[0:1], 0
	s_waitcnt vmcnt(0)
	v_cvt_f64_i32_e32 v[12:13], v9
	v_cvt_f64_u32_e32 v[8:9], v8
	v_ldexp_f64 v[12:13], v[12:13], 32
	v_add_f64 v[8:9], v[12:13], v[8:9]
	s_branch .LBB54_1526
.LBB54_1523:
	s_mov_b64 s[0:1], -1
                                        ; implicit-def: $vgpr8_vgpr9
	s_branch .LBB54_1532
.LBB54_1524:
	s_mov_b64 s[0:1], -1
                                        ; implicit-def: $vgpr8_vgpr9
	s_branch .LBB54_1529
.LBB54_1525:
	s_mov_b64 s[0:1], -1
                                        ; implicit-def: $vgpr8_vgpr9
.LBB54_1526:
	s_andn2_b64 vcc, exec, s[0:1]
	s_cbranch_vccnz .LBB54_1528
; %bb.1527:
	global_load_dword v0, v[2:3], off
	s_waitcnt vmcnt(0)
	v_cvt_f64_i32_e32 v[8:9], v0
.LBB54_1528:
	s_mov_b64 s[0:1], 0
.LBB54_1529:
	s_andn2_b64 vcc, exec, s[0:1]
	s_cbranch_vccnz .LBB54_1531
; %bb.1530:
	global_load_sshort v0, v[2:3], off
	s_waitcnt vmcnt(0)
	v_cvt_f64_i32_e32 v[8:9], v0
.LBB54_1531:
	s_mov_b64 s[0:1], 0
.LBB54_1532:
	s_andn2_b64 vcc, exec, s[0:1]
	s_cbranch_vccnz .LBB54_1538
; %bb.1533:
	v_cmp_lt_i16_e32 vcc, 0, v11
	s_cbranch_vccz .LBB54_1535
; %bb.1534:
	global_load_sbyte v0, v[2:3], off
	s_mov_b64 s[0:1], 0
	s_waitcnt vmcnt(0)
	v_cvt_f64_i32_e32 v[8:9], v0
	s_branch .LBB54_1536
.LBB54_1535:
	s_mov_b64 s[0:1], -1
                                        ; implicit-def: $vgpr8_vgpr9
.LBB54_1536:
	s_andn2_b64 vcc, exec, s[0:1]
	s_cbranch_vccnz .LBB54_1538
; %bb.1537:
	global_load_ubyte v0, v[2:3], off
	s_waitcnt vmcnt(0)
	v_cvt_f64_u32_e32 v[8:9], v0
.LBB54_1538:
	s_mov_b64 s[10:11], -1
.LBB54_1539:
	s_andn2_b64 vcc, exec, s[10:11]
	s_cbranch_vccnz .LBB54_1993
; %bb.1540:
	v_mul_lo_u32 v4, s12, v10
	v_ashrrev_i32_e32 v2, 31, v4
	v_mov_b32_e32 v3, s9
	v_add_co_u32_e32 v10, vcc, s8, v4
	s_brev_b32 s0, -2
	v_mov_b32_e32 v0, s3
	v_addc_co_u32_e32 v11, vcc, v3, v2, vcc
	v_mov_b32_e32 v2, 11
	v_bfi_b32 v1, s0, v0, v1
	v_cmp_lt_i16_sdwa s[0:1], s33, v2 src0_sel:BYTE_0 src1_sel:DWORD
	v_mov_b32_e32 v0, s2
	s_and_b64 vcc, exec, s[0:1]
	s_cbranch_vccnz .LBB54_1547
; %bb.1541:
	v_mov_b32_e32 v2, 25
	v_cmp_gt_i16_sdwa s[0:1], s33, v2 src0_sel:BYTE_0 src1_sel:DWORD
	s_mov_b64 s[18:19], -1
	s_mov_b64 s[4:5], 0
	s_and_b64 vcc, exec, s[0:1]
	s_mov_b64 s[10:11], 0
	s_mov_b64 s[0:1], 0
	s_cbranch_vccz .LBB54_1579
; %bb.1542:
	v_mov_b32_e32 v2, 28
	v_cmp_gt_i16_sdwa s[0:1], s33, v2 src0_sel:BYTE_0 src1_sel:DWORD
	s_and_b64 vcc, exec, s[0:1]
	s_cbranch_vccz .LBB54_1548
; %bb.1543:
	v_mov_b32_e32 v2, 43
	v_cmp_gt_i16_sdwa s[0:1], s33, v2 src0_sel:BYTE_0 src1_sel:DWORD
	s_and_b64 vcc, exec, s[0:1]
	;; [unrolled: 5-line block ×3, first 2 shown]
	s_cbranch_vccz .LBB54_1551
; %bb.1545:
	v_mov_b32_e32 v2, 46
	v_cmp_eq_u16_sdwa s[10:11], s33, v2 src0_sel:BYTE_0 src1_sel:DWORD
	s_mov_b64 s[0:1], -1
	s_mov_b64 s[18:19], 0
	s_and_b64 vcc, exec, s[10:11]
	s_mov_b64 s[10:11], 0
	s_cbranch_vccz .LBB54_1552
; %bb.1546:
	v_cvt_f32_f64_e32 v2, v[0:1]
	v_bfe_u32 v3, v2, 16, 1
	s_movk_i32 s0, 0x7fff
	v_add3_u32 v3, v2, v3, s0
	v_lshrrev_b32_e32 v3, 16, v3
	s_waitcnt vmcnt(0)
	v_mov_b32_e32 v6, 0x7fc0
	v_cmp_o_f32_e32 vcc, v2, v2
	v_cndmask_b32_e32 v2, v6, v3, vcc
	global_store_dword v[10:11], v2, off
	s_mov_b64 s[0:1], 0
	s_mov_b64 s[10:11], -1
	s_branch .LBB54_1552
.LBB54_1547:
	s_mov_b64 s[0:1], -1
	s_mov_b64 s[10:11], 0
	s_branch .LBB54_1623
.LBB54_1548:
	s_mov_b64 s[0:1], 0
	s_branch .LBB54_1562
.LBB54_1549:
	s_mov_b64 s[0:1], 0
	s_branch .LBB54_1558
.LBB54_1550:
	s_trap 2
	s_or_b64 s[16:17], s[16:17], exec
                                        ; implicit-def: $vgpr8_vgpr9
	s_cbranch_execz .LBB54_1488
	s_branch .LBB54_1489
.LBB54_1551:
	s_mov_b64 s[0:1], 0
.LBB54_1552:
	s_and_b64 vcc, exec, s[18:19]
	s_cbranch_vccz .LBB54_1557
; %bb.1553:
	v_mov_b32_e32 v2, 44
	v_cmp_eq_u16_sdwa s[18:19], s33, v2 src0_sel:BYTE_0 src1_sel:DWORD
	s_mov_b64 s[0:1], -1
	s_and_b64 vcc, exec, s[18:19]
	s_cbranch_vccz .LBB54_1557
; %bb.1554:
	v_cvt_f32_f64_e32 v2, v[0:1]
	v_bfe_u32 v3, v2, 23, 8
	s_movk_i32 s0, 0xff
	v_cmp_ne_u32_e32 vcc, s0, v3
	s_waitcnt vmcnt(0)
	v_mov_b32_e32 v6, 0xff
	s_and_saveexec_b64 s[10:11], vcc
; %bb.1555:
	s_mov_b32 s0, 0x3fffff
	v_lshrrev_b32_e32 v6, 23, v2
	v_and_b32_e32 v8, 0x400000, v2
	v_and_or_b32 v2, v2, s0, v3
	v_cmp_ne_u32_e32 vcc, 0, v8
	v_cmp_ne_u32_e64 s[0:1], 0, v2
	s_and_b64 s[0:1], vcc, s[0:1]
	v_cndmask_b32_e64 v2, 0, 1, s[0:1]
	v_add_u32_e32 v6, v6, v2
; %bb.1556:
	s_or_b64 exec, exec, s[10:11]
	s_mov_b64 s[0:1], 0
	s_mov_b64 s[10:11], -1
	global_store_byte v[10:11], v6, off
.LBB54_1557:
	s_mov_b64 s[18:19], 0
.LBB54_1558:
	s_and_b64 vcc, exec, s[18:19]
	s_cbranch_vccz .LBB54_1561
; %bb.1559:
	v_mov_b32_e32 v2, 29
	v_cmp_eq_u16_sdwa s[18:19], s33, v2 src0_sel:BYTE_0 src1_sel:DWORD
	s_mov_b64 s[0:1], -1
	s_and_b64 vcc, exec, s[18:19]
	s_cbranch_vccz .LBB54_1561
; %bb.1560:
	v_trunc_f64_e32 v[2:3], v[0:1]
	s_movk_i32 s0, 0xffe0
	v_ldexp_f64 v[12:13], v[2:3], s0
	v_floor_f64_e32 v[12:13], v[12:13]
	v_fmac_f64_e32 v[2:3], 0xc1f00000, v[12:13]
	v_cvt_u32_f64_e32 v15, v[12:13]
	v_cvt_u32_f64_e32 v14, v[2:3]
	global_store_dwordx2 v[10:11], v[14:15], off
	s_mov_b64 s[0:1], 0
	s_mov_b64 s[10:11], -1
.LBB54_1561:
	s_mov_b64 s[18:19], 0
.LBB54_1562:
	s_and_b64 vcc, exec, s[18:19]
	s_cbranch_vccz .LBB54_1578
; %bb.1563:
	v_mov_b32_e32 v2, 27
	v_cmp_lt_i16_sdwa s[18:19], s33, v2 src0_sel:BYTE_0 src1_sel:DWORD
	s_mov_b64 s[10:11], -1
	s_and_b64 vcc, exec, s[18:19]
	s_cbranch_vccnz .LBB54_1569
; %bb.1564:
	v_cmp_gt_i16_sdwa s[18:19], s33, v2 src0_sel:BYTE_0 src1_sel:DWORD
	s_and_b64 vcc, exec, s[18:19]
	v_cvt_u32_f64_e32 v2, v[0:1]
	s_cbranch_vccz .LBB54_1566
; %bb.1565:
	s_mov_b64 s[10:11], 0
	global_store_dword v[10:11], v2, off
.LBB54_1566:
	s_andn2_b64 vcc, exec, s[10:11]
	s_cbranch_vccnz .LBB54_1568
; %bb.1567:
	global_store_short v[10:11], v2, off
.LBB54_1568:
	s_mov_b64 s[10:11], 0
.LBB54_1569:
	s_andn2_b64 vcc, exec, s[10:11]
	s_cbranch_vccnz .LBB54_1577
; %bb.1570:
	v_cvt_f32_f64_e32 v2, v[0:1]
	v_and_b32_e32 v3, 0x7fffffff, v2
	s_mov_b32 s10, 0x43800000
	v_cmp_gt_u32_e32 vcc, s10, v3
	s_waitcnt vmcnt(0)
	v_mov_b32_e32 v6, 0x80
	s_and_saveexec_b64 s[10:11], vcc
	s_cbranch_execz .LBB54_1576
; %bb.1571:
	s_mov_b32 s13, 0x3bffffff
	v_cmp_lt_u32_e32 vcc, s13, v3
	s_mov_b64 s[18:19], 0
                                        ; implicit-def: $vgpr3
	s_and_saveexec_b64 s[20:21], vcc
	s_xor_b64 s[20:21], exec, s[20:21]
	s_cbranch_execz .LBB54_1672
; %bb.1572:
	v_bfe_u32 v3, v2, 20, 1
	s_mov_b32 s13, 0x487ffff
	v_add3_u32 v3, v2, v3, s13
	s_mov_b64 s[18:19], exec
	v_lshrrev_b32_e32 v3, 20, v3
	s_or_saveexec_b64 s[20:21], s[20:21]
                                        ; implicit-def: $sgpr13
	s_xor_b64 exec, exec, s[20:21]
	s_cbranch_execnz .LBB54_1673
.LBB54_1573:
	s_or_b64 exec, exec, s[20:21]
	v_mov_b32_e32 v6, s13
	s_and_saveexec_b64 s[20:21], s[18:19]
.LBB54_1574:
	v_lshrrev_b32_e32 v2, 24, v2
	s_movk_i32 s13, 0x80
	v_and_or_b32 v6, v2, s13, v3
.LBB54_1575:
	s_or_b64 exec, exec, s[20:21]
.LBB54_1576:
	s_or_b64 exec, exec, s[10:11]
	global_store_byte v[10:11], v6, off
.LBB54_1577:
	s_mov_b64 s[10:11], -1
.LBB54_1578:
	s_mov_b64 s[18:19], 0
.LBB54_1579:
	s_and_b64 vcc, exec, s[18:19]
	s_cbranch_vccz .LBB54_1619
; %bb.1580:
	v_mov_b32_e32 v2, 22
	v_cmp_gt_i16_sdwa s[18:19], s33, v2 src0_sel:BYTE_0 src1_sel:DWORD
	s_mov_b64 s[4:5], -1
	s_and_b64 vcc, exec, s[18:19]
	s_cbranch_vccz .LBB54_1612
; %bb.1581:
	v_mov_b32_e32 v2, 24
	v_cmp_lt_i16_sdwa s[10:11], s33, v2 src0_sel:BYTE_0 src1_sel:DWORD
	s_and_b64 vcc, exec, s[10:11]
	s_cbranch_vccnz .LBB54_1601
; %bb.1582:
	v_cmp_gt_i16_sdwa s[10:11], s33, v2 src0_sel:BYTE_0 src1_sel:DWORD
	s_and_b64 vcc, exec, s[10:11]
	s_cbranch_vccz .LBB54_1590
; %bb.1583:
	v_cvt_f32_f64_e32 v2, v[0:1]
	v_and_b32_e32 v3, 0x7fffffff, v2
	s_mov_b32 s4, 0x47800000
	v_cmp_gt_u32_e32 vcc, s4, v3
	s_waitcnt vmcnt(0)
	v_mov_b32_e32 v6, 0x80
	s_and_saveexec_b64 s[4:5], vcc
	s_cbranch_execz .LBB54_1589
; %bb.1584:
	s_mov_b32 s10, 0x37ffffff
	v_cmp_lt_u32_e32 vcc, s10, v3
	s_mov_b64 s[10:11], 0
                                        ; implicit-def: $vgpr3
	s_and_saveexec_b64 s[18:19], vcc
	s_xor_b64 s[18:19], exec, s[18:19]
	s_cbranch_execz .LBB54_1676
; %bb.1585:
	v_bfe_u32 v3, v2, 21, 1
	s_mov_b32 s13, 0x88fffff
	v_add3_u32 v3, v2, v3, s13
	s_mov_b64 s[10:11], exec
	v_lshrrev_b32_e32 v3, 21, v3
	s_or_saveexec_b64 s[18:19], s[18:19]
                                        ; implicit-def: $sgpr13
	s_xor_b64 exec, exec, s[18:19]
	s_cbranch_execnz .LBB54_1677
.LBB54_1586:
	s_or_b64 exec, exec, s[18:19]
	v_mov_b32_e32 v6, s13
	s_and_saveexec_b64 s[18:19], s[10:11]
.LBB54_1587:
	v_lshrrev_b32_e32 v2, 24, v2
	s_movk_i32 s10, 0x80
	v_and_or_b32 v6, v2, s10, v3
.LBB54_1588:
	s_or_b64 exec, exec, s[18:19]
.LBB54_1589:
	s_or_b64 exec, exec, s[4:5]
	s_mov_b64 s[4:5], 0
	global_store_byte v[10:11], v6, off
.LBB54_1590:
	s_and_b64 vcc, exec, s[4:5]
	s_cbranch_vccz .LBB54_1600
; %bb.1591:
	v_cvt_f32_f64_e32 v2, v[0:1]
	s_waitcnt vmcnt(0)
	v_and_b32_e32 v6, 0x7fffffff, v2
	s_mov_b32 s4, 0x43f00000
	v_cmp_gt_u32_e32 vcc, s4, v6
                                        ; implicit-def: $vgpr3
	s_and_saveexec_b64 s[4:5], vcc
	s_xor_b64 s[4:5], exec, s[4:5]
	s_cbranch_execz .LBB54_1597
; %bb.1592:
	s_mov_b32 s10, 0x3c7fffff
	v_cmp_lt_u32_e32 vcc, s10, v6
                                        ; implicit-def: $vgpr3
	s_and_saveexec_b64 s[10:11], vcc
	s_xor_b64 s[10:11], exec, s[10:11]
; %bb.1593:
	v_bfe_u32 v3, v2, 20, 1
	s_mov_b32 s13, 0x407ffff
	v_add3_u32 v3, v2, v3, s13
	v_lshrrev_b32_e32 v6, 20, v3
	v_and_b32_e32 v3, 0xff00000, v3
	s_mov_b32 s13, 0x7f00000
	v_mov_b32_e32 v8, 0x7e
	v_cmp_ne_u32_e32 vcc, s13, v3
	v_cndmask_b32_e32 v3, v8, v6, vcc
; %bb.1594:
	s_andn2_saveexec_b64 s[10:11], s[10:11]
; %bb.1595:
	s_mov_b32 s13, 0x46800000
	v_add_f32_e64 v3, |v2|, s13
; %bb.1596:
	s_or_b64 exec, exec, s[10:11]
                                        ; implicit-def: $vgpr6
.LBB54_1597:
	s_andn2_saveexec_b64 s[4:5], s[4:5]
; %bb.1598:
	s_mov_b32 s10, 0x7f800000
	v_mov_b32_e32 v3, 0x7e
	v_mov_b32_e32 v8, 0x7f
	v_cmp_lt_u32_e32 vcc, s10, v6
	v_cndmask_b32_e32 v3, v3, v8, vcc
; %bb.1599:
	s_or_b64 exec, exec, s[4:5]
	v_lshrrev_b32_e32 v2, 24, v2
	s_movk_i32 s4, 0x80
	v_and_or_b32 v2, v2, s4, v3
	global_store_byte v[10:11], v2, off
.LBB54_1600:
	s_mov_b64 s[4:5], 0
.LBB54_1601:
	s_andn2_b64 vcc, exec, s[4:5]
	s_cbranch_vccnz .LBB54_1611
; %bb.1602:
	v_cvt_f32_f64_e32 v2, v[0:1]
	s_waitcnt vmcnt(0)
	v_and_b32_e32 v6, 0x7fffffff, v2
	s_mov_b32 s4, 0x47800000
	v_cmp_gt_u32_e32 vcc, s4, v6
                                        ; implicit-def: $vgpr3
	s_and_saveexec_b64 s[4:5], vcc
	s_xor_b64 s[4:5], exec, s[4:5]
	s_cbranch_execz .LBB54_1608
; %bb.1603:
	s_mov_b32 s10, 0x387fffff
	v_cmp_lt_u32_e32 vcc, s10, v6
                                        ; implicit-def: $vgpr3
	s_and_saveexec_b64 s[10:11], vcc
	s_xor_b64 s[10:11], exec, s[10:11]
; %bb.1604:
	v_bfe_u32 v3, v2, 21, 1
	s_mov_b32 s13, 0x80fffff
	v_add3_u32 v3, v2, v3, s13
	v_lshrrev_b32_e32 v3, 21, v3
; %bb.1605:
	s_andn2_saveexec_b64 s[10:11], s[10:11]
; %bb.1606:
	s_mov_b32 s13, 0x43000000
	v_add_f32_e64 v3, |v2|, s13
; %bb.1607:
	s_or_b64 exec, exec, s[10:11]
                                        ; implicit-def: $vgpr6
.LBB54_1608:
	s_andn2_saveexec_b64 s[4:5], s[4:5]
; %bb.1609:
	s_mov_b32 s10, 0x7f800000
	v_mov_b32_e32 v3, 0x7c
	v_mov_b32_e32 v8, 0x7f
	v_cmp_lt_u32_e32 vcc, s10, v6
	v_cndmask_b32_e32 v3, v3, v8, vcc
; %bb.1610:
	s_or_b64 exec, exec, s[4:5]
	v_lshrrev_b32_e32 v2, 24, v2
	s_movk_i32 s4, 0x80
	v_and_or_b32 v2, v2, s4, v3
	global_store_byte v[10:11], v2, off
.LBB54_1611:
	s_mov_b64 s[4:5], 0
	s_mov_b64 s[10:11], -1
.LBB54_1612:
	s_andn2_b64 vcc, exec, s[4:5]
	s_mov_b64 s[4:5], 0
	s_cbranch_vccnz .LBB54_1619
; %bb.1613:
	v_mov_b32_e32 v2, 14
	v_cmp_gt_i16_sdwa s[4:5], s33, v2 src0_sel:BYTE_0 src1_sel:DWORD
	s_mov_b64 s[18:19], -1
	s_and_b64 vcc, exec, s[4:5]
	s_cbranch_vccz .LBB54_1617
; %bb.1614:
	v_mov_b32_e32 v2, 15
	v_cmp_eq_u16_sdwa s[4:5], s33, v2 src0_sel:BYTE_0 src1_sel:DWORD
	s_mov_b64 s[0:1], -1
	s_and_b64 vcc, exec, s[4:5]
	s_cbranch_vccz .LBB54_1616
; %bb.1615:
	v_cvt_f32_f64_e32 v2, v[0:1]
	v_bfe_u32 v3, v2, 16, 1
	s_movk_i32 s0, 0x7fff
	v_add3_u32 v3, v2, v3, s0
	v_lshrrev_b32_e32 v3, 16, v3
	s_waitcnt vmcnt(0)
	v_mov_b32_e32 v6, 0x7fc0
	v_cmp_o_f32_e32 vcc, v2, v2
	v_cndmask_b32_e32 v2, v6, v3, vcc
	global_store_short v[10:11], v2, off
	s_mov_b64 s[0:1], 0
	s_mov_b64 s[10:11], -1
.LBB54_1616:
	s_mov_b64 s[18:19], 0
.LBB54_1617:
	s_mov_b64 s[4:5], 0
	s_and_b64 vcc, exec, s[18:19]
	s_cbranch_vccz .LBB54_1619
; %bb.1618:
	v_mov_b32_e32 v2, 11
	v_cmp_ne_u16_sdwa s[0:1], s33, v2 src0_sel:BYTE_0 src1_sel:DWORD
	s_mov_b64 s[4:5], -1
.LBB54_1619:
	s_and_b64 vcc, exec, s[0:1]
	s_cbranch_vccnz .LBB54_1675
; %bb.1620:
	s_andn2_b64 vcc, exec, s[4:5]
	s_cbranch_vccnz .LBB54_1622
.LBB54_1621:
	v_cmp_neq_f64_e32 vcc, 0, v[0:1]
	v_cndmask_b32_e64 v2, 0, 1, vcc
	s_mov_b64 s[10:11], -1
	global_store_byte v[10:11], v2, off
.LBB54_1622:
	s_mov_b64 s[0:1], 0
.LBB54_1623:
	s_and_b64 vcc, exec, s[0:1]
	s_cbranch_vccz .LBB54_1662
; %bb.1624:
	v_mov_b32_e32 v2, 5
	v_cmp_lt_i16_sdwa s[4:5], s33, v2 src0_sel:BYTE_0 src1_sel:DWORD
	s_mov_b64 s[0:1], -1
	s_and_b64 vcc, exec, s[4:5]
	s_cbranch_vccnz .LBB54_1645
; %bb.1625:
	v_mov_b32_e32 v2, 8
	v_cmp_lt_i16_sdwa s[4:5], s33, v2 src0_sel:BYTE_0 src1_sel:DWORD
	s_and_b64 vcc, exec, s[4:5]
	s_cbranch_vccnz .LBB54_1635
; %bb.1626:
	v_mov_b32_e32 v2, 9
	v_cmp_lt_i16_sdwa s[4:5], s33, v2 src0_sel:BYTE_0 src1_sel:DWORD
	s_and_b64 vcc, exec, s[4:5]
	s_cbranch_vccnz .LBB54_1632
; %bb.1627:
	v_cmp_gt_i16_sdwa s[4:5], s33, v2 src0_sel:BYTE_0 src1_sel:DWORD
	s_and_b64 vcc, exec, s[4:5]
	s_cbranch_vccz .LBB54_1629
; %bb.1628:
	v_mov_b32_e32 v2, 0
	v_mov_b32_e32 v3, v2
	global_store_dwordx4 v[10:11], v[0:3], off
	s_mov_b64 s[0:1], 0
.LBB54_1629:
	s_andn2_b64 vcc, exec, s[0:1]
	s_cbranch_vccnz .LBB54_1631
; %bb.1630:
	v_cvt_f32_f64_e32 v2, v[0:1]
	v_mov_b32_e32 v3, 0
	global_store_dwordx2 v[10:11], v[2:3], off
.LBB54_1631:
	s_mov_b64 s[0:1], 0
.LBB54_1632:
	s_andn2_b64 vcc, exec, s[0:1]
	s_cbranch_vccnz .LBB54_1634
; %bb.1633:
	v_cvt_f32_f64_e32 v2, v[0:1]
	v_cvt_f16_f32_e32 v2, v2
	global_store_dword v[10:11], v2, off
.LBB54_1634:
	s_mov_b64 s[0:1], 0
.LBB54_1635:
	s_andn2_b64 vcc, exec, s[0:1]
	s_cbranch_vccnz .LBB54_1644
; %bb.1636:
	v_mov_b32_e32 v2, 6
	v_cmp_lt_i16_sdwa s[4:5], s33, v2 src0_sel:BYTE_0 src1_sel:DWORD
	s_mov_b64 s[0:1], -1
	s_and_b64 vcc, exec, s[4:5]
	s_cbranch_vccnz .LBB54_1642
; %bb.1637:
	v_cmp_gt_i16_sdwa s[4:5], s33, v2 src0_sel:BYTE_0 src1_sel:DWORD
	s_and_b64 vcc, exec, s[4:5]
	s_cbranch_vccz .LBB54_1639
; %bb.1638:
	global_store_dwordx2 v[10:11], v[0:1], off
	s_mov_b64 s[0:1], 0
.LBB54_1639:
	s_andn2_b64 vcc, exec, s[0:1]
	s_cbranch_vccnz .LBB54_1641
; %bb.1640:
	v_cvt_f32_f64_e32 v2, v[0:1]
	global_store_dword v[10:11], v2, off
.LBB54_1641:
	s_mov_b64 s[0:1], 0
.LBB54_1642:
	s_andn2_b64 vcc, exec, s[0:1]
	s_cbranch_vccnz .LBB54_1644
; %bb.1643:
	v_cvt_f32_f64_e32 v2, v[0:1]
	v_cvt_f16_f32_e32 v2, v2
	global_store_short v[10:11], v2, off
.LBB54_1644:
	s_mov_b64 s[0:1], 0
.LBB54_1645:
	s_andn2_b64 vcc, exec, s[0:1]
	s_cbranch_vccnz .LBB54_1661
; %bb.1646:
	v_mov_b32_e32 v2, 2
	v_cmp_lt_i16_sdwa s[4:5], s33, v2 src0_sel:BYTE_0 src1_sel:DWORD
	s_mov_b64 s[0:1], -1
	s_and_b64 vcc, exec, s[4:5]
	s_cbranch_vccnz .LBB54_1656
; %bb.1647:
	v_mov_b32_e32 v2, 3
	v_cmp_lt_i16_sdwa s[4:5], s33, v2 src0_sel:BYTE_0 src1_sel:DWORD
	s_and_b64 vcc, exec, s[4:5]
	s_cbranch_vccnz .LBB54_1653
; %bb.1648:
	v_cmp_gt_i16_sdwa s[4:5], s33, v2 src0_sel:BYTE_0 src1_sel:DWORD
	s_and_b64 vcc, exec, s[4:5]
	s_cbranch_vccz .LBB54_1650
; %bb.1649:
	v_trunc_f64_e32 v[2:3], v[0:1]
	s_movk_i32 s0, 0xffe0
	v_ldexp_f64 v[12:13], v[2:3], s0
	v_floor_f64_e32 v[12:13], v[12:13]
	v_fmac_f64_e32 v[2:3], 0xc1f00000, v[12:13]
	v_cvt_i32_f64_e32 v15, v[12:13]
	v_cvt_u32_f64_e32 v14, v[2:3]
	global_store_dwordx2 v[10:11], v[14:15], off
	s_mov_b64 s[0:1], 0
.LBB54_1650:
	s_andn2_b64 vcc, exec, s[0:1]
	s_cbranch_vccnz .LBB54_1652
; %bb.1651:
	v_cvt_i32_f64_e32 v2, v[0:1]
	global_store_dword v[10:11], v2, off
.LBB54_1652:
	s_mov_b64 s[0:1], 0
.LBB54_1653:
	s_andn2_b64 vcc, exec, s[0:1]
	s_cbranch_vccnz .LBB54_1655
; %bb.1654:
	v_cvt_i32_f64_e32 v2, v[0:1]
	global_store_short v[10:11], v2, off
.LBB54_1655:
	s_mov_b64 s[0:1], 0
.LBB54_1656:
	s_andn2_b64 vcc, exec, s[0:1]
	s_cbranch_vccnz .LBB54_1661
; %bb.1657:
	v_mov_b32_e32 v2, 0
	v_cmp_gt_i16_sdwa s[4:5], s33, v2 src0_sel:BYTE_0 src1_sel:DWORD
	s_mov_b64 s[0:1], -1
	s_and_b64 vcc, exec, s[4:5]
	s_cbranch_vccz .LBB54_1659
; %bb.1658:
	v_cvt_i32_f64_e32 v2, v[0:1]
	global_store_byte v[10:11], v2, off
	s_mov_b64 s[0:1], 0
.LBB54_1659:
	s_andn2_b64 vcc, exec, s[0:1]
	s_cbranch_vccnz .LBB54_1661
; %bb.1660:
	v_trunc_f64_e32 v[0:1], v[0:1]
	s_movk_i32 s0, 0xffe0
	v_ldexp_f64 v[2:3], v[0:1], s0
	v_floor_f64_e32 v[2:3], v[2:3]
	v_fmac_f64_e32 v[0:1], 0xc1f00000, v[2:3]
	v_cvt_u32_f64_e32 v0, v[0:1]
	global_store_byte v[10:11], v0, off
.LBB54_1661:
	s_mov_b64 s[10:11], -1
.LBB54_1662:
	s_andn2_b64 vcc, exec, s[10:11]
	s_cbranch_vccnz .LBB54_1993
; %bb.1663:
	s_lshl_b32 s20, s12, 7
	s_waitcnt vmcnt(0)
	v_add_u32_e32 v6, s20, v4
	s_brev_b32 s0, -2
	v_mov_b32_e32 v0, s3
	v_ashrrev_i32_e32 v2, 31, v6
	v_mov_b32_e32 v3, s9
	v_add_co_u32_e32 v4, vcc, s8, v6
	v_bfi_b32 v1, s0, v0, v5
	v_addc_co_u32_e32 v5, vcc, v3, v2, vcc
	v_mov_b32_e32 v2, 11
	v_cmp_lt_i16_sdwa s[0:1], s33, v2 src0_sel:BYTE_0 src1_sel:DWORD
	v_mov_b32_e32 v0, s2
	s_and_b64 vcc, exec, s[0:1]
	s_cbranch_vccnz .LBB54_1670
; %bb.1664:
	v_mov_b32_e32 v2, 25
	v_cmp_gt_i16_sdwa s[0:1], s33, v2 src0_sel:BYTE_0 src1_sel:DWORD
	s_mov_b64 s[12:13], -1
	s_mov_b64 s[4:5], 0
	s_and_b64 vcc, exec, s[0:1]
	s_mov_b64 s[10:11], 0
	s_mov_b64 s[0:1], 0
	s_cbranch_vccz .LBB54_1706
; %bb.1665:
	v_mov_b32_e32 v2, 28
	v_cmp_gt_i16_sdwa s[0:1], s33, v2 src0_sel:BYTE_0 src1_sel:DWORD
	s_and_b64 vcc, exec, s[0:1]
	s_cbranch_vccz .LBB54_1671
; %bb.1666:
	v_mov_b32_e32 v2, 43
	v_cmp_gt_i16_sdwa s[0:1], s33, v2 src0_sel:BYTE_0 src1_sel:DWORD
	s_and_b64 vcc, exec, s[0:1]
	;; [unrolled: 5-line block ×3, first 2 shown]
	s_cbranch_vccz .LBB54_1678
; %bb.1668:
	v_mov_b32_e32 v2, 46
	v_cmp_eq_u16_sdwa s[10:11], s33, v2 src0_sel:BYTE_0 src1_sel:DWORD
	s_mov_b64 s[0:1], -1
	s_mov_b64 s[12:13], 0
	s_and_b64 vcc, exec, s[10:11]
	s_mov_b64 s[10:11], 0
	s_cbranch_vccz .LBB54_1679
; %bb.1669:
	v_cvt_f32_f64_e32 v2, v[0:1]
	v_bfe_u32 v3, v2, 16, 1
	s_movk_i32 s0, 0x7fff
	v_add3_u32 v3, v2, v3, s0
	v_lshrrev_b32_e32 v3, 16, v3
	v_mov_b32_e32 v8, 0x7fc0
	v_cmp_o_f32_e32 vcc, v2, v2
	v_cndmask_b32_e32 v2, v8, v3, vcc
	global_store_dword v[4:5], v2, off
	s_mov_b64 s[0:1], 0
	s_mov_b64 s[10:11], -1
	s_branch .LBB54_1679
.LBB54_1670:
	s_mov_b64 s[0:1], -1
	s_mov_b64 s[10:11], 0
	s_branch .LBB54_1750
.LBB54_1671:
	s_mov_b64 s[0:1], 0
	s_branch .LBB54_1689
.LBB54_1672:
	s_or_saveexec_b64 s[20:21], s[20:21]
                                        ; implicit-def: $sgpr13
	s_xor_b64 exec, exec, s[20:21]
	s_cbranch_execz .LBB54_1573
.LBB54_1673:
	s_mov_b32 s13, 0x46000000
	v_add_f32_e64 v3, |v2|, s13
	v_and_b32_e32 v3, 0xff, v3
	v_cmp_ne_u32_e32 vcc, 0, v3
	s_andn2_b64 s[18:19], s[18:19], exec
	s_and_b64 s[22:23], vcc, exec
	s_mov_b32 s13, 0
	s_or_b64 s[18:19], s[18:19], s[22:23]
	s_or_b64 exec, exec, s[20:21]
	v_mov_b32_e32 v6, s13
	s_and_saveexec_b64 s[20:21], s[18:19]
	s_cbranch_execnz .LBB54_1574
	s_branch .LBB54_1575
.LBB54_1674:
	s_mov_b64 s[0:1], 0
	s_branch .LBB54_1685
.LBB54_1675:
	s_trap 2
	s_or_b64 s[16:17], s[16:17], exec
	s_cbranch_execz .LBB54_1621
	s_branch .LBB54_1622
.LBB54_1676:
	s_or_saveexec_b64 s[18:19], s[18:19]
                                        ; implicit-def: $sgpr13
	s_xor_b64 exec, exec, s[18:19]
	s_cbranch_execz .LBB54_1586
.LBB54_1677:
	s_mov_b32 s13, 0x42800000
	v_add_f32_e64 v3, |v2|, s13
	v_and_b32_e32 v3, 0xff, v3
	v_cmp_ne_u32_e32 vcc, 0, v3
	s_andn2_b64 s[10:11], s[10:11], exec
	s_and_b64 s[20:21], vcc, exec
	s_mov_b32 s13, 0
	s_or_b64 s[10:11], s[10:11], s[20:21]
	s_or_b64 exec, exec, s[18:19]
	v_mov_b32_e32 v6, s13
	s_and_saveexec_b64 s[18:19], s[10:11]
	s_cbranch_execnz .LBB54_1587
	s_branch .LBB54_1588
.LBB54_1678:
	s_mov_b64 s[0:1], 0
.LBB54_1679:
	s_and_b64 vcc, exec, s[12:13]
	s_cbranch_vccz .LBB54_1684
; %bb.1680:
	v_mov_b32_e32 v2, 44
	v_cmp_eq_u16_sdwa s[12:13], s33, v2 src0_sel:BYTE_0 src1_sel:DWORD
	s_mov_b64 s[0:1], -1
	s_and_b64 vcc, exec, s[12:13]
	s_cbranch_vccz .LBB54_1684
; %bb.1681:
	v_cvt_f32_f64_e32 v2, v[0:1]
	v_bfe_u32 v3, v2, 23, 8
	s_movk_i32 s0, 0xff
	v_cmp_ne_u32_e32 vcc, s0, v3
	v_mov_b32_e32 v8, 0xff
	s_and_saveexec_b64 s[10:11], vcc
; %bb.1682:
	s_mov_b32 s0, 0x3fffff
	v_lshrrev_b32_e32 v8, 23, v2
	v_and_b32_e32 v10, 0x400000, v2
	v_and_or_b32 v2, v2, s0, v3
	v_cmp_ne_u32_e32 vcc, 0, v10
	v_cmp_ne_u32_e64 s[0:1], 0, v2
	s_and_b64 s[0:1], vcc, s[0:1]
	v_cndmask_b32_e64 v2, 0, 1, s[0:1]
	v_add_u32_e32 v8, v8, v2
; %bb.1683:
	s_or_b64 exec, exec, s[10:11]
	s_mov_b64 s[0:1], 0
	s_mov_b64 s[10:11], -1
	global_store_byte v[4:5], v8, off
.LBB54_1684:
	s_mov_b64 s[12:13], 0
.LBB54_1685:
	s_and_b64 vcc, exec, s[12:13]
	s_cbranch_vccz .LBB54_1688
; %bb.1686:
	v_mov_b32_e32 v2, 29
	v_cmp_eq_u16_sdwa s[12:13], s33, v2 src0_sel:BYTE_0 src1_sel:DWORD
	s_mov_b64 s[0:1], -1
	s_and_b64 vcc, exec, s[12:13]
	s_cbranch_vccz .LBB54_1688
; %bb.1687:
	v_trunc_f64_e32 v[2:3], v[0:1]
	s_movk_i32 s0, 0xffe0
	v_ldexp_f64 v[10:11], v[2:3], s0
	v_floor_f64_e32 v[10:11], v[10:11]
	v_fmac_f64_e32 v[2:3], 0xc1f00000, v[10:11]
	v_cvt_u32_f64_e32 v13, v[10:11]
	v_cvt_u32_f64_e32 v12, v[2:3]
	global_store_dwordx2 v[4:5], v[12:13], off
	s_mov_b64 s[0:1], 0
	s_mov_b64 s[10:11], -1
.LBB54_1688:
	s_mov_b64 s[12:13], 0
.LBB54_1689:
	s_and_b64 vcc, exec, s[12:13]
	s_cbranch_vccz .LBB54_1705
; %bb.1690:
	v_mov_b32_e32 v2, 27
	v_cmp_lt_i16_sdwa s[12:13], s33, v2 src0_sel:BYTE_0 src1_sel:DWORD
	s_mov_b64 s[10:11], -1
	s_and_b64 vcc, exec, s[12:13]
	s_cbranch_vccnz .LBB54_1696
; %bb.1691:
	v_cmp_gt_i16_sdwa s[12:13], s33, v2 src0_sel:BYTE_0 src1_sel:DWORD
	s_and_b64 vcc, exec, s[12:13]
	v_cvt_u32_f64_e32 v2, v[0:1]
	s_cbranch_vccz .LBB54_1693
; %bb.1692:
	s_mov_b64 s[10:11], 0
	global_store_dword v[4:5], v2, off
.LBB54_1693:
	s_andn2_b64 vcc, exec, s[10:11]
	s_cbranch_vccnz .LBB54_1695
; %bb.1694:
	global_store_short v[4:5], v2, off
.LBB54_1695:
	s_mov_b64 s[10:11], 0
.LBB54_1696:
	s_andn2_b64 vcc, exec, s[10:11]
	s_cbranch_vccnz .LBB54_1704
; %bb.1697:
	v_cvt_f32_f64_e32 v2, v[0:1]
	v_and_b32_e32 v3, 0x7fffffff, v2
	s_mov_b32 s10, 0x43800000
	v_cmp_gt_u32_e32 vcc, s10, v3
	v_mov_b32_e32 v8, 0x80
	s_and_saveexec_b64 s[10:11], vcc
	s_cbranch_execz .LBB54_1703
; %bb.1698:
	s_mov_b32 s12, 0x3bffffff
	v_cmp_lt_u32_e32 vcc, s12, v3
	s_mov_b64 s[12:13], 0
                                        ; implicit-def: $vgpr3
	s_and_saveexec_b64 s[18:19], vcc
	s_xor_b64 s[18:19], exec, s[18:19]
	s_cbranch_execz .LBB54_1799
; %bb.1699:
	v_bfe_u32 v3, v2, 20, 1
	s_mov_b32 s21, 0x487ffff
	v_add3_u32 v3, v2, v3, s21
	s_mov_b64 s[12:13], exec
	v_lshrrev_b32_e32 v3, 20, v3
	s_or_saveexec_b64 s[18:19], s[18:19]
                                        ; implicit-def: $sgpr21
	s_xor_b64 exec, exec, s[18:19]
	s_cbranch_execnz .LBB54_1800
.LBB54_1700:
	s_or_b64 exec, exec, s[18:19]
	v_mov_b32_e32 v8, s21
	s_and_saveexec_b64 s[18:19], s[12:13]
.LBB54_1701:
	v_lshrrev_b32_e32 v2, 24, v2
	s_movk_i32 s12, 0x80
	v_and_or_b32 v8, v2, s12, v3
.LBB54_1702:
	s_or_b64 exec, exec, s[18:19]
.LBB54_1703:
	s_or_b64 exec, exec, s[10:11]
	global_store_byte v[4:5], v8, off
.LBB54_1704:
	s_mov_b64 s[10:11], -1
.LBB54_1705:
	s_mov_b64 s[12:13], 0
.LBB54_1706:
	s_and_b64 vcc, exec, s[12:13]
	s_cbranch_vccz .LBB54_1746
; %bb.1707:
	v_mov_b32_e32 v2, 22
	v_cmp_gt_i16_sdwa s[12:13], s33, v2 src0_sel:BYTE_0 src1_sel:DWORD
	s_mov_b64 s[4:5], -1
	s_and_b64 vcc, exec, s[12:13]
	s_cbranch_vccz .LBB54_1739
; %bb.1708:
	v_mov_b32_e32 v2, 24
	v_cmp_lt_i16_sdwa s[10:11], s33, v2 src0_sel:BYTE_0 src1_sel:DWORD
	s_and_b64 vcc, exec, s[10:11]
	s_cbranch_vccnz .LBB54_1728
; %bb.1709:
	v_cmp_gt_i16_sdwa s[10:11], s33, v2 src0_sel:BYTE_0 src1_sel:DWORD
	s_and_b64 vcc, exec, s[10:11]
	s_cbranch_vccz .LBB54_1717
; %bb.1710:
	v_cvt_f32_f64_e32 v2, v[0:1]
	v_and_b32_e32 v3, 0x7fffffff, v2
	s_mov_b32 s4, 0x47800000
	v_cmp_gt_u32_e32 vcc, s4, v3
	v_mov_b32_e32 v8, 0x80
	s_and_saveexec_b64 s[4:5], vcc
	s_cbranch_execz .LBB54_1716
; %bb.1711:
	s_mov_b32 s10, 0x37ffffff
	v_cmp_lt_u32_e32 vcc, s10, v3
	s_mov_b64 s[10:11], 0
                                        ; implicit-def: $vgpr3
	s_and_saveexec_b64 s[12:13], vcc
	s_xor_b64 s[12:13], exec, s[12:13]
	s_cbranch_execz .LBB54_1803
; %bb.1712:
	v_bfe_u32 v3, v2, 21, 1
	s_mov_b32 s18, 0x88fffff
	v_add3_u32 v3, v2, v3, s18
	s_mov_b64 s[10:11], exec
	v_lshrrev_b32_e32 v3, 21, v3
	s_or_saveexec_b64 s[12:13], s[12:13]
                                        ; implicit-def: $sgpr18
	s_xor_b64 exec, exec, s[12:13]
	s_cbranch_execnz .LBB54_1804
.LBB54_1713:
	s_or_b64 exec, exec, s[12:13]
	v_mov_b32_e32 v8, s18
	s_and_saveexec_b64 s[12:13], s[10:11]
.LBB54_1714:
	v_lshrrev_b32_e32 v2, 24, v2
	s_movk_i32 s10, 0x80
	v_and_or_b32 v8, v2, s10, v3
.LBB54_1715:
	s_or_b64 exec, exec, s[12:13]
.LBB54_1716:
	s_or_b64 exec, exec, s[4:5]
	s_mov_b64 s[4:5], 0
	global_store_byte v[4:5], v8, off
.LBB54_1717:
	s_and_b64 vcc, exec, s[4:5]
	s_cbranch_vccz .LBB54_1727
; %bb.1718:
	v_cvt_f32_f64_e32 v2, v[0:1]
	v_and_b32_e32 v8, 0x7fffffff, v2
	s_mov_b32 s4, 0x43f00000
	v_cmp_gt_u32_e32 vcc, s4, v8
                                        ; implicit-def: $vgpr3
	s_and_saveexec_b64 s[4:5], vcc
	s_xor_b64 s[4:5], exec, s[4:5]
	s_cbranch_execz .LBB54_1724
; %bb.1719:
	s_mov_b32 s10, 0x3c7fffff
	v_cmp_lt_u32_e32 vcc, s10, v8
                                        ; implicit-def: $vgpr3
	s_and_saveexec_b64 s[10:11], vcc
	s_xor_b64 s[10:11], exec, s[10:11]
; %bb.1720:
	v_bfe_u32 v3, v2, 20, 1
	s_mov_b32 s12, 0x407ffff
	v_add3_u32 v3, v2, v3, s12
	v_lshrrev_b32_e32 v8, 20, v3
	v_and_b32_e32 v3, 0xff00000, v3
	s_mov_b32 s12, 0x7f00000
	v_mov_b32_e32 v10, 0x7e
	v_cmp_ne_u32_e32 vcc, s12, v3
	v_cndmask_b32_e32 v3, v10, v8, vcc
; %bb.1721:
	s_andn2_saveexec_b64 s[10:11], s[10:11]
; %bb.1722:
	s_mov_b32 s12, 0x46800000
	v_add_f32_e64 v3, |v2|, s12
; %bb.1723:
	s_or_b64 exec, exec, s[10:11]
                                        ; implicit-def: $vgpr8
.LBB54_1724:
	s_andn2_saveexec_b64 s[4:5], s[4:5]
; %bb.1725:
	s_mov_b32 s10, 0x7f800000
	v_mov_b32_e32 v3, 0x7e
	v_mov_b32_e32 v10, 0x7f
	v_cmp_lt_u32_e32 vcc, s10, v8
	v_cndmask_b32_e32 v3, v3, v10, vcc
; %bb.1726:
	s_or_b64 exec, exec, s[4:5]
	v_lshrrev_b32_e32 v2, 24, v2
	s_movk_i32 s4, 0x80
	v_and_or_b32 v2, v2, s4, v3
	global_store_byte v[4:5], v2, off
.LBB54_1727:
	s_mov_b64 s[4:5], 0
.LBB54_1728:
	s_andn2_b64 vcc, exec, s[4:5]
	s_cbranch_vccnz .LBB54_1738
; %bb.1729:
	v_cvt_f32_f64_e32 v2, v[0:1]
	v_and_b32_e32 v8, 0x7fffffff, v2
	s_mov_b32 s4, 0x47800000
	v_cmp_gt_u32_e32 vcc, s4, v8
                                        ; implicit-def: $vgpr3
	s_and_saveexec_b64 s[4:5], vcc
	s_xor_b64 s[4:5], exec, s[4:5]
	s_cbranch_execz .LBB54_1735
; %bb.1730:
	s_mov_b32 s10, 0x387fffff
	v_cmp_lt_u32_e32 vcc, s10, v8
                                        ; implicit-def: $vgpr3
	s_and_saveexec_b64 s[10:11], vcc
	s_xor_b64 s[10:11], exec, s[10:11]
; %bb.1731:
	v_bfe_u32 v3, v2, 21, 1
	s_mov_b32 s12, 0x80fffff
	v_add3_u32 v3, v2, v3, s12
	v_lshrrev_b32_e32 v3, 21, v3
; %bb.1732:
	s_andn2_saveexec_b64 s[10:11], s[10:11]
; %bb.1733:
	s_mov_b32 s12, 0x43000000
	v_add_f32_e64 v3, |v2|, s12
; %bb.1734:
	s_or_b64 exec, exec, s[10:11]
                                        ; implicit-def: $vgpr8
.LBB54_1735:
	s_andn2_saveexec_b64 s[4:5], s[4:5]
; %bb.1736:
	s_mov_b32 s10, 0x7f800000
	v_mov_b32_e32 v3, 0x7c
	v_mov_b32_e32 v10, 0x7f
	v_cmp_lt_u32_e32 vcc, s10, v8
	v_cndmask_b32_e32 v3, v3, v10, vcc
; %bb.1737:
	s_or_b64 exec, exec, s[4:5]
	v_lshrrev_b32_e32 v2, 24, v2
	s_movk_i32 s4, 0x80
	v_and_or_b32 v2, v2, s4, v3
	global_store_byte v[4:5], v2, off
.LBB54_1738:
	s_mov_b64 s[4:5], 0
	s_mov_b64 s[10:11], -1
.LBB54_1739:
	s_andn2_b64 vcc, exec, s[4:5]
	s_mov_b64 s[4:5], 0
	s_cbranch_vccnz .LBB54_1746
; %bb.1740:
	v_mov_b32_e32 v2, 14
	v_cmp_gt_i16_sdwa s[4:5], s33, v2 src0_sel:BYTE_0 src1_sel:DWORD
	s_mov_b64 s[12:13], -1
	s_and_b64 vcc, exec, s[4:5]
	s_cbranch_vccz .LBB54_1744
; %bb.1741:
	v_mov_b32_e32 v2, 15
	v_cmp_eq_u16_sdwa s[4:5], s33, v2 src0_sel:BYTE_0 src1_sel:DWORD
	s_mov_b64 s[0:1], -1
	s_and_b64 vcc, exec, s[4:5]
	s_cbranch_vccz .LBB54_1743
; %bb.1742:
	v_cvt_f32_f64_e32 v2, v[0:1]
	v_bfe_u32 v3, v2, 16, 1
	s_movk_i32 s0, 0x7fff
	v_add3_u32 v3, v2, v3, s0
	v_lshrrev_b32_e32 v3, 16, v3
	v_mov_b32_e32 v8, 0x7fc0
	v_cmp_o_f32_e32 vcc, v2, v2
	v_cndmask_b32_e32 v2, v8, v3, vcc
	global_store_short v[4:5], v2, off
	s_mov_b64 s[0:1], 0
	s_mov_b64 s[10:11], -1
.LBB54_1743:
	s_mov_b64 s[12:13], 0
.LBB54_1744:
	s_mov_b64 s[4:5], 0
	s_and_b64 vcc, exec, s[12:13]
	s_cbranch_vccz .LBB54_1746
; %bb.1745:
	v_mov_b32_e32 v2, 11
	v_cmp_ne_u16_sdwa s[0:1], s33, v2 src0_sel:BYTE_0 src1_sel:DWORD
	s_mov_b64 s[4:5], -1
.LBB54_1746:
	s_and_b64 vcc, exec, s[0:1]
	s_cbranch_vccnz .LBB54_1802
; %bb.1747:
	s_andn2_b64 vcc, exec, s[4:5]
	s_cbranch_vccnz .LBB54_1749
.LBB54_1748:
	v_cmp_neq_f64_e32 vcc, 0, v[0:1]
	v_cndmask_b32_e64 v2, 0, 1, vcc
	s_mov_b64 s[10:11], -1
	global_store_byte v[4:5], v2, off
.LBB54_1749:
	s_mov_b64 s[0:1], 0
.LBB54_1750:
	s_and_b64 vcc, exec, s[0:1]
	s_cbranch_vccz .LBB54_1789
; %bb.1751:
	v_mov_b32_e32 v2, 5
	v_cmp_lt_i16_sdwa s[4:5], s33, v2 src0_sel:BYTE_0 src1_sel:DWORD
	s_mov_b64 s[0:1], -1
	s_and_b64 vcc, exec, s[4:5]
	s_cbranch_vccnz .LBB54_1772
; %bb.1752:
	v_mov_b32_e32 v2, 8
	v_cmp_lt_i16_sdwa s[4:5], s33, v2 src0_sel:BYTE_0 src1_sel:DWORD
	s_and_b64 vcc, exec, s[4:5]
	s_cbranch_vccnz .LBB54_1762
; %bb.1753:
	v_mov_b32_e32 v2, 9
	v_cmp_lt_i16_sdwa s[4:5], s33, v2 src0_sel:BYTE_0 src1_sel:DWORD
	s_and_b64 vcc, exec, s[4:5]
	s_cbranch_vccnz .LBB54_1759
; %bb.1754:
	v_cmp_gt_i16_sdwa s[4:5], s33, v2 src0_sel:BYTE_0 src1_sel:DWORD
	s_and_b64 vcc, exec, s[4:5]
	s_cbranch_vccz .LBB54_1756
; %bb.1755:
	v_mov_b32_e32 v2, 0
	v_mov_b32_e32 v3, v2
	global_store_dwordx4 v[4:5], v[0:3], off
	s_mov_b64 s[0:1], 0
.LBB54_1756:
	s_andn2_b64 vcc, exec, s[0:1]
	s_cbranch_vccnz .LBB54_1758
; %bb.1757:
	v_cvt_f32_f64_e32 v2, v[0:1]
	v_mov_b32_e32 v3, 0
	global_store_dwordx2 v[4:5], v[2:3], off
.LBB54_1758:
	s_mov_b64 s[0:1], 0
.LBB54_1759:
	s_andn2_b64 vcc, exec, s[0:1]
	s_cbranch_vccnz .LBB54_1761
; %bb.1760:
	v_cvt_f32_f64_e32 v2, v[0:1]
	v_cvt_f16_f32_e32 v2, v2
	global_store_dword v[4:5], v2, off
.LBB54_1761:
	s_mov_b64 s[0:1], 0
.LBB54_1762:
	s_andn2_b64 vcc, exec, s[0:1]
	s_cbranch_vccnz .LBB54_1771
; %bb.1763:
	v_mov_b32_e32 v2, 6
	v_cmp_lt_i16_sdwa s[4:5], s33, v2 src0_sel:BYTE_0 src1_sel:DWORD
	s_mov_b64 s[0:1], -1
	s_and_b64 vcc, exec, s[4:5]
	s_cbranch_vccnz .LBB54_1769
; %bb.1764:
	v_cmp_gt_i16_sdwa s[4:5], s33, v2 src0_sel:BYTE_0 src1_sel:DWORD
	s_and_b64 vcc, exec, s[4:5]
	s_cbranch_vccz .LBB54_1766
; %bb.1765:
	global_store_dwordx2 v[4:5], v[0:1], off
	s_mov_b64 s[0:1], 0
.LBB54_1766:
	s_andn2_b64 vcc, exec, s[0:1]
	s_cbranch_vccnz .LBB54_1768
; %bb.1767:
	v_cvt_f32_f64_e32 v2, v[0:1]
	global_store_dword v[4:5], v2, off
.LBB54_1768:
	s_mov_b64 s[0:1], 0
.LBB54_1769:
	s_andn2_b64 vcc, exec, s[0:1]
	s_cbranch_vccnz .LBB54_1771
; %bb.1770:
	v_cvt_f32_f64_e32 v2, v[0:1]
	v_cvt_f16_f32_e32 v2, v2
	global_store_short v[4:5], v2, off
.LBB54_1771:
	s_mov_b64 s[0:1], 0
.LBB54_1772:
	s_andn2_b64 vcc, exec, s[0:1]
	s_cbranch_vccnz .LBB54_1788
; %bb.1773:
	v_mov_b32_e32 v2, 2
	v_cmp_lt_i16_sdwa s[4:5], s33, v2 src0_sel:BYTE_0 src1_sel:DWORD
	s_mov_b64 s[0:1], -1
	s_and_b64 vcc, exec, s[4:5]
	s_cbranch_vccnz .LBB54_1783
; %bb.1774:
	v_mov_b32_e32 v2, 3
	v_cmp_lt_i16_sdwa s[4:5], s33, v2 src0_sel:BYTE_0 src1_sel:DWORD
	s_and_b64 vcc, exec, s[4:5]
	s_cbranch_vccnz .LBB54_1780
; %bb.1775:
	v_cmp_gt_i16_sdwa s[4:5], s33, v2 src0_sel:BYTE_0 src1_sel:DWORD
	s_and_b64 vcc, exec, s[4:5]
	s_cbranch_vccz .LBB54_1777
; %bb.1776:
	v_trunc_f64_e32 v[2:3], v[0:1]
	s_movk_i32 s0, 0xffe0
	v_ldexp_f64 v[10:11], v[2:3], s0
	v_floor_f64_e32 v[10:11], v[10:11]
	v_fmac_f64_e32 v[2:3], 0xc1f00000, v[10:11]
	v_cvt_i32_f64_e32 v13, v[10:11]
	v_cvt_u32_f64_e32 v12, v[2:3]
	global_store_dwordx2 v[4:5], v[12:13], off
	s_mov_b64 s[0:1], 0
.LBB54_1777:
	s_andn2_b64 vcc, exec, s[0:1]
	s_cbranch_vccnz .LBB54_1779
; %bb.1778:
	v_cvt_i32_f64_e32 v2, v[0:1]
	global_store_dword v[4:5], v2, off
.LBB54_1779:
	s_mov_b64 s[0:1], 0
.LBB54_1780:
	s_andn2_b64 vcc, exec, s[0:1]
	s_cbranch_vccnz .LBB54_1782
; %bb.1781:
	v_cvt_i32_f64_e32 v2, v[0:1]
	global_store_short v[4:5], v2, off
.LBB54_1782:
	s_mov_b64 s[0:1], 0
.LBB54_1783:
	s_andn2_b64 vcc, exec, s[0:1]
	s_cbranch_vccnz .LBB54_1788
; %bb.1784:
	v_mov_b32_e32 v2, 0
	v_cmp_gt_i16_sdwa s[4:5], s33, v2 src0_sel:BYTE_0 src1_sel:DWORD
	s_mov_b64 s[0:1], -1
	s_and_b64 vcc, exec, s[4:5]
	s_cbranch_vccz .LBB54_1786
; %bb.1785:
	v_cvt_i32_f64_e32 v2, v[0:1]
	global_store_byte v[4:5], v2, off
	s_mov_b64 s[0:1], 0
.LBB54_1786:
	s_andn2_b64 vcc, exec, s[0:1]
	s_cbranch_vccnz .LBB54_1788
; %bb.1787:
	v_trunc_f64_e32 v[0:1], v[0:1]
	s_movk_i32 s0, 0xffe0
	v_ldexp_f64 v[2:3], v[0:1], s0
	v_floor_f64_e32 v[2:3], v[2:3]
	v_fmac_f64_e32 v[0:1], 0xc1f00000, v[2:3]
	v_cvt_u32_f64_e32 v0, v[0:1]
	global_store_byte v[4:5], v0, off
.LBB54_1788:
	s_mov_b64 s[10:11], -1
.LBB54_1789:
	s_andn2_b64 vcc, exec, s[10:11]
	s_cbranch_vccnz .LBB54_1993
; %bb.1790:
	v_add_u32_e32 v6, s20, v6
	v_ashrrev_i32_e32 v2, 31, v6
	v_mov_b32_e32 v3, s9
	v_add_co_u32_e32 v4, vcc, s8, v6
	s_brev_b32 s0, -2
	v_mov_b32_e32 v0, s3
	v_addc_co_u32_e32 v5, vcc, v3, v2, vcc
	v_mov_b32_e32 v2, 11
	v_bfi_b32 v1, s0, v0, v7
	v_cmp_lt_i16_sdwa s[0:1], s33, v2 src0_sel:BYTE_0 src1_sel:DWORD
	v_mov_b32_e32 v0, s2
	s_and_b64 vcc, exec, s[0:1]
	s_cbranch_vccnz .LBB54_1797
; %bb.1791:
	v_mov_b32_e32 v2, 25
	v_cmp_gt_i16_sdwa s[0:1], s33, v2 src0_sel:BYTE_0 src1_sel:DWORD
	s_mov_b64 s[12:13], -1
	s_mov_b64 s[4:5], 0
	s_and_b64 vcc, exec, s[0:1]
	s_mov_b64 s[10:11], 0
	s_mov_b64 s[0:1], 0
	s_cbranch_vccz .LBB54_1833
; %bb.1792:
	v_mov_b32_e32 v2, 28
	v_cmp_gt_i16_sdwa s[0:1], s33, v2 src0_sel:BYTE_0 src1_sel:DWORD
	s_and_b64 vcc, exec, s[0:1]
	s_cbranch_vccz .LBB54_1798
; %bb.1793:
	v_mov_b32_e32 v2, 43
	v_cmp_gt_i16_sdwa s[0:1], s33, v2 src0_sel:BYTE_0 src1_sel:DWORD
	s_and_b64 vcc, exec, s[0:1]
	;; [unrolled: 5-line block ×3, first 2 shown]
	s_cbranch_vccz .LBB54_1805
; %bb.1795:
	v_mov_b32_e32 v2, 46
	v_cmp_eq_u16_sdwa s[10:11], s33, v2 src0_sel:BYTE_0 src1_sel:DWORD
	s_mov_b64 s[0:1], -1
	s_mov_b64 s[12:13], 0
	s_and_b64 vcc, exec, s[10:11]
	s_mov_b64 s[10:11], 0
	s_cbranch_vccz .LBB54_1806
; %bb.1796:
	v_cvt_f32_f64_e32 v2, v[0:1]
	v_bfe_u32 v3, v2, 16, 1
	s_movk_i32 s0, 0x7fff
	v_add3_u32 v3, v2, v3, s0
	v_lshrrev_b32_e32 v3, 16, v3
	v_mov_b32_e32 v7, 0x7fc0
	v_cmp_o_f32_e32 vcc, v2, v2
	v_cndmask_b32_e32 v2, v7, v3, vcc
	global_store_dword v[4:5], v2, off
	s_mov_b64 s[0:1], 0
	s_mov_b64 s[10:11], -1
	s_branch .LBB54_1806
.LBB54_1797:
	s_mov_b64 s[0:1], -1
	s_mov_b64 s[10:11], 0
	s_branch .LBB54_1877
.LBB54_1798:
	s_mov_b64 s[0:1], 0
	s_branch .LBB54_1816
.LBB54_1799:
	s_or_saveexec_b64 s[18:19], s[18:19]
                                        ; implicit-def: $sgpr21
	s_xor_b64 exec, exec, s[18:19]
	s_cbranch_execz .LBB54_1700
.LBB54_1800:
	s_mov_b32 s21, 0x46000000
	v_add_f32_e64 v3, |v2|, s21
	v_and_b32_e32 v3, 0xff, v3
	v_cmp_ne_u32_e32 vcc, 0, v3
	s_andn2_b64 s[12:13], s[12:13], exec
	s_and_b64 s[22:23], vcc, exec
	s_mov_b32 s21, 0
	s_or_b64 s[12:13], s[12:13], s[22:23]
	s_or_b64 exec, exec, s[18:19]
	v_mov_b32_e32 v8, s21
	s_and_saveexec_b64 s[18:19], s[12:13]
	s_cbranch_execnz .LBB54_1701
	s_branch .LBB54_1702
.LBB54_1801:
	s_mov_b64 s[0:1], 0
	s_branch .LBB54_1812
.LBB54_1802:
	s_trap 2
	s_or_b64 s[16:17], s[16:17], exec
	s_cbranch_execz .LBB54_1748
	s_branch .LBB54_1749
.LBB54_1803:
	s_or_saveexec_b64 s[12:13], s[12:13]
                                        ; implicit-def: $sgpr18
	s_xor_b64 exec, exec, s[12:13]
	s_cbranch_execz .LBB54_1713
.LBB54_1804:
	s_mov_b32 s18, 0x42800000
	v_add_f32_e64 v3, |v2|, s18
	v_and_b32_e32 v3, 0xff, v3
	v_cmp_ne_u32_e32 vcc, 0, v3
	s_andn2_b64 s[10:11], s[10:11], exec
	s_and_b64 s[22:23], vcc, exec
	s_mov_b32 s18, 0
	s_or_b64 s[10:11], s[10:11], s[22:23]
	s_or_b64 exec, exec, s[12:13]
	v_mov_b32_e32 v8, s18
	s_and_saveexec_b64 s[12:13], s[10:11]
	s_cbranch_execnz .LBB54_1714
	s_branch .LBB54_1715
.LBB54_1805:
	s_mov_b64 s[0:1], 0
.LBB54_1806:
	s_and_b64 vcc, exec, s[12:13]
	s_cbranch_vccz .LBB54_1811
; %bb.1807:
	v_mov_b32_e32 v2, 44
	v_cmp_eq_u16_sdwa s[12:13], s33, v2 src0_sel:BYTE_0 src1_sel:DWORD
	s_mov_b64 s[0:1], -1
	s_and_b64 vcc, exec, s[12:13]
	s_cbranch_vccz .LBB54_1811
; %bb.1808:
	v_cvt_f32_f64_e32 v2, v[0:1]
	v_bfe_u32 v3, v2, 23, 8
	s_movk_i32 s0, 0xff
	v_cmp_ne_u32_e32 vcc, s0, v3
	v_mov_b32_e32 v7, 0xff
	s_and_saveexec_b64 s[10:11], vcc
; %bb.1809:
	s_mov_b32 s0, 0x3fffff
	v_lshrrev_b32_e32 v7, 23, v2
	v_and_b32_e32 v8, 0x400000, v2
	v_and_or_b32 v2, v2, s0, v3
	v_cmp_ne_u32_e32 vcc, 0, v8
	v_cmp_ne_u32_e64 s[0:1], 0, v2
	s_and_b64 s[0:1], vcc, s[0:1]
	v_cndmask_b32_e64 v2, 0, 1, s[0:1]
	v_add_u32_e32 v7, v7, v2
; %bb.1810:
	s_or_b64 exec, exec, s[10:11]
	s_mov_b64 s[0:1], 0
	s_mov_b64 s[10:11], -1
	global_store_byte v[4:5], v7, off
.LBB54_1811:
	s_mov_b64 s[12:13], 0
.LBB54_1812:
	s_and_b64 vcc, exec, s[12:13]
	s_cbranch_vccz .LBB54_1815
; %bb.1813:
	v_mov_b32_e32 v2, 29
	v_cmp_eq_u16_sdwa s[12:13], s33, v2 src0_sel:BYTE_0 src1_sel:DWORD
	s_mov_b64 s[0:1], -1
	s_and_b64 vcc, exec, s[12:13]
	s_cbranch_vccz .LBB54_1815
; %bb.1814:
	v_trunc_f64_e32 v[2:3], v[0:1]
	s_movk_i32 s0, 0xffe0
	v_ldexp_f64 v[10:11], v[2:3], s0
	v_floor_f64_e32 v[10:11], v[10:11]
	v_fmac_f64_e32 v[2:3], 0xc1f00000, v[10:11]
	v_cvt_u32_f64_e32 v13, v[10:11]
	v_cvt_u32_f64_e32 v12, v[2:3]
	global_store_dwordx2 v[4:5], v[12:13], off
	s_mov_b64 s[0:1], 0
	s_mov_b64 s[10:11], -1
.LBB54_1815:
	s_mov_b64 s[12:13], 0
.LBB54_1816:
	s_and_b64 vcc, exec, s[12:13]
	s_cbranch_vccz .LBB54_1832
; %bb.1817:
	v_mov_b32_e32 v2, 27
	v_cmp_lt_i16_sdwa s[12:13], s33, v2 src0_sel:BYTE_0 src1_sel:DWORD
	s_mov_b64 s[10:11], -1
	s_and_b64 vcc, exec, s[12:13]
	s_cbranch_vccnz .LBB54_1823
; %bb.1818:
	v_cmp_gt_i16_sdwa s[12:13], s33, v2 src0_sel:BYTE_0 src1_sel:DWORD
	s_and_b64 vcc, exec, s[12:13]
	v_cvt_u32_f64_e32 v2, v[0:1]
	s_cbranch_vccz .LBB54_1820
; %bb.1819:
	s_mov_b64 s[10:11], 0
	global_store_dword v[4:5], v2, off
.LBB54_1820:
	s_andn2_b64 vcc, exec, s[10:11]
	s_cbranch_vccnz .LBB54_1822
; %bb.1821:
	global_store_short v[4:5], v2, off
.LBB54_1822:
	s_mov_b64 s[10:11], 0
.LBB54_1823:
	s_andn2_b64 vcc, exec, s[10:11]
	s_cbranch_vccnz .LBB54_1831
; %bb.1824:
	v_cvt_f32_f64_e32 v2, v[0:1]
	v_and_b32_e32 v3, 0x7fffffff, v2
	s_mov_b32 s10, 0x43800000
	v_cmp_gt_u32_e32 vcc, s10, v3
	v_mov_b32_e32 v7, 0x80
	s_and_saveexec_b64 s[10:11], vcc
	s_cbranch_execz .LBB54_1830
; %bb.1825:
	s_mov_b32 s12, 0x3bffffff
	v_cmp_lt_u32_e32 vcc, s12, v3
	s_mov_b64 s[12:13], 0
                                        ; implicit-def: $vgpr3
	s_and_saveexec_b64 s[18:19], vcc
	s_xor_b64 s[18:19], exec, s[18:19]
	s_cbranch_execz .LBB54_2039
; %bb.1826:
	v_bfe_u32 v3, v2, 20, 1
	s_mov_b32 s21, 0x487ffff
	v_add3_u32 v3, v2, v3, s21
	s_mov_b64 s[12:13], exec
	v_lshrrev_b32_e32 v3, 20, v3
	s_or_saveexec_b64 s[18:19], s[18:19]
                                        ; implicit-def: $sgpr21
	s_xor_b64 exec, exec, s[18:19]
	s_cbranch_execnz .LBB54_2040
.LBB54_1827:
	s_or_b64 exec, exec, s[18:19]
	v_mov_b32_e32 v7, s21
	s_and_saveexec_b64 s[18:19], s[12:13]
.LBB54_1828:
	v_lshrrev_b32_e32 v2, 24, v2
	s_movk_i32 s12, 0x80
	v_and_or_b32 v7, v2, s12, v3
.LBB54_1829:
	s_or_b64 exec, exec, s[18:19]
.LBB54_1830:
	s_or_b64 exec, exec, s[10:11]
	global_store_byte v[4:5], v7, off
.LBB54_1831:
	s_mov_b64 s[10:11], -1
.LBB54_1832:
	s_mov_b64 s[12:13], 0
.LBB54_1833:
	s_and_b64 vcc, exec, s[12:13]
	s_cbranch_vccz .LBB54_1873
; %bb.1834:
	v_mov_b32_e32 v2, 22
	v_cmp_gt_i16_sdwa s[12:13], s33, v2 src0_sel:BYTE_0 src1_sel:DWORD
	s_mov_b64 s[4:5], -1
	s_and_b64 vcc, exec, s[12:13]
	s_cbranch_vccz .LBB54_1866
; %bb.1835:
	v_mov_b32_e32 v2, 24
	v_cmp_lt_i16_sdwa s[10:11], s33, v2 src0_sel:BYTE_0 src1_sel:DWORD
	s_and_b64 vcc, exec, s[10:11]
	s_cbranch_vccnz .LBB54_1855
; %bb.1836:
	v_cmp_gt_i16_sdwa s[10:11], s33, v2 src0_sel:BYTE_0 src1_sel:DWORD
	s_and_b64 vcc, exec, s[10:11]
	s_cbranch_vccz .LBB54_1844
; %bb.1837:
	v_cvt_f32_f64_e32 v2, v[0:1]
	v_and_b32_e32 v3, 0x7fffffff, v2
	s_mov_b32 s4, 0x47800000
	v_cmp_gt_u32_e32 vcc, s4, v3
	v_mov_b32_e32 v7, 0x80
	s_and_saveexec_b64 s[4:5], vcc
	s_cbranch_execz .LBB54_1843
; %bb.1838:
	s_mov_b32 s10, 0x37ffffff
	v_cmp_lt_u32_e32 vcc, s10, v3
	s_mov_b64 s[10:11], 0
                                        ; implicit-def: $vgpr3
	s_and_saveexec_b64 s[12:13], vcc
	s_xor_b64 s[12:13], exec, s[12:13]
	s_cbranch_execz .LBB54_2042
; %bb.1839:
	v_bfe_u32 v3, v2, 21, 1
	s_mov_b32 s18, 0x88fffff
	v_add3_u32 v3, v2, v3, s18
	s_mov_b64 s[10:11], exec
	v_lshrrev_b32_e32 v3, 21, v3
	s_or_saveexec_b64 s[12:13], s[12:13]
                                        ; implicit-def: $sgpr18
	s_xor_b64 exec, exec, s[12:13]
	s_cbranch_execnz .LBB54_2043
.LBB54_1840:
	s_or_b64 exec, exec, s[12:13]
	v_mov_b32_e32 v7, s18
	s_and_saveexec_b64 s[12:13], s[10:11]
.LBB54_1841:
	v_lshrrev_b32_e32 v2, 24, v2
	s_movk_i32 s10, 0x80
	v_and_or_b32 v7, v2, s10, v3
.LBB54_1842:
	s_or_b64 exec, exec, s[12:13]
.LBB54_1843:
	s_or_b64 exec, exec, s[4:5]
	s_mov_b64 s[4:5], 0
	global_store_byte v[4:5], v7, off
.LBB54_1844:
	s_and_b64 vcc, exec, s[4:5]
	s_cbranch_vccz .LBB54_1854
; %bb.1845:
	v_cvt_f32_f64_e32 v2, v[0:1]
	v_and_b32_e32 v7, 0x7fffffff, v2
	s_mov_b32 s4, 0x43f00000
	v_cmp_gt_u32_e32 vcc, s4, v7
                                        ; implicit-def: $vgpr3
	s_and_saveexec_b64 s[4:5], vcc
	s_xor_b64 s[4:5], exec, s[4:5]
	s_cbranch_execz .LBB54_1851
; %bb.1846:
	s_mov_b32 s10, 0x3c7fffff
	v_cmp_lt_u32_e32 vcc, s10, v7
                                        ; implicit-def: $vgpr3
	s_and_saveexec_b64 s[10:11], vcc
	s_xor_b64 s[10:11], exec, s[10:11]
; %bb.1847:
	v_bfe_u32 v3, v2, 20, 1
	s_mov_b32 s12, 0x407ffff
	v_add3_u32 v3, v2, v3, s12
	v_lshrrev_b32_e32 v7, 20, v3
	v_and_b32_e32 v3, 0xff00000, v3
	s_mov_b32 s12, 0x7f00000
	v_mov_b32_e32 v8, 0x7e
	v_cmp_ne_u32_e32 vcc, s12, v3
	v_cndmask_b32_e32 v3, v8, v7, vcc
; %bb.1848:
	s_andn2_saveexec_b64 s[10:11], s[10:11]
; %bb.1849:
	s_mov_b32 s12, 0x46800000
	v_add_f32_e64 v3, |v2|, s12
; %bb.1850:
	s_or_b64 exec, exec, s[10:11]
                                        ; implicit-def: $vgpr7
.LBB54_1851:
	s_andn2_saveexec_b64 s[4:5], s[4:5]
; %bb.1852:
	s_mov_b32 s10, 0x7f800000
	v_mov_b32_e32 v3, 0x7e
	v_mov_b32_e32 v8, 0x7f
	v_cmp_lt_u32_e32 vcc, s10, v7
	v_cndmask_b32_e32 v3, v3, v8, vcc
; %bb.1853:
	s_or_b64 exec, exec, s[4:5]
	v_lshrrev_b32_e32 v2, 24, v2
	s_movk_i32 s4, 0x80
	v_and_or_b32 v2, v2, s4, v3
	global_store_byte v[4:5], v2, off
.LBB54_1854:
	s_mov_b64 s[4:5], 0
.LBB54_1855:
	s_andn2_b64 vcc, exec, s[4:5]
	s_cbranch_vccnz .LBB54_1865
; %bb.1856:
	v_cvt_f32_f64_e32 v2, v[0:1]
	v_and_b32_e32 v7, 0x7fffffff, v2
	s_mov_b32 s4, 0x47800000
	v_cmp_gt_u32_e32 vcc, s4, v7
                                        ; implicit-def: $vgpr3
	s_and_saveexec_b64 s[4:5], vcc
	s_xor_b64 s[4:5], exec, s[4:5]
	s_cbranch_execz .LBB54_1862
; %bb.1857:
	s_mov_b32 s10, 0x387fffff
	v_cmp_lt_u32_e32 vcc, s10, v7
                                        ; implicit-def: $vgpr3
	s_and_saveexec_b64 s[10:11], vcc
	s_xor_b64 s[10:11], exec, s[10:11]
; %bb.1858:
	v_bfe_u32 v3, v2, 21, 1
	s_mov_b32 s12, 0x80fffff
	v_add3_u32 v3, v2, v3, s12
	v_lshrrev_b32_e32 v3, 21, v3
; %bb.1859:
	s_andn2_saveexec_b64 s[10:11], s[10:11]
; %bb.1860:
	s_mov_b32 s12, 0x43000000
	v_add_f32_e64 v3, |v2|, s12
; %bb.1861:
	s_or_b64 exec, exec, s[10:11]
                                        ; implicit-def: $vgpr7
.LBB54_1862:
	s_andn2_saveexec_b64 s[4:5], s[4:5]
; %bb.1863:
	s_mov_b32 s10, 0x7f800000
	v_mov_b32_e32 v3, 0x7c
	v_mov_b32_e32 v8, 0x7f
	v_cmp_lt_u32_e32 vcc, s10, v7
	v_cndmask_b32_e32 v3, v3, v8, vcc
; %bb.1864:
	s_or_b64 exec, exec, s[4:5]
	v_lshrrev_b32_e32 v2, 24, v2
	s_movk_i32 s4, 0x80
	v_and_or_b32 v2, v2, s4, v3
	global_store_byte v[4:5], v2, off
.LBB54_1865:
	s_mov_b64 s[4:5], 0
	s_mov_b64 s[10:11], -1
.LBB54_1866:
	s_andn2_b64 vcc, exec, s[4:5]
	s_mov_b64 s[4:5], 0
	s_cbranch_vccnz .LBB54_1873
; %bb.1867:
	v_mov_b32_e32 v2, 14
	v_cmp_gt_i16_sdwa s[4:5], s33, v2 src0_sel:BYTE_0 src1_sel:DWORD
	s_mov_b64 s[12:13], -1
	s_and_b64 vcc, exec, s[4:5]
	s_cbranch_vccz .LBB54_1871
; %bb.1868:
	v_mov_b32_e32 v2, 15
	v_cmp_eq_u16_sdwa s[4:5], s33, v2 src0_sel:BYTE_0 src1_sel:DWORD
	s_mov_b64 s[0:1], -1
	s_and_b64 vcc, exec, s[4:5]
	s_cbranch_vccz .LBB54_1870
; %bb.1869:
	v_cvt_f32_f64_e32 v2, v[0:1]
	v_bfe_u32 v3, v2, 16, 1
	s_movk_i32 s0, 0x7fff
	v_add3_u32 v3, v2, v3, s0
	v_lshrrev_b32_e32 v3, 16, v3
	v_mov_b32_e32 v7, 0x7fc0
	v_cmp_o_f32_e32 vcc, v2, v2
	v_cndmask_b32_e32 v2, v7, v3, vcc
	global_store_short v[4:5], v2, off
	s_mov_b64 s[0:1], 0
	s_mov_b64 s[10:11], -1
.LBB54_1870:
	s_mov_b64 s[12:13], 0
.LBB54_1871:
	s_mov_b64 s[4:5], 0
	s_and_b64 vcc, exec, s[12:13]
	s_cbranch_vccz .LBB54_1873
; %bb.1872:
	v_mov_b32_e32 v2, 11
	v_cmp_ne_u16_sdwa s[0:1], s33, v2 src0_sel:BYTE_0 src1_sel:DWORD
	s_mov_b64 s[4:5], -1
.LBB54_1873:
	s_and_b64 vcc, exec, s[0:1]
	s_cbranch_vccnz .LBB54_2041
; %bb.1874:
	s_andn2_b64 vcc, exec, s[4:5]
	s_cbranch_vccnz .LBB54_1876
.LBB54_1875:
	v_cmp_neq_f64_e32 vcc, 0, v[0:1]
	v_cndmask_b32_e64 v2, 0, 1, vcc
	s_mov_b64 s[10:11], -1
	global_store_byte v[4:5], v2, off
.LBB54_1876:
	s_mov_b64 s[0:1], 0
.LBB54_1877:
	s_and_b64 vcc, exec, s[0:1]
	s_cbranch_vccz .LBB54_1916
; %bb.1878:
	v_mov_b32_e32 v2, 5
	v_cmp_lt_i16_sdwa s[4:5], s33, v2 src0_sel:BYTE_0 src1_sel:DWORD
	s_mov_b64 s[0:1], -1
	s_and_b64 vcc, exec, s[4:5]
	s_cbranch_vccnz .LBB54_1899
; %bb.1879:
	v_mov_b32_e32 v2, 8
	v_cmp_lt_i16_sdwa s[4:5], s33, v2 src0_sel:BYTE_0 src1_sel:DWORD
	s_and_b64 vcc, exec, s[4:5]
	s_cbranch_vccnz .LBB54_1889
; %bb.1880:
	v_mov_b32_e32 v2, 9
	v_cmp_lt_i16_sdwa s[4:5], s33, v2 src0_sel:BYTE_0 src1_sel:DWORD
	s_and_b64 vcc, exec, s[4:5]
	s_cbranch_vccnz .LBB54_1886
; %bb.1881:
	v_cmp_gt_i16_sdwa s[4:5], s33, v2 src0_sel:BYTE_0 src1_sel:DWORD
	s_and_b64 vcc, exec, s[4:5]
	s_cbranch_vccz .LBB54_1883
; %bb.1882:
	v_mov_b32_e32 v2, 0
	v_mov_b32_e32 v3, v2
	global_store_dwordx4 v[4:5], v[0:3], off
	s_mov_b64 s[0:1], 0
.LBB54_1883:
	s_andn2_b64 vcc, exec, s[0:1]
	s_cbranch_vccnz .LBB54_1885
; %bb.1884:
	v_cvt_f32_f64_e32 v2, v[0:1]
	v_mov_b32_e32 v3, 0
	global_store_dwordx2 v[4:5], v[2:3], off
.LBB54_1885:
	s_mov_b64 s[0:1], 0
.LBB54_1886:
	s_andn2_b64 vcc, exec, s[0:1]
	s_cbranch_vccnz .LBB54_1888
; %bb.1887:
	v_cvt_f32_f64_e32 v2, v[0:1]
	v_cvt_f16_f32_e32 v2, v2
	global_store_dword v[4:5], v2, off
.LBB54_1888:
	s_mov_b64 s[0:1], 0
.LBB54_1889:
	s_andn2_b64 vcc, exec, s[0:1]
	s_cbranch_vccnz .LBB54_1898
; %bb.1890:
	v_mov_b32_e32 v2, 6
	v_cmp_lt_i16_sdwa s[4:5], s33, v2 src0_sel:BYTE_0 src1_sel:DWORD
	s_mov_b64 s[0:1], -1
	s_and_b64 vcc, exec, s[4:5]
	s_cbranch_vccnz .LBB54_1896
; %bb.1891:
	v_cmp_gt_i16_sdwa s[4:5], s33, v2 src0_sel:BYTE_0 src1_sel:DWORD
	s_and_b64 vcc, exec, s[4:5]
	s_cbranch_vccz .LBB54_1893
; %bb.1892:
	global_store_dwordx2 v[4:5], v[0:1], off
	s_mov_b64 s[0:1], 0
.LBB54_1893:
	s_andn2_b64 vcc, exec, s[0:1]
	s_cbranch_vccnz .LBB54_1895
; %bb.1894:
	v_cvt_f32_f64_e32 v2, v[0:1]
	global_store_dword v[4:5], v2, off
.LBB54_1895:
	s_mov_b64 s[0:1], 0
.LBB54_1896:
	s_andn2_b64 vcc, exec, s[0:1]
	s_cbranch_vccnz .LBB54_1898
; %bb.1897:
	v_cvt_f32_f64_e32 v2, v[0:1]
	v_cvt_f16_f32_e32 v2, v2
	global_store_short v[4:5], v2, off
.LBB54_1898:
	s_mov_b64 s[0:1], 0
.LBB54_1899:
	s_andn2_b64 vcc, exec, s[0:1]
	s_cbranch_vccnz .LBB54_1915
; %bb.1900:
	v_mov_b32_e32 v2, 2
	v_cmp_lt_i16_sdwa s[4:5], s33, v2 src0_sel:BYTE_0 src1_sel:DWORD
	s_mov_b64 s[0:1], -1
	s_and_b64 vcc, exec, s[4:5]
	s_cbranch_vccnz .LBB54_1910
; %bb.1901:
	v_mov_b32_e32 v2, 3
	v_cmp_lt_i16_sdwa s[4:5], s33, v2 src0_sel:BYTE_0 src1_sel:DWORD
	s_and_b64 vcc, exec, s[4:5]
	s_cbranch_vccnz .LBB54_1907
; %bb.1902:
	v_cmp_gt_i16_sdwa s[4:5], s33, v2 src0_sel:BYTE_0 src1_sel:DWORD
	s_and_b64 vcc, exec, s[4:5]
	s_cbranch_vccz .LBB54_1904
; %bb.1903:
	v_trunc_f64_e32 v[2:3], v[0:1]
	s_movk_i32 s0, 0xffe0
	v_ldexp_f64 v[10:11], v[2:3], s0
	v_floor_f64_e32 v[10:11], v[10:11]
	v_fmac_f64_e32 v[2:3], 0xc1f00000, v[10:11]
	v_cvt_i32_f64_e32 v13, v[10:11]
	v_cvt_u32_f64_e32 v12, v[2:3]
	global_store_dwordx2 v[4:5], v[12:13], off
	s_mov_b64 s[0:1], 0
.LBB54_1904:
	s_andn2_b64 vcc, exec, s[0:1]
	s_cbranch_vccnz .LBB54_1906
; %bb.1905:
	v_cvt_i32_f64_e32 v2, v[0:1]
	global_store_dword v[4:5], v2, off
.LBB54_1906:
	s_mov_b64 s[0:1], 0
.LBB54_1907:
	s_andn2_b64 vcc, exec, s[0:1]
	s_cbranch_vccnz .LBB54_1909
; %bb.1908:
	v_cvt_i32_f64_e32 v2, v[0:1]
	global_store_short v[4:5], v2, off
.LBB54_1909:
	s_mov_b64 s[0:1], 0
.LBB54_1910:
	s_andn2_b64 vcc, exec, s[0:1]
	s_cbranch_vccnz .LBB54_1915
; %bb.1911:
	v_mov_b32_e32 v2, 0
	v_cmp_gt_i16_sdwa s[4:5], s33, v2 src0_sel:BYTE_0 src1_sel:DWORD
	s_mov_b64 s[0:1], -1
	s_and_b64 vcc, exec, s[4:5]
	s_cbranch_vccz .LBB54_1913
; %bb.1912:
	v_cvt_i32_f64_e32 v2, v[0:1]
	global_store_byte v[4:5], v2, off
	s_mov_b64 s[0:1], 0
.LBB54_1913:
	s_andn2_b64 vcc, exec, s[0:1]
	s_cbranch_vccnz .LBB54_1915
; %bb.1914:
	v_trunc_f64_e32 v[0:1], v[0:1]
	s_movk_i32 s0, 0xffe0
	v_ldexp_f64 v[2:3], v[0:1], s0
	v_floor_f64_e32 v[2:3], v[2:3]
	v_fmac_f64_e32 v[0:1], 0xc1f00000, v[2:3]
	v_cvt_u32_f64_e32 v0, v[0:1]
	global_store_byte v[4:5], v0, off
.LBB54_1915:
	s_mov_b64 s[10:11], -1
.LBB54_1916:
	s_andn2_b64 vcc, exec, s[10:11]
	s_cbranch_vccnz .LBB54_1993
; %bb.1917:
	v_add_u32_e32 v2, s20, v6
	v_ashrrev_i32_e32 v3, 31, v2
	v_mov_b32_e32 v5, s9
	v_add_co_u32_e32 v4, vcc, s8, v2
	v_mov_b32_e32 v2, 0xff
	v_addc_co_u32_e32 v5, vcc, v5, v3, vcc
	v_and_b32_e32 v6, s33, v2
	s_brev_b32 s0, -2
	v_mov_b32_e32 v0, s3
	v_cmp_gt_i16_e32 vcc, 11, v6
	v_bfi_b32 v1, s0, v0, v9
	v_mov_b32_e32 v0, s2
	s_cbranch_vccnz .LBB54_2038
; %bb.1918:
	v_cmp_lt_i16_e32 vcc, 25, v6
	s_mov_b64 s[4:5], -1
	s_mov_b64 s[2:3], 0
	s_mov_b64 s[0:1], 0
	s_cbranch_vccz .LBB54_1951
; %bb.1919:
	v_cmp_lt_i16_e32 vcc, 28, v6
	s_cbranch_vccz .LBB54_1935
; %bb.1920:
	v_cmp_lt_i16_e32 vcc, 43, v6
	;; [unrolled: 3-line block ×3, first 2 shown]
	s_cbranch_vccz .LBB54_1925
; %bb.1922:
	v_cmp_eq_u16_e32 vcc, 46, v6
	s_mov_b64 s[0:1], -1
	s_cbranch_vccz .LBB54_1924
; %bb.1923:
	v_cvt_f32_f64_e32 v2, v[0:1]
	v_bfe_u32 v3, v2, 16, 1
	s_movk_i32 s0, 0x7fff
	v_add3_u32 v3, v2, v3, s0
	v_lshrrev_b32_e32 v3, 16, v3
	v_mov_b32_e32 v7, 0x7fc0
	v_cmp_o_f32_e32 vcc, v2, v2
	v_cndmask_b32_e32 v2, v7, v3, vcc
	global_store_dword v[4:5], v2, off
	s_mov_b64 s[0:1], 0
.LBB54_1924:
	s_mov_b64 s[4:5], 0
.LBB54_1925:
	s_and_b64 vcc, exec, s[4:5]
	s_cbranch_vccz .LBB54_1930
; %bb.1926:
	v_cmp_eq_u16_e32 vcc, 44, v6
	s_mov_b64 s[0:1], -1
	s_cbranch_vccz .LBB54_1930
; %bb.1927:
	v_cvt_f32_f64_e32 v2, v[0:1]
	v_bfe_u32 v3, v2, 23, 8
	s_movk_i32 s0, 0xff
	v_cmp_ne_u32_e32 vcc, s0, v3
	v_mov_b32_e32 v7, 0xff
	s_and_saveexec_b64 s[4:5], vcc
; %bb.1928:
	s_mov_b32 s0, 0x3fffff
	v_lshrrev_b32_e32 v7, 23, v2
	v_and_b32_e32 v8, 0x400000, v2
	v_and_or_b32 v2, v2, s0, v3
	v_cmp_ne_u32_e32 vcc, 0, v8
	v_cmp_ne_u32_e64 s[0:1], 0, v2
	s_and_b64 s[0:1], vcc, s[0:1]
	v_cndmask_b32_e64 v2, 0, 1, s[0:1]
	v_add_u32_e32 v7, v7, v2
; %bb.1929:
	s_or_b64 exec, exec, s[4:5]
	s_mov_b64 s[0:1], 0
	global_store_byte v[4:5], v7, off
.LBB54_1930:
	s_mov_b64 s[4:5], 0
.LBB54_1931:
	s_and_b64 vcc, exec, s[4:5]
	s_cbranch_vccz .LBB54_1934
; %bb.1932:
	v_cmp_eq_u16_e32 vcc, 29, v6
	s_mov_b64 s[0:1], -1
	s_cbranch_vccz .LBB54_1934
; %bb.1933:
	v_trunc_f64_e32 v[2:3], v[0:1]
	s_movk_i32 s0, 0xffe0
	v_ldexp_f64 v[8:9], v[2:3], s0
	v_floor_f64_e32 v[8:9], v[8:9]
	v_fmac_f64_e32 v[2:3], 0xc1f00000, v[8:9]
	v_cvt_u32_f64_e32 v11, v[8:9]
	v_cvt_u32_f64_e32 v10, v[2:3]
	global_store_dwordx2 v[4:5], v[10:11], off
	s_mov_b64 s[0:1], 0
.LBB54_1934:
	s_mov_b64 s[4:5], 0
.LBB54_1935:
	s_and_b64 vcc, exec, s[4:5]
	s_cbranch_vccz .LBB54_1950
; %bb.1936:
	v_cmp_gt_i16_e32 vcc, 27, v6
	s_mov_b64 s[4:5], -1
	s_cbranch_vccnz .LBB54_1942
; %bb.1937:
	v_cmp_lt_i16_e32 vcc, 27, v6
	v_cvt_u32_f64_e32 v2, v[0:1]
	s_cbranch_vccz .LBB54_1939
; %bb.1938:
	global_store_dword v[4:5], v2, off
	s_mov_b64 s[4:5], 0
.LBB54_1939:
	s_andn2_b64 vcc, exec, s[4:5]
	s_cbranch_vccnz .LBB54_1941
; %bb.1940:
	global_store_short v[4:5], v2, off
.LBB54_1941:
	s_mov_b64 s[4:5], 0
.LBB54_1942:
	s_andn2_b64 vcc, exec, s[4:5]
	s_cbranch_vccnz .LBB54_1950
; %bb.1943:
	v_cvt_f32_f64_e32 v2, v[0:1]
	v_and_b32_e32 v3, 0x7fffffff, v2
	s_mov_b32 s4, 0x43800000
	v_cmp_gt_u32_e32 vcc, s4, v3
	v_mov_b32_e32 v7, 0x80
	s_and_saveexec_b64 s[4:5], vcc
	s_cbranch_execz .LBB54_1949
; %bb.1944:
	s_mov_b32 s8, 0x3bffffff
	v_cmp_lt_u32_e32 vcc, s8, v3
	s_mov_b64 s[8:9], 0
                                        ; implicit-def: $vgpr3
	s_and_saveexec_b64 s[10:11], vcc
	s_xor_b64 s[10:11], exec, s[10:11]
	s_cbranch_execz .LBB54_2044
; %bb.1945:
	v_bfe_u32 v3, v2, 20, 1
	s_mov_b32 s12, 0x487ffff
	v_add3_u32 v3, v2, v3, s12
	s_mov_b64 s[8:9], exec
	v_lshrrev_b32_e32 v3, 20, v3
	s_or_saveexec_b64 s[10:11], s[10:11]
                                        ; implicit-def: $sgpr12
	s_xor_b64 exec, exec, s[10:11]
	s_cbranch_execnz .LBB54_2045
.LBB54_1946:
	s_or_b64 exec, exec, s[10:11]
	v_mov_b32_e32 v7, s12
	s_and_saveexec_b64 s[10:11], s[8:9]
.LBB54_1947:
	v_lshrrev_b32_e32 v2, 24, v2
	s_movk_i32 s8, 0x80
	v_and_or_b32 v7, v2, s8, v3
.LBB54_1948:
	s_or_b64 exec, exec, s[10:11]
.LBB54_1949:
	s_or_b64 exec, exec, s[4:5]
	global_store_byte v[4:5], v7, off
.LBB54_1950:
	s_mov_b64 s[4:5], 0
.LBB54_1951:
	s_and_b64 vcc, exec, s[4:5]
	s_cbranch_vccz .LBB54_1991
; %bb.1952:
	v_cmp_lt_i16_e32 vcc, 22, v6
	s_mov_b64 s[2:3], -1
	s_cbranch_vccz .LBB54_1984
; %bb.1953:
	v_cmp_gt_i16_e32 vcc, 24, v6
	s_cbranch_vccnz .LBB54_1973
; %bb.1954:
	v_cmp_lt_i16_e32 vcc, 24, v6
	s_cbranch_vccz .LBB54_1962
; %bb.1955:
	v_cvt_f32_f64_e32 v2, v[0:1]
	v_and_b32_e32 v3, 0x7fffffff, v2
	s_mov_b32 s2, 0x47800000
	v_cmp_gt_u32_e32 vcc, s2, v3
	v_mov_b32_e32 v7, 0x80
	s_and_saveexec_b64 s[2:3], vcc
	s_cbranch_execz .LBB54_1961
; %bb.1956:
	s_mov_b32 s4, 0x37ffffff
	v_cmp_lt_u32_e32 vcc, s4, v3
	s_mov_b64 s[4:5], 0
                                        ; implicit-def: $vgpr3
	s_and_saveexec_b64 s[8:9], vcc
	s_xor_b64 s[8:9], exec, s[8:9]
	s_cbranch_execz .LBB54_2047
; %bb.1957:
	v_bfe_u32 v3, v2, 21, 1
	s_mov_b32 s10, 0x88fffff
	v_add3_u32 v3, v2, v3, s10
	s_mov_b64 s[4:5], exec
	v_lshrrev_b32_e32 v3, 21, v3
	s_or_saveexec_b64 s[8:9], s[8:9]
                                        ; implicit-def: $sgpr10
	s_xor_b64 exec, exec, s[8:9]
	s_cbranch_execnz .LBB54_2048
.LBB54_1958:
	s_or_b64 exec, exec, s[8:9]
	v_mov_b32_e32 v7, s10
	s_and_saveexec_b64 s[8:9], s[4:5]
.LBB54_1959:
	v_lshrrev_b32_e32 v2, 24, v2
	s_movk_i32 s4, 0x80
	v_and_or_b32 v7, v2, s4, v3
.LBB54_1960:
	s_or_b64 exec, exec, s[8:9]
.LBB54_1961:
	s_or_b64 exec, exec, s[2:3]
	s_mov_b64 s[2:3], 0
	global_store_byte v[4:5], v7, off
.LBB54_1962:
	s_and_b64 vcc, exec, s[2:3]
	s_cbranch_vccz .LBB54_1972
; %bb.1963:
	v_cvt_f32_f64_e32 v2, v[0:1]
	v_and_b32_e32 v7, 0x7fffffff, v2
	s_mov_b32 s2, 0x43f00000
	v_cmp_gt_u32_e32 vcc, s2, v7
                                        ; implicit-def: $vgpr3
	s_and_saveexec_b64 s[2:3], vcc
	s_xor_b64 s[2:3], exec, s[2:3]
	s_cbranch_execz .LBB54_1969
; %bb.1964:
	s_mov_b32 s4, 0x3c7fffff
	v_cmp_lt_u32_e32 vcc, s4, v7
                                        ; implicit-def: $vgpr3
	s_and_saveexec_b64 s[4:5], vcc
	s_xor_b64 s[4:5], exec, s[4:5]
; %bb.1965:
	v_bfe_u32 v3, v2, 20, 1
	s_mov_b32 s8, 0x407ffff
	v_add3_u32 v3, v2, v3, s8
	v_lshrrev_b32_e32 v7, 20, v3
	v_and_b32_e32 v3, 0xff00000, v3
	s_mov_b32 s8, 0x7f00000
	v_mov_b32_e32 v8, 0x7e
	v_cmp_ne_u32_e32 vcc, s8, v3
	v_cndmask_b32_e32 v3, v8, v7, vcc
; %bb.1966:
	s_andn2_saveexec_b64 s[4:5], s[4:5]
; %bb.1967:
	s_mov_b32 s8, 0x46800000
	v_add_f32_e64 v3, |v2|, s8
; %bb.1968:
	s_or_b64 exec, exec, s[4:5]
                                        ; implicit-def: $vgpr7
.LBB54_1969:
	s_andn2_saveexec_b64 s[2:3], s[2:3]
; %bb.1970:
	s_mov_b32 s4, 0x7f800000
	v_mov_b32_e32 v3, 0x7e
	v_mov_b32_e32 v8, 0x7f
	v_cmp_lt_u32_e32 vcc, s4, v7
	v_cndmask_b32_e32 v3, v3, v8, vcc
; %bb.1971:
	s_or_b64 exec, exec, s[2:3]
	v_lshrrev_b32_e32 v2, 24, v2
	s_movk_i32 s2, 0x80
	v_and_or_b32 v2, v2, s2, v3
	global_store_byte v[4:5], v2, off
.LBB54_1972:
	s_mov_b64 s[2:3], 0
.LBB54_1973:
	s_andn2_b64 vcc, exec, s[2:3]
	s_cbranch_vccnz .LBB54_1983
; %bb.1974:
	v_cvt_f32_f64_e32 v2, v[0:1]
	v_and_b32_e32 v7, 0x7fffffff, v2
	s_mov_b32 s2, 0x47800000
	v_cmp_gt_u32_e32 vcc, s2, v7
                                        ; implicit-def: $vgpr3
	s_and_saveexec_b64 s[2:3], vcc
	s_xor_b64 s[2:3], exec, s[2:3]
	s_cbranch_execz .LBB54_1980
; %bb.1975:
	s_mov_b32 s4, 0x387fffff
	v_cmp_lt_u32_e32 vcc, s4, v7
                                        ; implicit-def: $vgpr3
	s_and_saveexec_b64 s[4:5], vcc
	s_xor_b64 s[4:5], exec, s[4:5]
; %bb.1976:
	v_bfe_u32 v3, v2, 21, 1
	s_mov_b32 s8, 0x80fffff
	v_add3_u32 v3, v2, v3, s8
	v_lshrrev_b32_e32 v3, 21, v3
; %bb.1977:
	s_andn2_saveexec_b64 s[4:5], s[4:5]
; %bb.1978:
	s_mov_b32 s8, 0x43000000
	v_add_f32_e64 v3, |v2|, s8
; %bb.1979:
	s_or_b64 exec, exec, s[4:5]
                                        ; implicit-def: $vgpr7
.LBB54_1980:
	s_andn2_saveexec_b64 s[2:3], s[2:3]
; %bb.1981:
	s_mov_b32 s4, 0x7f800000
	v_mov_b32_e32 v3, 0x7c
	v_mov_b32_e32 v8, 0x7f
	v_cmp_lt_u32_e32 vcc, s4, v7
	v_cndmask_b32_e32 v3, v3, v8, vcc
; %bb.1982:
	s_or_b64 exec, exec, s[2:3]
	v_lshrrev_b32_e32 v2, 24, v2
	s_movk_i32 s2, 0x80
	v_and_or_b32 v2, v2, s2, v3
	global_store_byte v[4:5], v2, off
.LBB54_1983:
	s_mov_b64 s[2:3], 0
.LBB54_1984:
	s_andn2_b64 vcc, exec, s[2:3]
	s_mov_b64 s[2:3], 0
	s_cbranch_vccnz .LBB54_1991
; %bb.1985:
	v_cmp_lt_i16_e32 vcc, 14, v6
	s_mov_b64 s[4:5], -1
	s_cbranch_vccz .LBB54_1989
; %bb.1986:
	v_cmp_eq_u16_e32 vcc, 15, v6
	s_mov_b64 s[0:1], -1
	s_cbranch_vccz .LBB54_1988
; %bb.1987:
	v_cvt_f32_f64_e32 v2, v[0:1]
	v_bfe_u32 v3, v2, 16, 1
	s_movk_i32 s0, 0x7fff
	v_add3_u32 v3, v2, v3, s0
	v_lshrrev_b32_e32 v3, 16, v3
	v_mov_b32_e32 v7, 0x7fc0
	v_cmp_o_f32_e32 vcc, v2, v2
	v_cndmask_b32_e32 v2, v7, v3, vcc
	global_store_short v[4:5], v2, off
	s_mov_b64 s[0:1], 0
.LBB54_1988:
	s_mov_b64 s[4:5], 0
.LBB54_1989:
	s_and_b64 vcc, exec, s[4:5]
	s_cbranch_vccz .LBB54_1991
; %bb.1990:
	v_cmp_ne_u16_e64 s[0:1], 11, v6
	s_mov_b64 s[2:3], -1
.LBB54_1991:
	s_and_b64 vcc, exec, s[0:1]
	s_cbranch_vccnz .LBB54_2046
.LBB54_1992:
	s_mov_b64 s[0:1], 0
	s_branch .LBB54_1994
.LBB54_1993:
	s_mov_b64 s[0:1], 0
	s_mov_b64 s[2:3], 0
                                        ; implicit-def: $vgpr6
                                        ; implicit-def: $vgpr4_vgpr5
                                        ; implicit-def: $vgpr0_vgpr1
.LBB54_1994:
	s_and_b64 s[4:5], s[2:3], exec
	s_andn2_b64 s[2:3], s[14:15], exec
	s_and_b64 s[8:9], s[16:17], exec
	s_and_b64 s[0:1], s[0:1], exec
	s_or_b64 s[14:15], s[2:3], s[8:9]
.LBB54_1995:
	s_or_b64 exec, exec, s[6:7]
	s_and_saveexec_b64 s[2:3], s[14:15]
	s_cbranch_execz .LBB54_1998
; %bb.1996:
	; divergent unreachable
	s_or_b64 exec, exec, s[2:3]
	s_and_saveexec_b64 s[2:3], s[4:5]
	s_xor_b64 s[2:3], exec, s[2:3]
	s_cbranch_execnz .LBB54_1999
.LBB54_1997:
	s_or_b64 exec, exec, s[2:3]
	s_and_saveexec_b64 s[2:3], s[0:1]
	s_cbranch_execnz .LBB54_2000
	s_branch .LBB54_2037
.LBB54_1998:
	s_or_b64 exec, exec, s[2:3]
	s_and_saveexec_b64 s[2:3], s[4:5]
	s_xor_b64 s[2:3], exec, s[2:3]
	s_cbranch_execz .LBB54_1997
.LBB54_1999:
	s_waitcnt vmcnt(0)
	v_cmp_neq_f64_e32 vcc, 0, v[0:1]
	v_cndmask_b32_e64 v2, 0, 1, vcc
	global_store_byte v[4:5], v2, off
	s_or_b64 exec, exec, s[2:3]
	s_and_saveexec_b64 s[2:3], s[0:1]
	s_cbranch_execz .LBB54_2037
.LBB54_2000:
	s_waitcnt vmcnt(0)
	v_cmp_gt_i16_e32 vcc, 5, v6
	s_mov_b64 s[0:1], -1
	s_cbranch_vccnz .LBB54_2021
; %bb.2001:
	v_cmp_gt_i16_e32 vcc, 8, v6
	s_cbranch_vccnz .LBB54_2011
; %bb.2002:
	v_cmp_gt_i16_e32 vcc, 9, v6
	s_cbranch_vccnz .LBB54_2008
; %bb.2003:
	v_cmp_lt_i16_e32 vcc, 9, v6
	s_cbranch_vccz .LBB54_2005
; %bb.2004:
	v_mov_b32_e32 v2, 0
	v_mov_b32_e32 v3, v2
	global_store_dwordx4 v[4:5], v[0:3], off
	s_mov_b64 s[0:1], 0
.LBB54_2005:
	s_andn2_b64 vcc, exec, s[0:1]
	s_cbranch_vccnz .LBB54_2007
; %bb.2006:
	v_cvt_f32_f64_e32 v2, v[0:1]
	v_mov_b32_e32 v3, 0
	global_store_dwordx2 v[4:5], v[2:3], off
.LBB54_2007:
	s_mov_b64 s[0:1], 0
.LBB54_2008:
	s_andn2_b64 vcc, exec, s[0:1]
	s_cbranch_vccnz .LBB54_2010
; %bb.2009:
	v_cvt_f32_f64_e32 v2, v[0:1]
	v_cvt_f16_f32_e32 v2, v2
	global_store_dword v[4:5], v2, off
.LBB54_2010:
	s_mov_b64 s[0:1], 0
.LBB54_2011:
	s_andn2_b64 vcc, exec, s[0:1]
	s_cbranch_vccnz .LBB54_2020
; %bb.2012:
	v_cmp_gt_i16_e32 vcc, 6, v6
	s_mov_b64 s[0:1], -1
	s_cbranch_vccnz .LBB54_2018
; %bb.2013:
	v_cmp_lt_i16_e32 vcc, 6, v6
	s_cbranch_vccz .LBB54_2015
; %bb.2014:
	global_store_dwordx2 v[4:5], v[0:1], off
	s_mov_b64 s[0:1], 0
.LBB54_2015:
	s_andn2_b64 vcc, exec, s[0:1]
	s_cbranch_vccnz .LBB54_2017
; %bb.2016:
	v_cvt_f32_f64_e32 v2, v[0:1]
	global_store_dword v[4:5], v2, off
.LBB54_2017:
	s_mov_b64 s[0:1], 0
.LBB54_2018:
	s_andn2_b64 vcc, exec, s[0:1]
	s_cbranch_vccnz .LBB54_2020
; %bb.2019:
	v_cvt_f32_f64_e32 v2, v[0:1]
	v_cvt_f16_f32_e32 v2, v2
	global_store_short v[4:5], v2, off
.LBB54_2020:
	s_mov_b64 s[0:1], 0
.LBB54_2021:
	s_andn2_b64 vcc, exec, s[0:1]
	s_cbranch_vccnz .LBB54_2037
; %bb.2022:
	v_cmp_gt_i16_e32 vcc, 2, v6
	s_mov_b64 s[0:1], -1
	s_cbranch_vccnz .LBB54_2032
; %bb.2023:
	v_cmp_gt_i16_e32 vcc, 3, v6
	s_cbranch_vccnz .LBB54_2029
; %bb.2024:
	v_cmp_lt_i16_e32 vcc, 3, v6
	s_cbranch_vccz .LBB54_2026
; %bb.2025:
	v_trunc_f64_e32 v[2:3], v[0:1]
	s_movk_i32 s0, 0xffe0
	v_ldexp_f64 v[8:9], v[2:3], s0
	v_floor_f64_e32 v[8:9], v[8:9]
	v_fmac_f64_e32 v[2:3], 0xc1f00000, v[8:9]
	v_cvt_i32_f64_e32 v11, v[8:9]
	v_cvt_u32_f64_e32 v10, v[2:3]
	global_store_dwordx2 v[4:5], v[10:11], off
	s_mov_b64 s[0:1], 0
.LBB54_2026:
	s_andn2_b64 vcc, exec, s[0:1]
	s_cbranch_vccnz .LBB54_2028
; %bb.2027:
	v_cvt_i32_f64_e32 v2, v[0:1]
	global_store_dword v[4:5], v2, off
.LBB54_2028:
	s_mov_b64 s[0:1], 0
.LBB54_2029:
	s_andn2_b64 vcc, exec, s[0:1]
	s_cbranch_vccnz .LBB54_2031
; %bb.2030:
	v_cvt_i32_f64_e32 v2, v[0:1]
	global_store_short v[4:5], v2, off
.LBB54_2031:
	s_mov_b64 s[0:1], 0
.LBB54_2032:
	s_andn2_b64 vcc, exec, s[0:1]
	s_cbranch_vccnz .LBB54_2037
; %bb.2033:
	v_cmp_lt_i16_e32 vcc, 0, v6
	s_mov_b64 s[0:1], -1
	s_cbranch_vccz .LBB54_2035
; %bb.2034:
	v_cvt_i32_f64_e32 v2, v[0:1]
	global_store_byte v[4:5], v2, off
	s_mov_b64 s[0:1], 0
.LBB54_2035:
	s_andn2_b64 vcc, exec, s[0:1]
	s_cbranch_vccnz .LBB54_2037
; %bb.2036:
	v_trunc_f64_e32 v[0:1], v[0:1]
	s_movk_i32 s0, 0xffe0
	v_ldexp_f64 v[2:3], v[0:1], s0
	v_floor_f64_e32 v[2:3], v[2:3]
	v_fmac_f64_e32 v[0:1], 0xc1f00000, v[2:3]
	v_cvt_u32_f64_e32 v0, v[0:1]
	global_store_byte v[4:5], v0, off
	s_endpgm
.LBB54_2037:
	s_endpgm
.LBB54_2038:
	s_mov_b64 s[2:3], 0
	s_mov_b64 s[0:1], -1
	s_branch .LBB54_1994
.LBB54_2039:
	s_or_saveexec_b64 s[18:19], s[18:19]
                                        ; implicit-def: $sgpr21
	s_xor_b64 exec, exec, s[18:19]
	s_cbranch_execz .LBB54_1827
.LBB54_2040:
	s_mov_b32 s21, 0x46000000
	v_add_f32_e64 v3, |v2|, s21
	v_and_b32_e32 v3, 0xff, v3
	v_cmp_ne_u32_e32 vcc, 0, v3
	s_andn2_b64 s[12:13], s[12:13], exec
	s_and_b64 s[22:23], vcc, exec
	s_mov_b32 s21, 0
	s_or_b64 s[12:13], s[12:13], s[22:23]
	s_or_b64 exec, exec, s[18:19]
	v_mov_b32_e32 v7, s21
	s_and_saveexec_b64 s[18:19], s[12:13]
	s_cbranch_execnz .LBB54_1828
	s_branch .LBB54_1829
.LBB54_2041:
	s_trap 2
	s_or_b64 s[16:17], s[16:17], exec
	s_cbranch_execz .LBB54_1875
	s_branch .LBB54_1876
.LBB54_2042:
	s_or_saveexec_b64 s[12:13], s[12:13]
                                        ; implicit-def: $sgpr18
	s_xor_b64 exec, exec, s[12:13]
	s_cbranch_execz .LBB54_1840
.LBB54_2043:
	s_mov_b32 s18, 0x42800000
	v_add_f32_e64 v3, |v2|, s18
	v_and_b32_e32 v3, 0xff, v3
	v_cmp_ne_u32_e32 vcc, 0, v3
	s_andn2_b64 s[10:11], s[10:11], exec
	s_and_b64 s[22:23], vcc, exec
	s_mov_b32 s18, 0
	s_or_b64 s[10:11], s[10:11], s[22:23]
	s_or_b64 exec, exec, s[12:13]
	v_mov_b32_e32 v7, s18
	s_and_saveexec_b64 s[12:13], s[10:11]
	s_cbranch_execnz .LBB54_1841
	s_branch .LBB54_1842
.LBB54_2044:
	s_or_saveexec_b64 s[10:11], s[10:11]
                                        ; implicit-def: $sgpr12
	s_xor_b64 exec, exec, s[10:11]
	s_cbranch_execz .LBB54_1946
.LBB54_2045:
	s_mov_b32 s12, 0x46000000
	v_add_f32_e64 v3, |v2|, s12
	v_and_b32_e32 v3, 0xff, v3
	v_cmp_ne_u32_e32 vcc, 0, v3
	s_andn2_b64 s[8:9], s[8:9], exec
	s_and_b64 s[18:19], vcc, exec
	s_mov_b32 s12, 0
	s_or_b64 s[8:9], s[8:9], s[18:19]
	s_or_b64 exec, exec, s[10:11]
	v_mov_b32_e32 v7, s12
	s_and_saveexec_b64 s[10:11], s[8:9]
	s_cbranch_execnz .LBB54_1947
	s_branch .LBB54_1948
.LBB54_2046:
	s_mov_b64 s[2:3], 0
	s_or_b64 s[16:17], s[16:17], exec
	s_trap 2
	s_branch .LBB54_1992
.LBB54_2047:
	s_or_saveexec_b64 s[8:9], s[8:9]
                                        ; implicit-def: $sgpr10
	s_xor_b64 exec, exec, s[8:9]
	s_cbranch_execz .LBB54_1958
.LBB54_2048:
	s_mov_b32 s10, 0x42800000
	v_add_f32_e64 v3, |v2|, s10
	v_and_b32_e32 v3, 0xff, v3
	v_cmp_ne_u32_e32 vcc, 0, v3
	s_andn2_b64 s[4:5], s[4:5], exec
	s_and_b64 s[12:13], vcc, exec
	s_mov_b32 s10, 0
	s_or_b64 s[4:5], s[4:5], s[12:13]
	s_or_b64 exec, exec, s[8:9]
	v_mov_b32_e32 v7, s10
	s_and_saveexec_b64 s[8:9], s[4:5]
	s_cbranch_execnz .LBB54_1959
	s_branch .LBB54_1960
	.section	.rodata,"a",@progbits
	.p2align	6, 0x0
	.amdhsa_kernel _ZN2at6native32elementwise_kernel_manual_unrollILi128ELi4EZNS0_15gpu_kernel_implINS0_13AUnaryFunctorIdddZZZNS0_20copysign_kernel_cudaERNS_18TensorIteratorBaseEENKUlvE_clEvENKUlvE_clEvEUlddE_EEEEvS5_RKT_EUlibE_EEviT1_
		.amdhsa_group_segment_fixed_size 0
		.amdhsa_private_segment_fixed_size 0
		.amdhsa_kernarg_size 56
		.amdhsa_user_sgpr_count 6
		.amdhsa_user_sgpr_private_segment_buffer 1
		.amdhsa_user_sgpr_dispatch_ptr 0
		.amdhsa_user_sgpr_queue_ptr 0
		.amdhsa_user_sgpr_kernarg_segment_ptr 1
		.amdhsa_user_sgpr_dispatch_id 0
		.amdhsa_user_sgpr_flat_scratch_init 0
		.amdhsa_user_sgpr_kernarg_preload_length 0
		.amdhsa_user_sgpr_kernarg_preload_offset 0
		.amdhsa_user_sgpr_private_segment_size 0
		.amdhsa_uses_dynamic_stack 0
		.amdhsa_system_sgpr_private_segment_wavefront_offset 0
		.amdhsa_system_sgpr_workgroup_id_x 1
		.amdhsa_system_sgpr_workgroup_id_y 0
		.amdhsa_system_sgpr_workgroup_id_z 0
		.amdhsa_system_sgpr_workgroup_info 0
		.amdhsa_system_vgpr_workitem_id 0
		.amdhsa_next_free_vgpr 16
		.amdhsa_next_free_sgpr 46
		.amdhsa_accum_offset 16
		.amdhsa_reserve_vcc 1
		.amdhsa_reserve_flat_scratch 0
		.amdhsa_float_round_mode_32 0
		.amdhsa_float_round_mode_16_64 0
		.amdhsa_float_denorm_mode_32 3
		.amdhsa_float_denorm_mode_16_64 3
		.amdhsa_dx10_clamp 1
		.amdhsa_ieee_mode 1
		.amdhsa_fp16_overflow 0
		.amdhsa_tg_split 0
		.amdhsa_exception_fp_ieee_invalid_op 0
		.amdhsa_exception_fp_denorm_src 0
		.amdhsa_exception_fp_ieee_div_zero 0
		.amdhsa_exception_fp_ieee_overflow 0
		.amdhsa_exception_fp_ieee_underflow 0
		.amdhsa_exception_fp_ieee_inexact 0
		.amdhsa_exception_int_div_zero 0
	.end_amdhsa_kernel
	.section	.text._ZN2at6native32elementwise_kernel_manual_unrollILi128ELi4EZNS0_15gpu_kernel_implINS0_13AUnaryFunctorIdddZZZNS0_20copysign_kernel_cudaERNS_18TensorIteratorBaseEENKUlvE_clEvENKUlvE_clEvEUlddE_EEEEvS5_RKT_EUlibE_EEviT1_,"axG",@progbits,_ZN2at6native32elementwise_kernel_manual_unrollILi128ELi4EZNS0_15gpu_kernel_implINS0_13AUnaryFunctorIdddZZZNS0_20copysign_kernel_cudaERNS_18TensorIteratorBaseEENKUlvE_clEvENKUlvE_clEvEUlddE_EEEEvS5_RKT_EUlibE_EEviT1_,comdat
.Lfunc_end54:
	.size	_ZN2at6native32elementwise_kernel_manual_unrollILi128ELi4EZNS0_15gpu_kernel_implINS0_13AUnaryFunctorIdddZZZNS0_20copysign_kernel_cudaERNS_18TensorIteratorBaseEENKUlvE_clEvENKUlvE_clEvEUlddE_EEEEvS5_RKT_EUlibE_EEviT1_, .Lfunc_end54-_ZN2at6native32elementwise_kernel_manual_unrollILi128ELi4EZNS0_15gpu_kernel_implINS0_13AUnaryFunctorIdddZZZNS0_20copysign_kernel_cudaERNS_18TensorIteratorBaseEENKUlvE_clEvENKUlvE_clEvEUlddE_EEEEvS5_RKT_EUlibE_EEviT1_
                                        ; -- End function
	.section	.AMDGPU.csdata,"",@progbits
; Kernel info:
; codeLenInByte = 34140
; NumSgprs: 50
; NumVgprs: 16
; NumAgprs: 0
; TotalNumVgprs: 16
; ScratchSize: 0
; MemoryBound: 1
; FloatMode: 240
; IeeeMode: 1
; LDSByteSize: 0 bytes/workgroup (compile time only)
; SGPRBlocks: 6
; VGPRBlocks: 1
; NumSGPRsForWavesPerEU: 50
; NumVGPRsForWavesPerEU: 16
; AccumOffset: 16
; Occupancy: 8
; WaveLimiterHint : 0
; COMPUTE_PGM_RSRC2:SCRATCH_EN: 0
; COMPUTE_PGM_RSRC2:USER_SGPR: 6
; COMPUTE_PGM_RSRC2:TRAP_HANDLER: 0
; COMPUTE_PGM_RSRC2:TGID_X_EN: 1
; COMPUTE_PGM_RSRC2:TGID_Y_EN: 0
; COMPUTE_PGM_RSRC2:TGID_Z_EN: 0
; COMPUTE_PGM_RSRC2:TIDIG_COMP_CNT: 0
; COMPUTE_PGM_RSRC3_GFX90A:ACCUM_OFFSET: 3
; COMPUTE_PGM_RSRC3_GFX90A:TG_SPLIT: 0
	.section	.text._ZN2at6native32elementwise_kernel_manual_unrollILi128ELi4EZNS0_15gpu_kernel_implINS0_13AUnaryFunctorIdddZZZNS0_20copysign_kernel_cudaERNS_18TensorIteratorBaseEENKUlvE_clEvENKUlvE_clEvEUlddE_EEEEvS5_RKT_EUlibE0_EEviT1_,"axG",@progbits,_ZN2at6native32elementwise_kernel_manual_unrollILi128ELi4EZNS0_15gpu_kernel_implINS0_13AUnaryFunctorIdddZZZNS0_20copysign_kernel_cudaERNS_18TensorIteratorBaseEENKUlvE_clEvENKUlvE_clEvEUlddE_EEEEvS5_RKT_EUlibE0_EEviT1_,comdat
	.globl	_ZN2at6native32elementwise_kernel_manual_unrollILi128ELi4EZNS0_15gpu_kernel_implINS0_13AUnaryFunctorIdddZZZNS0_20copysign_kernel_cudaERNS_18TensorIteratorBaseEENKUlvE_clEvENKUlvE_clEvEUlddE_EEEEvS5_RKT_EUlibE0_EEviT1_ ; -- Begin function _ZN2at6native32elementwise_kernel_manual_unrollILi128ELi4EZNS0_15gpu_kernel_implINS0_13AUnaryFunctorIdddZZZNS0_20copysign_kernel_cudaERNS_18TensorIteratorBaseEENKUlvE_clEvENKUlvE_clEvEUlddE_EEEEvS5_RKT_EUlibE0_EEviT1_
	.p2align	8
	.type	_ZN2at6native32elementwise_kernel_manual_unrollILi128ELi4EZNS0_15gpu_kernel_implINS0_13AUnaryFunctorIdddZZZNS0_20copysign_kernel_cudaERNS_18TensorIteratorBaseEENKUlvE_clEvENKUlvE_clEvEUlddE_EEEEvS5_RKT_EUlibE0_EEviT1_,@function
_ZN2at6native32elementwise_kernel_manual_unrollILi128ELi4EZNS0_15gpu_kernel_implINS0_13AUnaryFunctorIdddZZZNS0_20copysign_kernel_cudaERNS_18TensorIteratorBaseEENKUlvE_clEvENKUlvE_clEvEUlddE_EEEEvS5_RKT_EUlibE0_EEviT1_: ; @_ZN2at6native32elementwise_kernel_manual_unrollILi128ELi4EZNS0_15gpu_kernel_implINS0_13AUnaryFunctorIdddZZZNS0_20copysign_kernel_cudaERNS_18TensorIteratorBaseEENKUlvE_clEvENKUlvE_clEvEUlddE_EEEEvS5_RKT_EUlibE0_EEviT1_
; %bb.0:
	s_load_dword s74, s[4:5], 0x0
	s_load_dword s33, s[4:5], 0x8
	s_or_b32 s34, s4, 8
	v_lshl_or_b32 v12, s6, 9, v0
	v_or_b32_e32 v15, 0x180, v12
	s_mov_b32 s35, s5
	s_waitcnt lgkmcnt(0)
	s_add_i32 s76, s33, -1
	s_cmp_gt_u32 s76, 1
	v_cmp_le_i32_e32 vcc, s74, v15
	s_cselect_b64 s[40:41], -1, 0
	s_mov_b64 s[6:7], 0
	s_mov_b64 s[28:29], 0
	s_and_saveexec_b64 s[0:1], vcc
	s_xor_b64 s[42:43], exec, s[0:1]
	s_cbranch_execz .LBB55_1090
; %bb.1:
	s_load_dwordx4 s[28:31], s[34:35], 0x4
	s_load_dwordx2 s[46:47], s[34:35], 0x14
	s_load_dwordx2 s[44:45], s[34:35], 0x160
	s_load_dword s77, s[34:35], 0x168
	s_cmp_lg_u32 s33, 0
	s_load_dwordx4 s[36:39], s[34:35], 0xc4
	s_load_dwordx4 s[24:27], s[34:35], 0x148
	s_cselect_b64 s[52:53], -1, 0
	s_add_u32 s50, s34, 0xc4
	s_addc_u32 s51, s35, 0
	s_min_u32 s75, s76, 15
	s_cmp_gt_u32 s33, 1
	s_cselect_b64 s[48:49], -1, 0
	s_waitcnt lgkmcnt(0)
	v_lshrrev_b16_e64 v8, 8, s77
	v_cmp_gt_i32_e32 vcc, s74, v12
	s_mov_b64 s[2:3], -1
	s_mov_b64 s[62:63], 0
	s_mov_b64 s[56:57], 0
	;; [unrolled: 1-line block ×3, first 2 shown]
	s_and_saveexec_b64 s[58:59], vcc
	s_cbranch_execz .LBB55_267
; %bb.2:
	s_andn2_b64 vcc, exec, s[40:41]
	s_cbranch_vccnz .LBB55_8
; %bb.3:
	s_mov_b32 s54, 0
	s_andn2_b64 vcc, exec, s[52:53]
	v_mov_b32_e32 v0, 0
	v_mov_b32_e32 v2, 0
	s_cbranch_vccnz .LBB55_14
; %bb.4:
	s_add_i32 s64, s75, 1
	s_cmp_eq_u32 s76, 2
	s_cbranch_scc1 .LBB55_9
; %bb.5:
	s_and_b32 s54, s64, 28
	s_mov_b32 s55, 0
	v_mov_b32_e32 v2, 0
	s_mov_b64 s[56:57], s[34:35]
	s_mov_b64 s[60:61], s[50:51]
	v_mov_b32_e32 v1, v12
	v_mov_b32_e32 v0, 0
.LBB55_6:                               ; =>This Inner Loop Header: Depth=1
	s_load_dwordx8 s[16:23], s[56:57], 0x4
	s_load_dwordx4 s[0:3], s[56:57], 0x24
	s_load_dwordx8 s[8:15], s[60:61], 0x0
	s_add_u32 s56, s56, 48
	s_addc_u32 s57, s57, 0
	s_waitcnt lgkmcnt(0)
	v_mul_hi_u32 v3, s17, v1
	v_add_u32_e32 v3, v1, v3
	v_lshrrev_b32_e32 v3, s18, v3
	v_mul_lo_u32 v4, v3, s16
	v_mul_hi_u32 v5, s20, v3
	v_sub_u32_e32 v1, v1, v4
	v_add_u32_e32 v4, v3, v5
	v_lshrrev_b32_e32 v4, s21, v4
	v_mul_lo_u32 v6, v4, s19
	v_mul_hi_u32 v7, s23, v4
	v_sub_u32_e32 v3, v3, v6
	v_add_u32_e32 v6, v4, v7
	v_mul_lo_u32 v5, v1, s9
	v_mul_lo_u32 v1, v1, s8
	;; [unrolled: 1-line block ×4, first 2 shown]
	v_lshrrev_b32_e32 v6, s0, v6
	v_add3_u32 v2, v1, v2, v3
	v_mul_lo_u32 v1, v6, s22
	v_mul_hi_u32 v3, s2, v6
	v_sub_u32_e32 v1, v4, v1
	v_add_u32_e32 v3, v6, v3
	v_add3_u32 v0, v5, v0, v7
	v_mul_lo_u32 v4, v1, s12
	v_mul_lo_u32 v5, v1, s13
	v_lshrrev_b32_e32 v1, s3, v3
	s_add_i32 s55, s55, 4
	v_mul_lo_u32 v3, v1, s1
	s_add_u32 s60, s60, 32
	v_sub_u32_e32 v3, v6, v3
	s_addc_u32 s61, s61, 0
	v_mul_lo_u32 v6, v3, s14
	v_mul_lo_u32 v3, v3, s15
	s_cmp_lg_u32 s54, s55
	v_add3_u32 v0, v5, v0, v3
	v_add3_u32 v2, v4, v2, v6
	s_cbranch_scc1 .LBB55_6
; %bb.7:
	v_mov_b32_e32 v3, v0
	s_branch .LBB55_10
.LBB55_8:
                                        ; implicit-def: $vgpr0
                                        ; implicit-def: $vgpr2
	s_branch .LBB55_15
.LBB55_9:
	s_mov_b32 s55, s54
	v_pk_mov_b32 v[2:3], s[54:55], s[54:55] op_sel:[0,1]
                                        ; implicit-def: $vgpr0
	v_mov_b32_e32 v1, v12
.LBB55_10:
	s_and_b32 s8, s64, 3
	s_cmp_eq_u32 s8, 0
	s_cbranch_scc1 .LBB55_14
; %bb.11:
	s_lshl_b32 s0, s54, 3
	s_add_u32 s0, s0, s34
	s_addc_u32 s1, s35, 0
	s_add_u32 s0, s0, 0xc4
	s_addc_u32 s1, s1, 0
	s_mul_i32 s2, s54, 12
	s_add_u32 s2, s34, s2
	s_addc_u32 s3, s35, 0
.LBB55_12:                              ; =>This Inner Loop Header: Depth=1
	s_load_dwordx2 s[10:11], s[2:3], 0x4
	s_load_dword s9, s[2:3], 0xc
	s_load_dwordx2 s[12:13], s[0:1], 0x0
	v_mov_b32_e32 v0, v3
	s_add_u32 s2, s2, 12
	s_waitcnt lgkmcnt(0)
	v_mul_hi_u32 v3, s11, v1
	v_add_u32_e32 v3, v1, v3
	v_lshrrev_b32_e32 v3, s9, v3
	s_addc_u32 s3, s3, 0
	v_mul_lo_u32 v4, v3, s10
	s_add_u32 s0, s0, 8
	v_sub_u32_e32 v6, v1, v4
	v_mov_b32_e32 v1, v3
	s_addc_u32 s1, s1, 0
	s_add_i32 s8, s8, -1
	v_mad_u64_u32 v[4:5], s[10:11], v6, s13, v[0:1]
	v_mad_u64_u32 v[2:3], s[10:11], v6, s12, v[2:3]
	s_cmp_lg_u32 s8, 0
	v_mov_b32_e32 v3, v4
	s_cbranch_scc1 .LBB55_12
; %bb.13:
	v_mov_b32_e32 v0, v3
.LBB55_14:
	s_cbranch_execnz .LBB55_17
.LBB55_15:
	v_mul_hi_u32 v0, s29, v12
	v_add_u32_e32 v0, v12, v0
	v_lshrrev_b32_e32 v1, s30, v0
	v_mul_lo_u32 v0, v1, s28
	v_sub_u32_e32 v2, v12, v0
	v_mul_lo_u32 v0, v2, s37
	s_andn2_b64 vcc, exec, s[48:49]
	v_mul_lo_u32 v2, v2, s36
	s_cbranch_vccnz .LBB55_17
; %bb.16:
	v_mul_hi_u32 v3, s46, v1
	v_add_u32_e32 v3, v1, v3
	v_lshrrev_b32_e32 v3, s47, v3
	v_mul_lo_u32 v3, v3, s31
	v_sub_u32_e32 v1, v1, v3
	v_mad_u64_u32 v[2:3], s[0:1], v1, s38, v[2:3]
	v_mad_u64_u32 v[0:1], s[0:1], v1, s39, v[0:1]
.LBB55_17:
	v_mov_b32_e32 v1, s27
	v_add_co_u32_e32 v0, vcc, s26, v0
	v_addc_co_u32_e32 v1, vcc, 0, v1, vcc
	v_cmp_gt_i16_e32 vcc, 11, v8
	s_cbranch_vccnz .LBB55_24
; %bb.18:
	v_cmp_lt_i16_e32 vcc, 25, v8
	s_cbranch_vccz .LBB55_33
; %bb.19:
	v_cmp_lt_i16_e32 vcc, 28, v8
	s_cbranch_vccz .LBB55_36
	;; [unrolled: 3-line block ×4, first 2 shown]
; %bb.22:
	v_cmp_eq_u16_e32 vcc, 46, v8
	s_mov_b64 s[8:9], 0
	s_cbranch_vccz .LBB55_42
; %bb.23:
	global_load_dword v3, v[0:1], off
	s_mov_b64 s[0:1], -1
	s_mov_b64 s[2:3], 0
	s_waitcnt vmcnt(0)
	v_lshlrev_b32_e32 v3, 16, v3
	v_cvt_f64_f32_e32 v[4:5], v3
	s_branch .LBB55_44
.LBB55_24:
	s_mov_b64 s[2:3], 0
                                        ; implicit-def: $vgpr4_vgpr5
	s_mov_b64 s[0:1], 0
	s_cbranch_execnz .LBB55_217
.LBB55_25:
	s_andn2_b64 vcc, exec, s[0:1]
	s_cbranch_vccnz .LBB55_264
.LBB55_26:
	s_brev_b32 s0, -2
	v_mov_b32_e32 v0, s45
	v_mov_b32_e32 v3, s25
	s_waitcnt vmcnt(0)
	v_add_co_u32_e32 v4, vcc, s24, v2
	v_mov_b32_e32 v2, 11
	v_bfi_b32 v1, s0, v0, v5
	v_addc_co_u32_e32 v5, vcc, 0, v3, vcc
	v_cmp_lt_i16_sdwa s[0:1], s77, v2 src0_sel:BYTE_0 src1_sel:DWORD
	v_mov_b32_e32 v0, s44
	s_and_b64 vcc, exec, s[0:1]
	s_cbranch_vccnz .LBB55_34
; %bb.27:
	v_mov_b32_e32 v2, 25
	v_cmp_gt_i16_sdwa s[0:1], s77, v2 src0_sel:BYTE_0 src1_sel:DWORD
	s_and_b64 vcc, exec, s[0:1]
	s_cbranch_vccz .LBB55_37
; %bb.28:
	v_mov_b32_e32 v2, 28
	v_cmp_gt_i16_sdwa s[0:1], s77, v2 src0_sel:BYTE_0 src1_sel:DWORD
	s_and_b64 vcc, exec, s[0:1]
	s_cbranch_vccz .LBB55_39
	;; [unrolled: 5-line block ×4, first 2 shown]
; %bb.31:
	v_mov_b32_e32 v2, 46
	v_cmp_eq_u16_sdwa s[8:9], s77, v2 src0_sel:BYTE_0 src1_sel:DWORD
	s_mov_b64 s[10:11], 0
	s_mov_b64 s[0:1], -1
	s_and_b64 vcc, exec, s[8:9]
	s_mov_b64 s[8:9], 0
	s_cbranch_vccz .LBB55_48
; %bb.32:
	v_cvt_f32_f64_e32 v2, v[0:1]
	v_bfe_u32 v3, v2, 16, 1
	s_movk_i32 s0, 0x7fff
	v_add3_u32 v3, v2, v3, s0
	v_lshrrev_b32_e32 v3, 16, v3
	v_mov_b32_e32 v6, 0x7fc0
	v_cmp_o_f32_e32 vcc, v2, v2
	v_cndmask_b32_e32 v2, v6, v3, vcc
	global_store_dword v[4:5], v2, off
	s_mov_b64 s[8:9], -1
	s_mov_b64 s[0:1], 0
	s_branch .LBB55_48
.LBB55_33:
	s_mov_b64 s[2:3], 0
	s_mov_b64 s[0:1], 0
                                        ; implicit-def: $vgpr4_vgpr5
	s_cbranch_execnz .LBB55_182
	s_branch .LBB55_216
.LBB55_34:
	s_mov_b64 s[0:1], 0
	s_mov_b64 s[8:9], 0
	s_cbranch_execnz .LBB55_117
.LBB55_35:
	s_andn2_b64 vcc, exec, s[8:9]
	s_cbranch_vccnz .LBB55_265
	s_branch .LBB55_155
.LBB55_36:
	s_mov_b64 s[8:9], -1
	s_mov_b64 s[2:3], 0
	s_mov_b64 s[0:1], 0
                                        ; implicit-def: $vgpr4_vgpr5
	s_branch .LBB55_163
.LBB55_37:
	s_mov_b64 s[10:11], -1
	s_mov_b64 s[0:1], 0
	s_mov_b64 s[8:9], 0
	s_branch .LBB55_75
.LBB55_38:
	s_mov_b64 s[8:9], -1
	s_mov_b64 s[2:3], 0
	s_mov_b64 s[0:1], 0
                                        ; implicit-def: $vgpr4_vgpr5
	s_branch .LBB55_158
.LBB55_39:
	s_mov_b64 s[10:11], -1
	s_mov_b64 s[0:1], 0
	s_mov_b64 s[8:9], 0
	s_branch .LBB55_58
.LBB55_40:
	s_mov_b64 s[8:9], -1
	s_mov_b64 s[2:3], 0
	s_branch .LBB55_43
.LBB55_41:
	s_mov_b64 s[10:11], -1
	s_mov_b64 s[0:1], 0
	s_mov_b64 s[8:9], 0
	s_branch .LBB55_54
.LBB55_42:
	s_mov_b64 s[2:3], -1
.LBB55_43:
	s_mov_b64 s[0:1], 0
                                        ; implicit-def: $vgpr4_vgpr5
.LBB55_44:
	s_and_b64 vcc, exec, s[8:9]
	s_cbranch_vccz .LBB55_157
; %bb.45:
	v_cmp_eq_u16_e32 vcc, 44, v8
	s_cbranch_vccz .LBB55_156
; %bb.46:
	global_load_ubyte v3, v[0:1], off
	s_movk_i32 s2, 0xff
	v_mov_b32_e32 v6, 0x7ff80000
	v_bfrev_b32_e32 v7, 28
	s_mov_b64 s[0:1], -1
	s_waitcnt vmcnt(0)
	v_lshlrev_b32_e32 v4, 23, v3
	v_cvt_f64_f32_e32 v[4:5], v4
	v_cmp_ne_u32_e32 vcc, s2, v3
	v_cndmask_b32_e32 v4, v6, v5, vcc
	v_cmp_ne_u32_e32 vcc, 0, v3
	v_cndmask_b32_e32 v5, v7, v4, vcc
	s_mov_b64 s[2:3], 0
	s_branch .LBB55_157
.LBB55_47:
	s_mov_b64 s[10:11], -1
	s_mov_b64 s[0:1], 0
	s_mov_b64 s[8:9], 0
.LBB55_48:
	s_and_b64 vcc, exec, s[10:11]
	s_cbranch_vccz .LBB55_53
; %bb.49:
	v_mov_b32_e32 v2, 44
	v_cmp_eq_u16_sdwa s[10:11], s77, v2 src0_sel:BYTE_0 src1_sel:DWORD
	s_mov_b64 s[0:1], -1
	s_and_b64 vcc, exec, s[10:11]
	s_cbranch_vccz .LBB55_53
; %bb.50:
	v_cvt_f32_f64_e32 v2, v[0:1]
	v_bfe_u32 v3, v2, 23, 8
	s_movk_i32 s0, 0xff
	v_cmp_ne_u32_e32 vcc, s0, v3
	v_mov_b32_e32 v6, 0xff
	s_and_saveexec_b64 s[8:9], vcc
; %bb.51:
	s_mov_b32 s0, 0x3fffff
	v_lshrrev_b32_e32 v6, 23, v2
	v_and_b32_e32 v7, 0x400000, v2
	v_and_or_b32 v2, v2, s0, v3
	v_cmp_ne_u32_e32 vcc, 0, v7
	v_cmp_ne_u32_e64 s[0:1], 0, v2
	s_and_b64 s[0:1], vcc, s[0:1]
	v_cndmask_b32_e64 v2, 0, 1, s[0:1]
	v_add_u32_e32 v6, v6, v2
; %bb.52:
	s_or_b64 exec, exec, s[8:9]
	s_mov_b64 s[8:9], -1
	s_mov_b64 s[0:1], 0
	global_store_byte v[4:5], v6, off
.LBB55_53:
	s_mov_b64 s[10:11], 0
.LBB55_54:
	s_and_b64 vcc, exec, s[10:11]
	s_cbranch_vccz .LBB55_57
; %bb.55:
	v_mov_b32_e32 v2, 29
	v_cmp_eq_u16_sdwa s[10:11], s77, v2 src0_sel:BYTE_0 src1_sel:DWORD
	s_mov_b64 s[0:1], -1
	s_and_b64 vcc, exec, s[10:11]
	s_cbranch_vccz .LBB55_57
; %bb.56:
	v_trunc_f64_e32 v[2:3], v[0:1]
	s_movk_i32 s0, 0xffe0
	v_ldexp_f64 v[6:7], v[2:3], s0
	v_floor_f64_e32 v[6:7], v[6:7]
	v_fmac_f64_e32 v[2:3], 0xc1f00000, v[6:7]
	v_cvt_u32_f64_e32 v11, v[6:7]
	v_cvt_u32_f64_e32 v10, v[2:3]
	global_store_dwordx2 v[4:5], v[10:11], off
	s_mov_b64 s[8:9], -1
	s_mov_b64 s[0:1], 0
.LBB55_57:
	s_mov_b64 s[10:11], 0
.LBB55_58:
	s_and_b64 vcc, exec, s[10:11]
	s_cbranch_vccz .LBB55_74
; %bb.59:
	v_mov_b32_e32 v2, 27
	v_cmp_lt_i16_sdwa s[10:11], s77, v2 src0_sel:BYTE_0 src1_sel:DWORD
	s_mov_b64 s[8:9], -1
	s_and_b64 vcc, exec, s[10:11]
	s_cbranch_vccnz .LBB55_65
; %bb.60:
	v_cmp_gt_i16_sdwa s[10:11], s77, v2 src0_sel:BYTE_0 src1_sel:DWORD
	s_and_b64 vcc, exec, s[10:11]
	v_cvt_u32_f64_e32 v2, v[0:1]
	s_cbranch_vccz .LBB55_62
; %bb.61:
	s_mov_b64 s[8:9], 0
	global_store_dword v[4:5], v2, off
.LBB55_62:
	s_andn2_b64 vcc, exec, s[8:9]
	s_cbranch_vccnz .LBB55_64
; %bb.63:
	global_store_short v[4:5], v2, off
.LBB55_64:
	s_mov_b64 s[8:9], 0
.LBB55_65:
	s_andn2_b64 vcc, exec, s[8:9]
	s_cbranch_vccnz .LBB55_73
; %bb.66:
	v_cvt_f32_f64_e32 v2, v[0:1]
	v_and_b32_e32 v3, 0x7fffffff, v2
	s_mov_b32 s8, 0x43800000
	v_cmp_gt_u32_e32 vcc, s8, v3
	v_mov_b32_e32 v6, 0x80
	s_and_saveexec_b64 s[8:9], vcc
	s_cbranch_execz .LBB55_72
; %bb.67:
	s_mov_b32 s10, 0x3bffffff
	v_cmp_lt_u32_e32 vcc, s10, v3
	s_mov_b64 s[10:11], 0
                                        ; implicit-def: $vgpr3
	s_and_saveexec_b64 s[12:13], vcc
	s_xor_b64 s[12:13], exec, s[12:13]
	s_cbranch_execz .LBB55_309
; %bb.68:
	v_bfe_u32 v3, v2, 20, 1
	s_mov_b32 s14, 0x487ffff
	v_add3_u32 v3, v2, v3, s14
	s_mov_b64 s[10:11], exec
	v_lshrrev_b32_e32 v3, 20, v3
	s_or_saveexec_b64 s[12:13], s[12:13]
                                        ; implicit-def: $sgpr14
	s_xor_b64 exec, exec, s[12:13]
	s_cbranch_execnz .LBB55_310
.LBB55_69:
	s_or_b64 exec, exec, s[12:13]
	v_mov_b32_e32 v6, s14
	s_and_saveexec_b64 s[12:13], s[10:11]
.LBB55_70:
	v_lshrrev_b32_e32 v2, 24, v2
	s_movk_i32 s10, 0x80
	v_and_or_b32 v6, v2, s10, v3
.LBB55_71:
	s_or_b64 exec, exec, s[12:13]
.LBB55_72:
	s_or_b64 exec, exec, s[8:9]
	global_store_byte v[4:5], v6, off
.LBB55_73:
	s_mov_b64 s[8:9], -1
.LBB55_74:
	s_mov_b64 s[10:11], 0
.LBB55_75:
	s_and_b64 vcc, exec, s[10:11]
	s_cbranch_vccz .LBB55_116
; %bb.76:
	v_mov_b32_e32 v2, 22
	v_cmp_gt_i16_sdwa s[12:13], s77, v2 src0_sel:BYTE_0 src1_sel:DWORD
	s_mov_b64 s[10:11], -1
	s_and_b64 vcc, exec, s[12:13]
	s_cbranch_vccz .LBB55_108
; %bb.77:
	v_mov_b32_e32 v2, 24
	v_cmp_lt_i16_sdwa s[10:11], s77, v2 src0_sel:BYTE_0 src1_sel:DWORD
	s_mov_b64 s[8:9], -1
	s_and_b64 vcc, exec, s[10:11]
	s_cbranch_vccnz .LBB55_97
; %bb.78:
	v_cmp_gt_i16_sdwa s[10:11], s77, v2 src0_sel:BYTE_0 src1_sel:DWORD
	s_and_b64 vcc, exec, s[10:11]
	s_cbranch_vccz .LBB55_86
; %bb.79:
	v_cvt_f32_f64_e32 v2, v[0:1]
	v_and_b32_e32 v3, 0x7fffffff, v2
	s_mov_b32 s8, 0x47800000
	v_cmp_gt_u32_e32 vcc, s8, v3
	v_mov_b32_e32 v6, 0x80
	s_and_saveexec_b64 s[8:9], vcc
	s_cbranch_execz .LBB55_85
; %bb.80:
	s_mov_b32 s10, 0x37ffffff
	v_cmp_lt_u32_e32 vcc, s10, v3
	s_mov_b64 s[10:11], 0
                                        ; implicit-def: $vgpr3
	s_and_saveexec_b64 s[12:13], vcc
	s_xor_b64 s[12:13], exec, s[12:13]
	s_cbranch_execz .LBB55_313
; %bb.81:
	v_bfe_u32 v3, v2, 21, 1
	s_mov_b32 s14, 0x88fffff
	v_add3_u32 v3, v2, v3, s14
	s_mov_b64 s[10:11], exec
	v_lshrrev_b32_e32 v3, 21, v3
	s_or_saveexec_b64 s[12:13], s[12:13]
                                        ; implicit-def: $sgpr14
	s_xor_b64 exec, exec, s[12:13]
	s_cbranch_execnz .LBB55_314
.LBB55_82:
	s_or_b64 exec, exec, s[12:13]
	v_mov_b32_e32 v6, s14
	s_and_saveexec_b64 s[12:13], s[10:11]
.LBB55_83:
	v_lshrrev_b32_e32 v2, 24, v2
	s_movk_i32 s10, 0x80
	v_and_or_b32 v6, v2, s10, v3
.LBB55_84:
	s_or_b64 exec, exec, s[12:13]
.LBB55_85:
	s_or_b64 exec, exec, s[8:9]
	s_mov_b64 s[8:9], 0
	global_store_byte v[4:5], v6, off
.LBB55_86:
	s_and_b64 vcc, exec, s[8:9]
	s_cbranch_vccz .LBB55_96
; %bb.87:
	v_cvt_f32_f64_e32 v2, v[0:1]
	v_and_b32_e32 v6, 0x7fffffff, v2
	s_mov_b32 s8, 0x43f00000
	v_cmp_gt_u32_e32 vcc, s8, v6
                                        ; implicit-def: $vgpr3
	s_and_saveexec_b64 s[8:9], vcc
	s_xor_b64 s[8:9], exec, s[8:9]
	s_cbranch_execz .LBB55_93
; %bb.88:
	s_mov_b32 s10, 0x3c7fffff
	v_cmp_lt_u32_e32 vcc, s10, v6
                                        ; implicit-def: $vgpr3
	s_and_saveexec_b64 s[10:11], vcc
	s_xor_b64 s[10:11], exec, s[10:11]
; %bb.89:
	v_bfe_u32 v3, v2, 20, 1
	s_mov_b32 s12, 0x407ffff
	v_add3_u32 v3, v2, v3, s12
	v_lshrrev_b32_e32 v6, 20, v3
	v_and_b32_e32 v3, 0xff00000, v3
	s_mov_b32 s12, 0x7f00000
	v_mov_b32_e32 v7, 0x7e
	v_cmp_ne_u32_e32 vcc, s12, v3
	v_cndmask_b32_e32 v3, v7, v6, vcc
; %bb.90:
	s_andn2_saveexec_b64 s[10:11], s[10:11]
; %bb.91:
	s_mov_b32 s12, 0x46800000
	v_add_f32_e64 v3, |v2|, s12
; %bb.92:
	s_or_b64 exec, exec, s[10:11]
                                        ; implicit-def: $vgpr6
.LBB55_93:
	s_andn2_saveexec_b64 s[8:9], s[8:9]
; %bb.94:
	s_mov_b32 s10, 0x7f800000
	v_mov_b32_e32 v3, 0x7e
	v_mov_b32_e32 v7, 0x7f
	v_cmp_lt_u32_e32 vcc, s10, v6
	v_cndmask_b32_e32 v3, v3, v7, vcc
; %bb.95:
	s_or_b64 exec, exec, s[8:9]
	v_lshrrev_b32_e32 v2, 24, v2
	s_movk_i32 s8, 0x80
	v_and_or_b32 v2, v2, s8, v3
	global_store_byte v[4:5], v2, off
.LBB55_96:
	s_mov_b64 s[8:9], 0
.LBB55_97:
	s_andn2_b64 vcc, exec, s[8:9]
	s_cbranch_vccnz .LBB55_107
; %bb.98:
	v_cvt_f32_f64_e32 v2, v[0:1]
	v_and_b32_e32 v6, 0x7fffffff, v2
	s_mov_b32 s8, 0x47800000
	v_cmp_gt_u32_e32 vcc, s8, v6
                                        ; implicit-def: $vgpr3
	s_and_saveexec_b64 s[8:9], vcc
	s_xor_b64 s[8:9], exec, s[8:9]
	s_cbranch_execz .LBB55_104
; %bb.99:
	s_mov_b32 s10, 0x387fffff
	v_cmp_lt_u32_e32 vcc, s10, v6
                                        ; implicit-def: $vgpr3
	s_and_saveexec_b64 s[10:11], vcc
	s_xor_b64 s[10:11], exec, s[10:11]
; %bb.100:
	v_bfe_u32 v3, v2, 21, 1
	s_mov_b32 s12, 0x80fffff
	v_add3_u32 v3, v2, v3, s12
	v_lshrrev_b32_e32 v3, 21, v3
; %bb.101:
	s_andn2_saveexec_b64 s[10:11], s[10:11]
; %bb.102:
	s_mov_b32 s12, 0x43000000
	v_add_f32_e64 v3, |v2|, s12
; %bb.103:
	s_or_b64 exec, exec, s[10:11]
                                        ; implicit-def: $vgpr6
.LBB55_104:
	s_andn2_saveexec_b64 s[8:9], s[8:9]
; %bb.105:
	s_mov_b32 s10, 0x7f800000
	v_mov_b32_e32 v3, 0x7c
	v_mov_b32_e32 v7, 0x7f
	v_cmp_lt_u32_e32 vcc, s10, v6
	v_cndmask_b32_e32 v3, v3, v7, vcc
; %bb.106:
	s_or_b64 exec, exec, s[8:9]
	v_lshrrev_b32_e32 v2, 24, v2
	s_movk_i32 s8, 0x80
	v_and_or_b32 v2, v2, s8, v3
	global_store_byte v[4:5], v2, off
.LBB55_107:
	s_mov_b64 s[10:11], 0
	s_mov_b64 s[8:9], -1
.LBB55_108:
	s_andn2_b64 vcc, exec, s[10:11]
	s_cbranch_vccnz .LBB55_116
; %bb.109:
	v_mov_b32_e32 v2, 14
	v_cmp_gt_i16_sdwa s[12:13], s77, v2 src0_sel:BYTE_0 src1_sel:DWORD
	s_mov_b64 s[10:11], -1
	s_and_b64 vcc, exec, s[12:13]
	s_cbranch_vccz .LBB55_113
; %bb.110:
	v_mov_b32_e32 v2, 15
	v_cmp_eq_u16_sdwa s[10:11], s77, v2 src0_sel:BYTE_0 src1_sel:DWORD
	s_mov_b64 s[0:1], -1
	s_and_b64 vcc, exec, s[10:11]
	s_cbranch_vccz .LBB55_112
; %bb.111:
	v_cvt_f32_f64_e32 v2, v[0:1]
	v_bfe_u32 v3, v2, 16, 1
	s_movk_i32 s0, 0x7fff
	v_add3_u32 v3, v2, v3, s0
	v_lshrrev_b32_e32 v3, 16, v3
	v_mov_b32_e32 v6, 0x7fc0
	v_cmp_o_f32_e32 vcc, v2, v2
	v_cndmask_b32_e32 v2, v6, v3, vcc
	global_store_short v[4:5], v2, off
	s_mov_b64 s[8:9], -1
	s_mov_b64 s[0:1], 0
.LBB55_112:
	s_mov_b64 s[10:11], 0
.LBB55_113:
	s_and_b64 vcc, exec, s[10:11]
	s_cbranch_vccz .LBB55_116
; %bb.114:
	v_mov_b32_e32 v2, 11
	v_cmp_eq_u16_sdwa s[10:11], s77, v2 src0_sel:BYTE_0 src1_sel:DWORD
	s_mov_b64 s[0:1], -1
	s_and_b64 vcc, exec, s[10:11]
	s_cbranch_vccz .LBB55_116
; %bb.115:
	v_cmp_neq_f64_e32 vcc, 0, v[0:1]
	s_mov_b64 s[0:1], 0
	v_cndmask_b32_e64 v2, 0, 1, vcc
	s_mov_b64 s[8:9], -1
	global_store_byte v[4:5], v2, off
.LBB55_116:
	s_branch .LBB55_35
.LBB55_117:
	v_mov_b32_e32 v2, 5
	v_cmp_lt_i16_sdwa s[10:11], s77, v2 src0_sel:BYTE_0 src1_sel:DWORD
	s_mov_b64 s[8:9], -1
	s_and_b64 vcc, exec, s[10:11]
	s_cbranch_vccnz .LBB55_138
; %bb.118:
	v_mov_b32_e32 v2, 8
	v_cmp_lt_i16_sdwa s[10:11], s77, v2 src0_sel:BYTE_0 src1_sel:DWORD
	s_and_b64 vcc, exec, s[10:11]
	s_cbranch_vccnz .LBB55_128
; %bb.119:
	v_mov_b32_e32 v2, 9
	v_cmp_lt_i16_sdwa s[10:11], s77, v2 src0_sel:BYTE_0 src1_sel:DWORD
	s_and_b64 vcc, exec, s[10:11]
	s_cbranch_vccnz .LBB55_125
; %bb.120:
	v_cmp_gt_i16_sdwa s[10:11], s77, v2 src0_sel:BYTE_0 src1_sel:DWORD
	s_and_b64 vcc, exec, s[10:11]
	s_cbranch_vccz .LBB55_122
; %bb.121:
	v_mov_b32_e32 v2, 0
	v_mov_b32_e32 v3, v2
	global_store_dwordx4 v[4:5], v[0:3], off
	s_mov_b64 s[8:9], 0
.LBB55_122:
	s_andn2_b64 vcc, exec, s[8:9]
	s_cbranch_vccnz .LBB55_124
; %bb.123:
	v_cvt_f32_f64_e32 v2, v[0:1]
	v_mov_b32_e32 v3, 0
	global_store_dwordx2 v[4:5], v[2:3], off
.LBB55_124:
	s_mov_b64 s[8:9], 0
.LBB55_125:
	s_andn2_b64 vcc, exec, s[8:9]
	s_cbranch_vccnz .LBB55_127
; %bb.126:
	v_cvt_f32_f64_e32 v2, v[0:1]
	v_cvt_f16_f32_e32 v2, v2
	global_store_dword v[4:5], v2, off
.LBB55_127:
	s_mov_b64 s[8:9], 0
.LBB55_128:
	s_andn2_b64 vcc, exec, s[8:9]
	s_cbranch_vccnz .LBB55_137
; %bb.129:
	v_mov_b32_e32 v2, 6
	v_cmp_lt_i16_sdwa s[10:11], s77, v2 src0_sel:BYTE_0 src1_sel:DWORD
	s_mov_b64 s[8:9], -1
	s_and_b64 vcc, exec, s[10:11]
	s_cbranch_vccnz .LBB55_135
; %bb.130:
	v_cmp_gt_i16_sdwa s[10:11], s77, v2 src0_sel:BYTE_0 src1_sel:DWORD
	s_and_b64 vcc, exec, s[10:11]
	s_cbranch_vccz .LBB55_132
; %bb.131:
	global_store_dwordx2 v[4:5], v[0:1], off
	s_mov_b64 s[8:9], 0
.LBB55_132:
	s_andn2_b64 vcc, exec, s[8:9]
	s_cbranch_vccnz .LBB55_134
; %bb.133:
	v_cvt_f32_f64_e32 v2, v[0:1]
	global_store_dword v[4:5], v2, off
.LBB55_134:
	s_mov_b64 s[8:9], 0
.LBB55_135:
	s_andn2_b64 vcc, exec, s[8:9]
	s_cbranch_vccnz .LBB55_137
; %bb.136:
	v_cvt_f32_f64_e32 v2, v[0:1]
	v_cvt_f16_f32_e32 v2, v2
	global_store_short v[4:5], v2, off
.LBB55_137:
	s_mov_b64 s[8:9], 0
.LBB55_138:
	s_andn2_b64 vcc, exec, s[8:9]
	s_cbranch_vccnz .LBB55_154
; %bb.139:
	v_mov_b32_e32 v2, 2
	v_cmp_lt_i16_sdwa s[10:11], s77, v2 src0_sel:BYTE_0 src1_sel:DWORD
	s_mov_b64 s[8:9], -1
	s_and_b64 vcc, exec, s[10:11]
	s_cbranch_vccnz .LBB55_149
; %bb.140:
	v_mov_b32_e32 v2, 3
	v_cmp_lt_i16_sdwa s[10:11], s77, v2 src0_sel:BYTE_0 src1_sel:DWORD
	s_and_b64 vcc, exec, s[10:11]
	s_cbranch_vccnz .LBB55_146
; %bb.141:
	v_cmp_gt_i16_sdwa s[10:11], s77, v2 src0_sel:BYTE_0 src1_sel:DWORD
	s_and_b64 vcc, exec, s[10:11]
	s_cbranch_vccz .LBB55_143
; %bb.142:
	v_trunc_f64_e32 v[2:3], v[0:1]
	s_movk_i32 s8, 0xffe0
	v_ldexp_f64 v[6:7], v[2:3], s8
	v_floor_f64_e32 v[6:7], v[6:7]
	v_fmac_f64_e32 v[2:3], 0xc1f00000, v[6:7]
	v_cvt_i32_f64_e32 v11, v[6:7]
	v_cvt_u32_f64_e32 v10, v[2:3]
	global_store_dwordx2 v[4:5], v[10:11], off
	s_mov_b64 s[8:9], 0
.LBB55_143:
	s_andn2_b64 vcc, exec, s[8:9]
	s_cbranch_vccnz .LBB55_145
; %bb.144:
	v_cvt_i32_f64_e32 v2, v[0:1]
	global_store_dword v[4:5], v2, off
.LBB55_145:
	s_mov_b64 s[8:9], 0
.LBB55_146:
	s_andn2_b64 vcc, exec, s[8:9]
	s_cbranch_vccnz .LBB55_148
; %bb.147:
	v_cvt_i32_f64_e32 v2, v[0:1]
	global_store_short v[4:5], v2, off
.LBB55_148:
	s_mov_b64 s[8:9], 0
.LBB55_149:
	s_andn2_b64 vcc, exec, s[8:9]
	s_cbranch_vccnz .LBB55_154
; %bb.150:
	v_mov_b32_e32 v2, 0
	v_cmp_gt_i16_sdwa s[10:11], s77, v2 src0_sel:BYTE_0 src1_sel:DWORD
	s_mov_b64 s[8:9], -1
	s_and_b64 vcc, exec, s[10:11]
	s_cbranch_vccz .LBB55_152
; %bb.151:
	v_cvt_i32_f64_e32 v2, v[0:1]
	global_store_byte v[4:5], v2, off
	s_mov_b64 s[8:9], 0
.LBB55_152:
	s_andn2_b64 vcc, exec, s[8:9]
	s_cbranch_vccnz .LBB55_154
; %bb.153:
	v_trunc_f64_e32 v[0:1], v[0:1]
	s_movk_i32 s8, 0xffe0
	v_ldexp_f64 v[2:3], v[0:1], s8
	v_floor_f64_e32 v[2:3], v[2:3]
	v_fmac_f64_e32 v[0:1], 0xc1f00000, v[2:3]
	v_cvt_u32_f64_e32 v0, v[0:1]
	global_store_byte v[4:5], v0, off
.LBB55_154:
.LBB55_155:
	v_add_u32_e32 v12, 0x80, v12
	s_mov_b64 s[8:9], -1
	s_branch .LBB55_266
.LBB55_156:
	s_mov_b64 s[2:3], -1
                                        ; implicit-def: $vgpr4_vgpr5
.LBB55_157:
	s_mov_b64 s[8:9], 0
.LBB55_158:
	s_and_b64 vcc, exec, s[8:9]
	s_cbranch_vccz .LBB55_162
; %bb.159:
	v_cmp_eq_u16_e32 vcc, 29, v8
	s_cbranch_vccz .LBB55_161
; %bb.160:
	global_load_dwordx2 v[4:5], v[0:1], off
	s_mov_b64 s[0:1], -1
	s_mov_b64 s[2:3], 0
	s_mov_b64 s[8:9], 0
	s_waitcnt vmcnt(0)
	v_cvt_f64_u32_e32 v[6:7], v5
	v_cvt_f64_u32_e32 v[4:5], v4
	v_ldexp_f64 v[6:7], v[6:7], 32
	v_add_f64 v[4:5], v[6:7], v[4:5]
	s_branch .LBB55_163
.LBB55_161:
	s_mov_b64 s[2:3], -1
                                        ; implicit-def: $vgpr4_vgpr5
.LBB55_162:
	s_mov_b64 s[8:9], 0
.LBB55_163:
	s_and_b64 vcc, exec, s[8:9]
	s_cbranch_vccz .LBB55_181
; %bb.164:
	v_cmp_gt_i16_e32 vcc, 27, v8
	s_cbranch_vccnz .LBB55_167
; %bb.165:
	v_cmp_lt_i16_e32 vcc, 27, v8
	s_cbranch_vccz .LBB55_168
; %bb.166:
	global_load_dword v3, v[0:1], off
	s_mov_b64 s[0:1], 0
	s_waitcnt vmcnt(0)
	v_cvt_f64_u32_e32 v[4:5], v3
	s_branch .LBB55_169
.LBB55_167:
	s_mov_b64 s[0:1], -1
                                        ; implicit-def: $vgpr4_vgpr5
	s_branch .LBB55_172
.LBB55_168:
	s_mov_b64 s[0:1], -1
                                        ; implicit-def: $vgpr4_vgpr5
.LBB55_169:
	s_andn2_b64 vcc, exec, s[0:1]
	s_cbranch_vccnz .LBB55_171
; %bb.170:
	global_load_ushort v3, v[0:1], off
	s_waitcnt vmcnt(0)
	v_cvt_f64_u32_e32 v[4:5], v3
.LBB55_171:
	s_mov_b64 s[0:1], 0
.LBB55_172:
	s_andn2_b64 vcc, exec, s[0:1]
	s_cbranch_vccnz .LBB55_180
; %bb.173:
	global_load_ubyte v3, v[0:1], off
	s_movk_i32 s0, 0x7f
                                        ; implicit-def: $sgpr8_sgpr9
	s_waitcnt vmcnt(0)
	v_cmp_lt_i16_e32 vcc, s0, v3
	s_mov_b64 s[0:1], 0
	s_and_saveexec_b64 s[10:11], vcc
	s_xor_b64 s[10:11], exec, s[10:11]
	s_cbranch_execz .LBB55_193
; %bb.174:
	s_movk_i32 s0, 0x80
	v_cmp_eq_u16_e32 vcc, s0, v3
	s_mov_b64 s[12:13], -1
                                        ; implicit-def: $sgpr8_sgpr9
	s_and_saveexec_b64 s[0:1], vcc
; %bb.175:
	s_mov_b32 s9, 0x7ff80000
	s_brev_b32 s8, 4
	s_xor_b64 s[12:13], exec, -1
; %bb.176:
	s_or_b64 exec, exec, s[0:1]
	s_and_b64 s[0:1], s[12:13], exec
	s_or_saveexec_b64 s[10:11], s[10:11]
	v_pk_mov_b32 v[4:5], s[8:9], s[8:9] op_sel:[0,1]
	s_xor_b64 exec, exec, s[10:11]
	s_cbranch_execnz .LBB55_194
.LBB55_177:
	s_or_b64 exec, exec, s[10:11]
	s_and_saveexec_b64 s[8:9], s[0:1]
	s_cbranch_execz .LBB55_179
.LBB55_178:
	v_lshlrev_b32_e32 v4, 24, v3
	v_and_b32_e32 v3, 0xffff, v3
	v_and_b32_e32 v5, 7, v3
	v_ffbh_u32_e32 v7, v5
	v_min_u32_e32 v7, 32, v7
	v_subrev_u32_e32 v9, 28, v7
	v_bfe_u32 v6, v3, 3, 4
	v_lshlrev_b32_e32 v3, v9, v3
	v_sub_u32_e32 v7, 29, v7
	v_and_b32_e32 v3, 7, v3
	v_cmp_eq_u32_e32 vcc, 0, v6
	v_cndmask_b32_e32 v6, v6, v7, vcc
	v_cndmask_b32_e32 v3, v5, v3, vcc
	v_mov_b32_e32 v5, 0x3b800000
	v_lshlrev_b32_e32 v3, 20, v3
	v_and_b32_e32 v4, 0x80000000, v4
	v_lshl_add_u32 v5, v6, 23, v5
	v_or3_b32 v3, v4, v5, v3
	v_cvt_f64_f32_e32 v[4:5], v3
.LBB55_179:
	s_or_b64 exec, exec, s[8:9]
.LBB55_180:
	s_mov_b64 s[0:1], -1
.LBB55_181:
	s_branch .LBB55_216
.LBB55_182:
	v_cmp_lt_i16_e32 vcc, 22, v8
	s_cbranch_vccz .LBB55_192
; %bb.183:
	v_cmp_gt_i16_e32 vcc, 24, v8
	s_cbranch_vccnz .LBB55_195
; %bb.184:
	v_cmp_lt_i16_e32 vcc, 24, v8
	s_cbranch_vccz .LBB55_196
; %bb.185:
	global_load_ubyte v3, v[0:1], off
	s_movk_i32 s0, 0x7f
                                        ; implicit-def: $sgpr8_sgpr9
	s_waitcnt vmcnt(0)
	v_cmp_lt_i16_e32 vcc, s0, v3
	s_mov_b64 s[0:1], 0
	s_and_saveexec_b64 s[10:11], vcc
	s_xor_b64 s[10:11], exec, s[10:11]
	s_cbranch_execz .LBB55_208
; %bb.186:
	s_movk_i32 s0, 0x80
	v_cmp_eq_u16_e32 vcc, s0, v3
	s_mov_b64 s[12:13], -1
                                        ; implicit-def: $sgpr8_sgpr9
	s_and_saveexec_b64 s[0:1], vcc
; %bb.187:
	s_mov_b32 s9, 0x7ff80000
	s_brev_b32 s8, 4
	s_xor_b64 s[12:13], exec, -1
; %bb.188:
	s_or_b64 exec, exec, s[0:1]
	s_and_b64 s[0:1], s[12:13], exec
	s_or_saveexec_b64 s[10:11], s[10:11]
	v_pk_mov_b32 v[4:5], s[8:9], s[8:9] op_sel:[0,1]
	s_xor_b64 exec, exec, s[10:11]
	s_cbranch_execnz .LBB55_209
.LBB55_189:
	s_or_b64 exec, exec, s[10:11]
	s_and_saveexec_b64 s[8:9], s[0:1]
	s_cbranch_execz .LBB55_191
.LBB55_190:
	v_lshlrev_b32_e32 v4, 24, v3
	v_and_b32_e32 v3, 0xffff, v3
	v_and_b32_e32 v5, 3, v3
	v_ffbh_u32_e32 v7, v5
	v_min_u32_e32 v7, 32, v7
	v_subrev_u32_e32 v9, 29, v7
	v_bfe_u32 v6, v3, 2, 5
	v_lshlrev_b32_e32 v3, v9, v3
	v_sub_u32_e32 v7, 30, v7
	v_and_b32_e32 v3, 3, v3
	v_cmp_eq_u32_e32 vcc, 0, v6
	v_cndmask_b32_e32 v6, v6, v7, vcc
	v_cndmask_b32_e32 v3, v5, v3, vcc
	v_mov_b32_e32 v5, 0x37800000
	v_lshlrev_b32_e32 v3, 21, v3
	v_and_b32_e32 v4, 0x80000000, v4
	v_lshl_add_u32 v5, v6, 23, v5
	v_or3_b32 v3, v4, v5, v3
	v_cvt_f64_f32_e32 v[4:5], v3
.LBB55_191:
	s_or_b64 exec, exec, s[8:9]
	s_mov_b64 s[0:1], 0
	s_branch .LBB55_197
.LBB55_192:
	s_mov_b64 s[8:9], -1
                                        ; implicit-def: $vgpr4_vgpr5
	s_branch .LBB55_203
.LBB55_193:
	s_or_saveexec_b64 s[10:11], s[10:11]
	v_pk_mov_b32 v[4:5], s[8:9], s[8:9] op_sel:[0,1]
	s_xor_b64 exec, exec, s[10:11]
	s_cbranch_execz .LBB55_177
.LBB55_194:
	v_cmp_ne_u16_e32 vcc, 0, v3
	s_andn2_b64 s[0:1], s[0:1], exec
	s_and_b64 s[8:9], vcc, exec
	v_pk_mov_b32 v[4:5], 0, 0
	s_or_b64 s[0:1], s[0:1], s[8:9]
	s_or_b64 exec, exec, s[10:11]
	s_and_saveexec_b64 s[8:9], s[0:1]
	s_cbranch_execnz .LBB55_178
	s_branch .LBB55_179
.LBB55_195:
	s_mov_b64 s[0:1], -1
                                        ; implicit-def: $vgpr4_vgpr5
	s_branch .LBB55_200
.LBB55_196:
	s_mov_b64 s[0:1], -1
                                        ; implicit-def: $vgpr4_vgpr5
.LBB55_197:
	s_and_b64 vcc, exec, s[0:1]
	s_cbranch_vccz .LBB55_199
; %bb.198:
	global_load_ubyte v3, v[0:1], off
	s_mov_b32 s0, 0x7f800000
	s_waitcnt vmcnt(0)
	v_lshlrev_b32_e32 v3, 24, v3
	v_and_b32_e32 v4, 0x7f000000, v3
	v_ffbh_u32_e32 v5, v4
	v_min_u32_e32 v5, 32, v5
	v_sub_u32_e64 v5, v5, 4 clamp
	v_lshlrev_b32_e32 v7, v5, v4
	v_lshlrev_b32_e32 v5, 23, v5
	v_lshrrev_b32_e32 v7, 4, v7
	v_add_u32_e32 v6, 0x1000000, v4
	v_sub_u32_e32 v5, v7, v5
	v_ashrrev_i32_e32 v6, 8, v6
	v_add_u32_e32 v5, 0x3c000000, v5
	v_and_or_b32 v5, v6, s0, v5
	v_cmp_ne_u32_e32 vcc, 0, v4
	v_cndmask_b32_e32 v4, 0, v5, vcc
	s_brev_b32 s0, 1
	v_and_or_b32 v3, v3, s0, v4
	v_cvt_f64_f32_e32 v[4:5], v3
.LBB55_199:
	s_mov_b64 s[0:1], 0
.LBB55_200:
	s_andn2_b64 vcc, exec, s[0:1]
	s_cbranch_vccnz .LBB55_202
; %bb.201:
	global_load_ubyte v3, v[0:1], off
	s_movk_i32 s0, 0x7f00
	s_brev_b32 s1, 16
	s_waitcnt vmcnt(0)
	v_lshlrev_b16_e32 v4, 8, v3
	v_lshlrev_b32_e32 v3, 25, v3
	v_lshrrev_b32_e32 v5, 4, v3
	v_and_or_b32 v6, v4, s0, 0.5
	v_or_b32_e32 v5, 0x70000000, v5
	v_add_f32_e32 v6, -0.5, v6
	v_mul_f32_e32 v5, 0x7800000, v5
	v_cmp_gt_u32_e32 vcc, s1, v3
	v_bfe_i32 v4, v4, 0, 16
	v_cndmask_b32_e32 v3, v5, v6, vcc
	s_brev_b32 s0, 1
	v_and_or_b32 v3, v4, s0, v3
	v_cvt_f64_f32_e32 v[4:5], v3
.LBB55_202:
	s_mov_b64 s[8:9], 0
	s_mov_b64 s[0:1], -1
.LBB55_203:
	s_andn2_b64 vcc, exec, s[8:9]
	s_cbranch_vccnz .LBB55_216
; %bb.204:
	v_cmp_lt_i16_e32 vcc, 14, v8
	s_cbranch_vccz .LBB55_207
; %bb.205:
	v_cmp_eq_u16_e32 vcc, 15, v8
	s_cbranch_vccz .LBB55_210
; %bb.206:
	global_load_ushort v3, v[0:1], off
	s_mov_b64 s[0:1], -1
	s_mov_b64 s[2:3], 0
	s_waitcnt vmcnt(0)
	v_lshlrev_b32_e32 v3, 16, v3
	v_cvt_f64_f32_e32 v[4:5], v3
	s_branch .LBB55_211
.LBB55_207:
	s_mov_b64 s[8:9], -1
                                        ; implicit-def: $vgpr4_vgpr5
	s_branch .LBB55_212
.LBB55_208:
	s_or_saveexec_b64 s[10:11], s[10:11]
	v_pk_mov_b32 v[4:5], s[8:9], s[8:9] op_sel:[0,1]
	s_xor_b64 exec, exec, s[10:11]
	s_cbranch_execz .LBB55_189
.LBB55_209:
	v_cmp_ne_u16_e32 vcc, 0, v3
	s_andn2_b64 s[0:1], s[0:1], exec
	s_and_b64 s[8:9], vcc, exec
	v_pk_mov_b32 v[4:5], 0, 0
	s_or_b64 s[0:1], s[0:1], s[8:9]
	s_or_b64 exec, exec, s[10:11]
	s_and_saveexec_b64 s[8:9], s[0:1]
	s_cbranch_execnz .LBB55_190
	s_branch .LBB55_191
.LBB55_210:
	s_mov_b64 s[2:3], -1
                                        ; implicit-def: $vgpr4_vgpr5
.LBB55_211:
	s_mov_b64 s[8:9], 0
.LBB55_212:
	s_and_b64 vcc, exec, s[8:9]
	s_cbranch_vccz .LBB55_216
; %bb.213:
	v_cmp_eq_u16_e32 vcc, 11, v8
	s_cbranch_vccz .LBB55_215
; %bb.214:
	global_load_ubyte v3, v[0:1], off
	v_mov_b32_e32 v4, 0x3ff00000
	s_mov_b64 s[0:1], -1
	s_mov_b64 s[2:3], 0
	s_waitcnt vmcnt(0)
	v_cmp_ne_u16_e32 vcc, 0, v3
	v_cndmask_b32_e32 v5, 0, v4, vcc
	s_branch .LBB55_216
.LBB55_215:
	s_mov_b64 s[2:3], -1
                                        ; implicit-def: $vgpr4_vgpr5
.LBB55_216:
	s_branch .LBB55_25
.LBB55_217:
	v_cmp_gt_i16_e32 vcc, 5, v8
	s_cbranch_vccnz .LBB55_222
; %bb.218:
	v_cmp_gt_i16_e32 vcc, 8, v8
	s_cbranch_vccnz .LBB55_223
; %bb.219:
	;; [unrolled: 3-line block ×3, first 2 shown]
	v_cmp_lt_i16_e32 vcc, 9, v8
	s_cbranch_vccz .LBB55_225
; %bb.221:
	global_load_dwordx2 v[4:5], v[0:1], off
	s_mov_b64 s[0:1], 0
	s_branch .LBB55_226
.LBB55_222:
                                        ; implicit-def: $vgpr4_vgpr5
	s_branch .LBB55_244
.LBB55_223:
	s_mov_b64 s[0:1], -1
                                        ; implicit-def: $vgpr4_vgpr5
	s_branch .LBB55_232
.LBB55_224:
	s_mov_b64 s[0:1], -1
                                        ; implicit-def: $vgpr4_vgpr5
	s_branch .LBB55_229
.LBB55_225:
	s_mov_b64 s[0:1], -1
                                        ; implicit-def: $vgpr4_vgpr5
.LBB55_226:
	s_andn2_b64 vcc, exec, s[0:1]
	s_cbranch_vccnz .LBB55_228
; %bb.227:
	global_load_dword v3, v[0:1], off
	s_waitcnt vmcnt(0)
	v_cvt_f64_f32_e32 v[4:5], v3
.LBB55_228:
	s_mov_b64 s[0:1], 0
.LBB55_229:
	s_andn2_b64 vcc, exec, s[0:1]
	s_cbranch_vccnz .LBB55_231
; %bb.230:
	global_load_dword v3, v[0:1], off
	s_waitcnt vmcnt(0)
	v_cvt_f32_f16_e32 v3, v3
	v_cvt_f64_f32_e32 v[4:5], v3
.LBB55_231:
	s_mov_b64 s[0:1], 0
.LBB55_232:
	s_andn2_b64 vcc, exec, s[0:1]
	s_cbranch_vccnz .LBB55_243
; %bb.233:
	v_cmp_gt_i16_e32 vcc, 6, v8
	s_cbranch_vccnz .LBB55_236
; %bb.234:
	v_cmp_lt_i16_e32 vcc, 6, v8
	s_cbranch_vccz .LBB55_237
; %bb.235:
	global_load_dwordx2 v[4:5], v[0:1], off
	s_mov_b64 s[0:1], 0
	s_branch .LBB55_238
.LBB55_236:
	s_mov_b64 s[0:1], -1
                                        ; implicit-def: $vgpr4_vgpr5
	s_branch .LBB55_241
.LBB55_237:
	s_mov_b64 s[0:1], -1
                                        ; implicit-def: $vgpr4_vgpr5
.LBB55_238:
	s_andn2_b64 vcc, exec, s[0:1]
	s_cbranch_vccnz .LBB55_240
; %bb.239:
	global_load_dword v3, v[0:1], off
	s_waitcnt vmcnt(0)
	v_cvt_f64_f32_e32 v[4:5], v3
.LBB55_240:
	s_mov_b64 s[0:1], 0
.LBB55_241:
	s_andn2_b64 vcc, exec, s[0:1]
	s_cbranch_vccnz .LBB55_243
; %bb.242:
	global_load_ushort v3, v[0:1], off
	s_waitcnt vmcnt(0)
	v_cvt_f32_f16_e32 v3, v3
	v_cvt_f64_f32_e32 v[4:5], v3
.LBB55_243:
	s_cbranch_execnz .LBB55_263
.LBB55_244:
	v_cmp_gt_i16_e32 vcc, 2, v8
	s_cbranch_vccnz .LBB55_248
; %bb.245:
	v_cmp_gt_i16_e32 vcc, 3, v8
	s_cbranch_vccnz .LBB55_249
; %bb.246:
	v_cmp_lt_i16_e32 vcc, 3, v8
	s_cbranch_vccz .LBB55_250
; %bb.247:
	global_load_dwordx2 v[4:5], v[0:1], off
	s_mov_b64 s[0:1], 0
	s_waitcnt vmcnt(0)
	v_cvt_f64_i32_e32 v[6:7], v5
	v_cvt_f64_u32_e32 v[4:5], v4
	v_ldexp_f64 v[6:7], v[6:7], 32
	v_add_f64 v[4:5], v[6:7], v[4:5]
	s_branch .LBB55_251
.LBB55_248:
	s_mov_b64 s[0:1], -1
                                        ; implicit-def: $vgpr4_vgpr5
	s_branch .LBB55_257
.LBB55_249:
	s_mov_b64 s[0:1], -1
                                        ; implicit-def: $vgpr4_vgpr5
	s_branch .LBB55_254
.LBB55_250:
	s_mov_b64 s[0:1], -1
                                        ; implicit-def: $vgpr4_vgpr5
.LBB55_251:
	s_andn2_b64 vcc, exec, s[0:1]
	s_cbranch_vccnz .LBB55_253
; %bb.252:
	global_load_dword v3, v[0:1], off
	s_waitcnt vmcnt(0)
	v_cvt_f64_i32_e32 v[4:5], v3
.LBB55_253:
	s_mov_b64 s[0:1], 0
.LBB55_254:
	s_andn2_b64 vcc, exec, s[0:1]
	s_cbranch_vccnz .LBB55_256
; %bb.255:
	global_load_sshort v3, v[0:1], off
	s_waitcnt vmcnt(0)
	v_cvt_f64_i32_e32 v[4:5], v3
.LBB55_256:
	s_mov_b64 s[0:1], 0
.LBB55_257:
	s_andn2_b64 vcc, exec, s[0:1]
	s_cbranch_vccnz .LBB55_263
; %bb.258:
	v_cmp_lt_i16_e32 vcc, 0, v8
	s_cbranch_vccz .LBB55_260
; %bb.259:
	global_load_sbyte v3, v[0:1], off
	s_mov_b64 s[0:1], 0
	s_waitcnt vmcnt(0)
	v_cvt_f64_i32_e32 v[4:5], v3
	s_branch .LBB55_261
.LBB55_260:
	s_mov_b64 s[0:1], -1
                                        ; implicit-def: $vgpr4_vgpr5
.LBB55_261:
	s_andn2_b64 vcc, exec, s[0:1]
	s_cbranch_vccnz .LBB55_263
; %bb.262:
	global_load_ubyte v0, v[0:1], off
	s_waitcnt vmcnt(0)
	v_cvt_f64_u32_e32 v[4:5], v0
.LBB55_263:
	s_branch .LBB55_26
.LBB55_264:
	s_mov_b64 s[0:1], 0
.LBB55_265:
	s_mov_b64 s[8:9], 0
                                        ; implicit-def: $vgpr12
.LBB55_266:
	s_and_b64 s[54:55], s[0:1], exec
	s_and_b64 s[56:57], s[2:3], exec
	s_orn2_b64 s[2:3], s[8:9], exec
.LBB55_267:
	s_or_b64 exec, exec, s[58:59]
	s_mov_b64 s[10:11], 0
	s_mov_b64 s[0:1], 0
                                        ; implicit-def: $vgpr0_vgpr1
                                        ; implicit-def: $vgpr2
                                        ; implicit-def: $vgpr6_vgpr7
	s_and_saveexec_b64 s[58:59], s[2:3]
	s_cbranch_execz .LBB55_275
; %bb.268:
	v_cmp_gt_i32_e32 vcc, s74, v12
	s_mov_b64 s[0:1], -1
	s_mov_b64 s[60:61], s[56:57]
	s_mov_b64 s[62:63], s[54:55]
	s_and_saveexec_b64 s[64:65], vcc
	s_cbranch_execz .LBB55_544
; %bb.269:
	s_andn2_b64 vcc, exec, s[40:41]
	s_cbranch_vccnz .LBB55_278
; %bb.270:
	s_mov_b32 s60, 0
	s_andn2_b64 vcc, exec, s[52:53]
	v_mov_b32_e32 v0, 0
	v_mov_b32_e32 v2, 0
	s_cbranch_vccnz .LBB55_284
; %bb.271:
	s_add_i32 s68, s75, 1
	s_cmp_eq_u32 s76, 2
	s_cbranch_scc1 .LBB55_279
; %bb.272:
	s_and_b32 s60, s68, 28
	s_mov_b32 s61, 0
	v_mov_b32_e32 v2, 0
	s_mov_b64 s[62:63], s[34:35]
	s_mov_b64 s[66:67], s[50:51]
	v_mov_b32_e32 v1, v12
	v_mov_b32_e32 v0, 0
.LBB55_273:                             ; =>This Inner Loop Header: Depth=1
	s_load_dwordx8 s[16:23], s[62:63], 0x4
	s_load_dwordx4 s[0:3], s[62:63], 0x24
	s_load_dwordx8 s[8:15], s[66:67], 0x0
	s_add_u32 s62, s62, 48
	s_addc_u32 s63, s63, 0
	s_waitcnt lgkmcnt(0)
	v_mul_hi_u32 v3, s17, v1
	v_add_u32_e32 v3, v1, v3
	v_lshrrev_b32_e32 v3, s18, v3
	s_waitcnt vmcnt(0)
	v_mul_lo_u32 v4, v3, s16
	v_mul_hi_u32 v5, s20, v3
	v_sub_u32_e32 v1, v1, v4
	v_add_u32_e32 v4, v3, v5
	v_lshrrev_b32_e32 v4, s21, v4
	v_mul_lo_u32 v6, v4, s19
	v_mul_hi_u32 v7, s23, v4
	v_sub_u32_e32 v3, v3, v6
	v_add_u32_e32 v6, v4, v7
	v_mul_lo_u32 v5, v1, s9
	v_mul_lo_u32 v1, v1, s8
	;; [unrolled: 1-line block ×4, first 2 shown]
	v_lshrrev_b32_e32 v6, s0, v6
	v_add3_u32 v2, v1, v2, v3
	v_mul_lo_u32 v1, v6, s22
	v_mul_hi_u32 v3, s2, v6
	v_sub_u32_e32 v1, v4, v1
	v_add_u32_e32 v3, v6, v3
	v_add3_u32 v0, v5, v0, v7
	v_mul_lo_u32 v4, v1, s12
	v_mul_lo_u32 v5, v1, s13
	v_lshrrev_b32_e32 v1, s3, v3
	s_add_i32 s61, s61, 4
	v_mul_lo_u32 v3, v1, s1
	s_add_u32 s66, s66, 32
	v_sub_u32_e32 v3, v6, v3
	s_addc_u32 s67, s67, 0
	v_mul_lo_u32 v6, v3, s14
	v_mul_lo_u32 v3, v3, s15
	s_cmp_eq_u32 s60, s61
	v_add3_u32 v0, v5, v0, v3
	v_add3_u32 v2, v4, v2, v6
	s_cbranch_scc0 .LBB55_273
; %bb.274:
	v_mov_b32_e32 v3, v0
	s_branch .LBB55_280
.LBB55_275:
	s_or_b64 exec, exec, s[58:59]
	s_mov_b64 s[2:3], 0
	s_and_saveexec_b64 s[8:9], s[56:57]
	s_cbranch_execnz .LBB55_922
.LBB55_276:
	s_or_b64 exec, exec, s[8:9]
	s_and_saveexec_b64 s[8:9], s[62:63]
	s_xor_b64 s[8:9], exec, s[8:9]
	s_cbranch_execz .LBB55_923
.LBB55_277:
	global_load_ubyte v3, v[0:1], off
	s_waitcnt vmcnt(1)
	v_mov_b32_e32 v4, 0x3ff00000
	s_or_b64 s[0:1], s[0:1], exec
	s_waitcnt vmcnt(0)
	v_cmp_ne_u16_e32 vcc, 0, v3
	v_cndmask_b32_e32 v7, 0, v4, vcc
	s_or_b64 exec, exec, s[8:9]
	s_and_saveexec_b64 s[8:9], s[10:11]
	s_cbranch_execz .LBB55_969
	s_branch .LBB55_924
.LBB55_278:
                                        ; implicit-def: $vgpr0
                                        ; implicit-def: $vgpr2
	s_andn2_b64 vcc, exec, s[0:1]
	s_cbranch_vccz .LBB55_285
	s_branch .LBB55_287
.LBB55_279:
	s_mov_b32 s61, s60
	v_pk_mov_b32 v[2:3], s[60:61], s[60:61] op_sel:[0,1]
                                        ; implicit-def: $vgpr0
	v_mov_b32_e32 v1, v12
.LBB55_280:
	s_and_b32 s8, s68, 3
	s_cmp_eq_u32 s8, 0
	s_cbranch_scc1 .LBB55_284
; %bb.281:
	s_lshl_b32 s0, s60, 3
	s_add_u32 s0, s0, s34
	s_addc_u32 s1, s35, 0
	s_add_u32 s0, s0, 0xc4
	s_addc_u32 s1, s1, 0
	s_mul_i32 s2, s60, 12
	s_add_u32 s2, s34, s2
	s_addc_u32 s3, s35, 0
.LBB55_282:                             ; =>This Inner Loop Header: Depth=1
	s_load_dwordx2 s[10:11], s[2:3], 0x4
	s_load_dword s9, s[2:3], 0xc
	s_load_dwordx2 s[12:13], s[0:1], 0x0
	v_mov_b32_e32 v0, v3
	s_add_u32 s2, s2, 12
	s_waitcnt lgkmcnt(0)
	v_mul_hi_u32 v3, s11, v1
	v_add_u32_e32 v3, v1, v3
	v_lshrrev_b32_e32 v3, s9, v3
	s_addc_u32 s3, s3, 0
	s_waitcnt vmcnt(0)
	v_mul_lo_u32 v4, v3, s10
	s_add_u32 s0, s0, 8
	v_sub_u32_e32 v6, v1, v4
	v_mov_b32_e32 v1, v3
	s_addc_u32 s1, s1, 0
	s_add_i32 s8, s8, -1
	v_mad_u64_u32 v[4:5], s[10:11], v6, s13, v[0:1]
	v_mad_u64_u32 v[2:3], s[10:11], v6, s12, v[2:3]
	s_cmp_lg_u32 s8, 0
	v_mov_b32_e32 v3, v4
	s_cbranch_scc1 .LBB55_282
; %bb.283:
	v_mov_b32_e32 v0, v3
.LBB55_284:
	s_cbranch_execnz .LBB55_287
.LBB55_285:
	v_mul_hi_u32 v0, s29, v12
	v_add_u32_e32 v0, v12, v0
	v_lshrrev_b32_e32 v1, s30, v0
	v_mul_lo_u32 v0, v1, s28
	v_sub_u32_e32 v2, v12, v0
	v_mul_lo_u32 v0, v2, s37
	s_andn2_b64 vcc, exec, s[48:49]
	v_mul_lo_u32 v2, v2, s36
	s_cbranch_vccnz .LBB55_287
; %bb.286:
	v_mul_hi_u32 v3, s46, v1
	v_add_u32_e32 v3, v1, v3
	v_lshrrev_b32_e32 v3, s47, v3
	v_mul_lo_u32 v3, v3, s31
	v_sub_u32_e32 v1, v1, v3
	v_mad_u64_u32 v[2:3], s[0:1], v1, s38, v[2:3]
	v_mad_u64_u32 v[0:1], s[0:1], v1, s39, v[0:1]
.LBB55_287:
	v_mov_b32_e32 v1, s27
	v_add_co_u32_e32 v0, vcc, s26, v0
	v_addc_co_u32_e32 v1, vcc, 0, v1, vcc
	v_cmp_gt_i16_e32 vcc, 11, v8
	s_cbranch_vccnz .LBB55_294
; %bb.288:
	v_cmp_lt_i16_e32 vcc, 25, v8
	s_cbranch_vccz .LBB55_303
; %bb.289:
	v_cmp_lt_i16_e32 vcc, 28, v8
	s_cbranch_vccz .LBB55_305
	;; [unrolled: 3-line block ×4, first 2 shown]
; %bb.292:
	v_cmp_eq_u16_e32 vcc, 46, v8
	s_mov_b64 s[8:9], 0
	s_cbranch_vccz .LBB55_315
; %bb.293:
	global_load_dword v3, v[0:1], off
	s_mov_b64 s[0:1], -1
	s_mov_b64 s[2:3], 0
	s_waitcnt vmcnt(0)
	v_lshlrev_b32_e32 v3, 16, v3
	v_cvt_f64_f32_e32 v[4:5], v3
	s_branch .LBB55_316
.LBB55_294:
	s_mov_b64 s[0:1], 0
                                        ; implicit-def: $vgpr4_vgpr5
	s_mov_b64 s[2:3], s[56:57]
	s_cbranch_execnz .LBB55_493
.LBB55_295:
	s_andn2_b64 vcc, exec, s[0:1]
	s_cbranch_vccnz .LBB55_541
.LBB55_296:
	s_brev_b32 s0, -2
	v_mov_b32_e32 v0, s45
	v_mov_b32_e32 v3, s25
	s_waitcnt vmcnt(0)
	v_add_co_u32_e32 v4, vcc, s24, v2
	v_mov_b32_e32 v2, 11
	v_bfi_b32 v1, s0, v0, v5
	v_addc_co_u32_e32 v5, vcc, 0, v3, vcc
	v_cmp_lt_i16_sdwa s[0:1], s77, v2 src0_sel:BYTE_0 src1_sel:DWORD
	v_mov_b32_e32 v0, s44
	s_and_b64 vcc, exec, s[0:1]
	s_cbranch_vccnz .LBB55_304
; %bb.297:
	v_mov_b32_e32 v2, 25
	v_cmp_gt_i16_sdwa s[0:1], s77, v2 src0_sel:BYTE_0 src1_sel:DWORD
	s_and_b64 vcc, exec, s[0:1]
	s_cbranch_vccz .LBB55_306
; %bb.298:
	v_mov_b32_e32 v2, 28
	v_cmp_gt_i16_sdwa s[0:1], s77, v2 src0_sel:BYTE_0 src1_sel:DWORD
	s_and_b64 vcc, exec, s[0:1]
	s_cbranch_vccz .LBB55_308
	;; [unrolled: 5-line block ×4, first 2 shown]
; %bb.301:
	v_mov_b32_e32 v2, 46
	v_cmp_eq_u16_sdwa s[8:9], s77, v2 src0_sel:BYTE_0 src1_sel:DWORD
	s_mov_b64 s[10:11], 0
	s_mov_b64 s[0:1], -1
	s_and_b64 vcc, exec, s[8:9]
	s_mov_b64 s[8:9], 0
	s_cbranch_vccz .LBB55_320
; %bb.302:
	v_cvt_f32_f64_e32 v2, v[0:1]
	v_bfe_u32 v3, v2, 16, 1
	s_movk_i32 s0, 0x7fff
	v_add3_u32 v3, v2, v3, s0
	v_lshrrev_b32_e32 v3, 16, v3
	v_mov_b32_e32 v6, 0x7fc0
	v_cmp_o_f32_e32 vcc, v2, v2
	v_cndmask_b32_e32 v2, v6, v3, vcc
	global_store_dword v[4:5], v2, off
	s_mov_b64 s[8:9], -1
	s_mov_b64 s[0:1], 0
	s_branch .LBB55_320
.LBB55_303:
	s_mov_b64 s[8:9], -1
	s_mov_b64 s[0:1], 0
	s_mov_b64 s[2:3], s[56:57]
                                        ; implicit-def: $vgpr4_vgpr5
	s_branch .LBB55_457
.LBB55_304:
	s_mov_b64 s[10:11], -1
	s_mov_b64 s[8:9], 0
	s_mov_b64 s[0:1], s[54:55]
	s_branch .LBB55_389
.LBB55_305:
	s_mov_b64 s[8:9], -1
	s_mov_b64 s[0:1], 0
	s_mov_b64 s[2:3], s[56:57]
                                        ; implicit-def: $vgpr4_vgpr5
	s_branch .LBB55_438
.LBB55_306:
	s_mov_b64 s[10:11], -1
	s_mov_b64 s[8:9], 0
	s_mov_b64 s[0:1], s[54:55]
	s_branch .LBB55_347
.LBB55_307:
	s_mov_b64 s[8:9], -1
	s_mov_b64 s[0:1], 0
	s_mov_b64 s[2:3], s[56:57]
                                        ; implicit-def: $vgpr4_vgpr5
	s_branch .LBB55_433
.LBB55_308:
	s_mov_b64 s[10:11], -1
	s_mov_b64 s[8:9], 0
	s_mov_b64 s[0:1], s[54:55]
	s_branch .LBB55_330
.LBB55_309:
	s_or_saveexec_b64 s[12:13], s[12:13]
                                        ; implicit-def: $sgpr14
	s_xor_b64 exec, exec, s[12:13]
	s_cbranch_execz .LBB55_69
.LBB55_310:
	s_mov_b32 s14, 0x46000000
	v_add_f32_e64 v3, |v2|, s14
	v_and_b32_e32 v3, 0xff, v3
	v_cmp_ne_u32_e32 vcc, 0, v3
	s_andn2_b64 s[10:11], s[10:11], exec
	s_and_b64 s[16:17], vcc, exec
	s_mov_b32 s14, 0
	s_or_b64 s[10:11], s[10:11], s[16:17]
	s_or_b64 exec, exec, s[12:13]
	v_mov_b32_e32 v6, s14
	s_and_saveexec_b64 s[12:13], s[10:11]
	s_cbranch_execnz .LBB55_70
	s_branch .LBB55_71
.LBB55_311:
	s_mov_b64 s[8:9], -1
	s_mov_b64 s[0:1], 0
	s_mov_b64 s[2:3], s[56:57]
                                        ; implicit-def: $vgpr4_vgpr5
	s_branch .LBB55_316
.LBB55_312:
	s_mov_b64 s[10:11], -1
	s_mov_b64 s[8:9], 0
	s_mov_b64 s[0:1], s[54:55]
	s_branch .LBB55_326
.LBB55_313:
	s_or_saveexec_b64 s[12:13], s[12:13]
                                        ; implicit-def: $sgpr14
	s_xor_b64 exec, exec, s[12:13]
	s_cbranch_execz .LBB55_82
.LBB55_314:
	s_mov_b32 s14, 0x42800000
	v_add_f32_e64 v3, |v2|, s14
	v_and_b32_e32 v3, 0xff, v3
	v_cmp_ne_u32_e32 vcc, 0, v3
	s_andn2_b64 s[10:11], s[10:11], exec
	s_and_b64 s[16:17], vcc, exec
	s_mov_b32 s14, 0
	s_or_b64 s[10:11], s[10:11], s[16:17]
	s_or_b64 exec, exec, s[12:13]
	v_mov_b32_e32 v6, s14
	s_and_saveexec_b64 s[12:13], s[10:11]
	s_cbranch_execnz .LBB55_83
	s_branch .LBB55_84
.LBB55_315:
	s_mov_b64 s[2:3], -1
                                        ; implicit-def: $vgpr4_vgpr5
	s_mov_b64 s[0:1], 0
.LBB55_316:
	s_and_b64 vcc, exec, s[8:9]
	s_cbranch_vccz .LBB55_432
; %bb.317:
	v_cmp_eq_u16_e32 vcc, 44, v8
	s_cbranch_vccz .LBB55_431
; %bb.318:
	global_load_ubyte v3, v[0:1], off
	s_movk_i32 s2, 0xff
	v_mov_b32_e32 v6, 0x7ff80000
	v_bfrev_b32_e32 v7, 28
	s_mov_b64 s[0:1], -1
	s_waitcnt vmcnt(0)
	v_lshlrev_b32_e32 v4, 23, v3
	v_cvt_f64_f32_e32 v[4:5], v4
	v_cmp_ne_u32_e32 vcc, s2, v3
	v_cndmask_b32_e32 v4, v6, v5, vcc
	v_cmp_ne_u32_e32 vcc, 0, v3
	v_cndmask_b32_e32 v5, v7, v4, vcc
	s_mov_b64 s[2:3], 0
	s_branch .LBB55_432
.LBB55_319:
	s_mov_b64 s[10:11], -1
	s_mov_b64 s[8:9], 0
	s_mov_b64 s[0:1], s[54:55]
.LBB55_320:
	s_and_b64 vcc, exec, s[10:11]
	s_cbranch_vccz .LBB55_325
; %bb.321:
	v_mov_b32_e32 v2, 44
	v_cmp_eq_u16_sdwa s[10:11], s77, v2 src0_sel:BYTE_0 src1_sel:DWORD
	s_mov_b64 s[0:1], -1
	s_and_b64 vcc, exec, s[10:11]
	s_cbranch_vccz .LBB55_325
; %bb.322:
	v_cvt_f32_f64_e32 v2, v[0:1]
	v_bfe_u32 v3, v2, 23, 8
	s_movk_i32 s0, 0xff
	v_cmp_ne_u32_e32 vcc, s0, v3
	v_mov_b32_e32 v6, 0xff
	s_and_saveexec_b64 s[8:9], vcc
; %bb.323:
	s_mov_b32 s0, 0x3fffff
	v_lshrrev_b32_e32 v6, 23, v2
	v_and_b32_e32 v7, 0x400000, v2
	v_and_or_b32 v2, v2, s0, v3
	v_cmp_ne_u32_e32 vcc, 0, v7
	v_cmp_ne_u32_e64 s[0:1], 0, v2
	s_and_b64 s[0:1], vcc, s[0:1]
	v_cndmask_b32_e64 v2, 0, 1, s[0:1]
	v_add_u32_e32 v6, v6, v2
; %bb.324:
	s_or_b64 exec, exec, s[8:9]
	s_mov_b64 s[8:9], -1
	s_mov_b64 s[0:1], 0
	global_store_byte v[4:5], v6, off
.LBB55_325:
	s_mov_b64 s[10:11], 0
.LBB55_326:
	s_and_b64 vcc, exec, s[10:11]
	s_cbranch_vccz .LBB55_329
; %bb.327:
	v_mov_b32_e32 v2, 29
	v_cmp_eq_u16_sdwa s[10:11], s77, v2 src0_sel:BYTE_0 src1_sel:DWORD
	s_mov_b64 s[0:1], -1
	s_and_b64 vcc, exec, s[10:11]
	s_cbranch_vccz .LBB55_329
; %bb.328:
	v_trunc_f64_e32 v[2:3], v[0:1]
	s_movk_i32 s0, 0xffe0
	v_ldexp_f64 v[6:7], v[2:3], s0
	v_floor_f64_e32 v[6:7], v[6:7]
	v_fmac_f64_e32 v[2:3], 0xc1f00000, v[6:7]
	v_cvt_u32_f64_e32 v11, v[6:7]
	v_cvt_u32_f64_e32 v10, v[2:3]
	global_store_dwordx2 v[4:5], v[10:11], off
	s_mov_b64 s[8:9], -1
	s_mov_b64 s[0:1], 0
.LBB55_329:
	s_mov_b64 s[10:11], 0
.LBB55_330:
	s_and_b64 vcc, exec, s[10:11]
	s_cbranch_vccz .LBB55_346
; %bb.331:
	v_mov_b32_e32 v2, 27
	v_cmp_lt_i16_sdwa s[10:11], s77, v2 src0_sel:BYTE_0 src1_sel:DWORD
	s_mov_b64 s[8:9], -1
	s_and_b64 vcc, exec, s[10:11]
	s_cbranch_vccnz .LBB55_337
; %bb.332:
	v_cmp_gt_i16_sdwa s[10:11], s77, v2 src0_sel:BYTE_0 src1_sel:DWORD
	s_and_b64 vcc, exec, s[10:11]
	v_cvt_u32_f64_e32 v2, v[0:1]
	s_cbranch_vccz .LBB55_334
; %bb.333:
	s_mov_b64 s[8:9], 0
	global_store_dword v[4:5], v2, off
.LBB55_334:
	s_andn2_b64 vcc, exec, s[8:9]
	s_cbranch_vccnz .LBB55_336
; %bb.335:
	global_store_short v[4:5], v2, off
.LBB55_336:
	s_mov_b64 s[8:9], 0
.LBB55_337:
	s_andn2_b64 vcc, exec, s[8:9]
	s_cbranch_vccnz .LBB55_345
; %bb.338:
	v_cvt_f32_f64_e32 v2, v[0:1]
	v_and_b32_e32 v3, 0x7fffffff, v2
	s_mov_b32 s8, 0x43800000
	v_cmp_gt_u32_e32 vcc, s8, v3
	v_mov_b32_e32 v6, 0x80
	s_and_saveexec_b64 s[8:9], vcc
	s_cbranch_execz .LBB55_344
; %bb.339:
	s_mov_b32 s10, 0x3bffffff
	v_cmp_lt_u32_e32 vcc, s10, v3
	s_mov_b64 s[10:11], 0
                                        ; implicit-def: $vgpr3
	s_and_saveexec_b64 s[12:13], vcc
	s_xor_b64 s[12:13], exec, s[12:13]
	s_cbranch_execz .LBB55_573
; %bb.340:
	v_bfe_u32 v3, v2, 20, 1
	s_mov_b32 s14, 0x487ffff
	v_add3_u32 v3, v2, v3, s14
	s_mov_b64 s[10:11], exec
	v_lshrrev_b32_e32 v3, 20, v3
	s_or_saveexec_b64 s[12:13], s[12:13]
                                        ; implicit-def: $sgpr14
	s_xor_b64 exec, exec, s[12:13]
	s_cbranch_execnz .LBB55_574
.LBB55_341:
	s_or_b64 exec, exec, s[12:13]
	v_mov_b32_e32 v6, s14
	s_and_saveexec_b64 s[12:13], s[10:11]
.LBB55_342:
	v_lshrrev_b32_e32 v2, 24, v2
	s_movk_i32 s10, 0x80
	v_and_or_b32 v6, v2, s10, v3
.LBB55_343:
	s_or_b64 exec, exec, s[12:13]
.LBB55_344:
	s_or_b64 exec, exec, s[8:9]
	global_store_byte v[4:5], v6, off
.LBB55_345:
	s_mov_b64 s[8:9], -1
.LBB55_346:
	s_mov_b64 s[10:11], 0
.LBB55_347:
	s_and_b64 vcc, exec, s[10:11]
	s_cbranch_vccz .LBB55_388
; %bb.348:
	v_mov_b32_e32 v2, 22
	v_cmp_gt_i16_sdwa s[12:13], s77, v2 src0_sel:BYTE_0 src1_sel:DWORD
	s_mov_b64 s[10:11], -1
	s_and_b64 vcc, exec, s[12:13]
	s_cbranch_vccz .LBB55_380
; %bb.349:
	v_mov_b32_e32 v2, 24
	v_cmp_lt_i16_sdwa s[10:11], s77, v2 src0_sel:BYTE_0 src1_sel:DWORD
	s_mov_b64 s[8:9], -1
	s_and_b64 vcc, exec, s[10:11]
	s_cbranch_vccnz .LBB55_369
; %bb.350:
	v_cmp_gt_i16_sdwa s[10:11], s77, v2 src0_sel:BYTE_0 src1_sel:DWORD
	s_and_b64 vcc, exec, s[10:11]
	s_cbranch_vccz .LBB55_358
; %bb.351:
	v_cvt_f32_f64_e32 v2, v[0:1]
	v_and_b32_e32 v3, 0x7fffffff, v2
	s_mov_b32 s8, 0x47800000
	v_cmp_gt_u32_e32 vcc, s8, v3
	v_mov_b32_e32 v6, 0x80
	s_and_saveexec_b64 s[8:9], vcc
	s_cbranch_execz .LBB55_357
; %bb.352:
	s_mov_b32 s10, 0x37ffffff
	v_cmp_lt_u32_e32 vcc, s10, v3
	s_mov_b64 s[10:11], 0
                                        ; implicit-def: $vgpr3
	s_and_saveexec_b64 s[12:13], vcc
	s_xor_b64 s[12:13], exec, s[12:13]
	s_cbranch_execz .LBB55_576
; %bb.353:
	v_bfe_u32 v3, v2, 21, 1
	s_mov_b32 s14, 0x88fffff
	v_add3_u32 v3, v2, v3, s14
	s_mov_b64 s[10:11], exec
	v_lshrrev_b32_e32 v3, 21, v3
	s_or_saveexec_b64 s[12:13], s[12:13]
                                        ; implicit-def: $sgpr14
	s_xor_b64 exec, exec, s[12:13]
	s_cbranch_execnz .LBB55_577
.LBB55_354:
	s_or_b64 exec, exec, s[12:13]
	v_mov_b32_e32 v6, s14
	s_and_saveexec_b64 s[12:13], s[10:11]
.LBB55_355:
	v_lshrrev_b32_e32 v2, 24, v2
	s_movk_i32 s10, 0x80
	v_and_or_b32 v6, v2, s10, v3
.LBB55_356:
	s_or_b64 exec, exec, s[12:13]
.LBB55_357:
	s_or_b64 exec, exec, s[8:9]
	s_mov_b64 s[8:9], 0
	global_store_byte v[4:5], v6, off
.LBB55_358:
	s_and_b64 vcc, exec, s[8:9]
	s_cbranch_vccz .LBB55_368
; %bb.359:
	v_cvt_f32_f64_e32 v2, v[0:1]
	v_and_b32_e32 v6, 0x7fffffff, v2
	s_mov_b32 s8, 0x43f00000
	v_cmp_gt_u32_e32 vcc, s8, v6
                                        ; implicit-def: $vgpr3
	s_and_saveexec_b64 s[8:9], vcc
	s_xor_b64 s[8:9], exec, s[8:9]
	s_cbranch_execz .LBB55_365
; %bb.360:
	s_mov_b32 s10, 0x3c7fffff
	v_cmp_lt_u32_e32 vcc, s10, v6
                                        ; implicit-def: $vgpr3
	s_and_saveexec_b64 s[10:11], vcc
	s_xor_b64 s[10:11], exec, s[10:11]
; %bb.361:
	v_bfe_u32 v3, v2, 20, 1
	s_mov_b32 s12, 0x407ffff
	v_add3_u32 v3, v2, v3, s12
	v_lshrrev_b32_e32 v6, 20, v3
	v_and_b32_e32 v3, 0xff00000, v3
	s_mov_b32 s12, 0x7f00000
	v_mov_b32_e32 v7, 0x7e
	v_cmp_ne_u32_e32 vcc, s12, v3
	v_cndmask_b32_e32 v3, v7, v6, vcc
; %bb.362:
	s_andn2_saveexec_b64 s[10:11], s[10:11]
; %bb.363:
	s_mov_b32 s12, 0x46800000
	v_add_f32_e64 v3, |v2|, s12
; %bb.364:
	s_or_b64 exec, exec, s[10:11]
                                        ; implicit-def: $vgpr6
.LBB55_365:
	s_andn2_saveexec_b64 s[8:9], s[8:9]
; %bb.366:
	s_mov_b32 s10, 0x7f800000
	v_mov_b32_e32 v3, 0x7e
	v_mov_b32_e32 v7, 0x7f
	v_cmp_lt_u32_e32 vcc, s10, v6
	v_cndmask_b32_e32 v3, v3, v7, vcc
; %bb.367:
	s_or_b64 exec, exec, s[8:9]
	v_lshrrev_b32_e32 v2, 24, v2
	s_movk_i32 s8, 0x80
	v_and_or_b32 v2, v2, s8, v3
	global_store_byte v[4:5], v2, off
.LBB55_368:
	s_mov_b64 s[8:9], 0
.LBB55_369:
	s_andn2_b64 vcc, exec, s[8:9]
	s_cbranch_vccnz .LBB55_379
; %bb.370:
	v_cvt_f32_f64_e32 v2, v[0:1]
	v_and_b32_e32 v6, 0x7fffffff, v2
	s_mov_b32 s8, 0x47800000
	v_cmp_gt_u32_e32 vcc, s8, v6
                                        ; implicit-def: $vgpr3
	s_and_saveexec_b64 s[8:9], vcc
	s_xor_b64 s[8:9], exec, s[8:9]
	s_cbranch_execz .LBB55_376
; %bb.371:
	s_mov_b32 s10, 0x387fffff
	v_cmp_lt_u32_e32 vcc, s10, v6
                                        ; implicit-def: $vgpr3
	s_and_saveexec_b64 s[10:11], vcc
	s_xor_b64 s[10:11], exec, s[10:11]
; %bb.372:
	v_bfe_u32 v3, v2, 21, 1
	s_mov_b32 s12, 0x80fffff
	v_add3_u32 v3, v2, v3, s12
	v_lshrrev_b32_e32 v3, 21, v3
; %bb.373:
	s_andn2_saveexec_b64 s[10:11], s[10:11]
; %bb.374:
	s_mov_b32 s12, 0x43000000
	v_add_f32_e64 v3, |v2|, s12
; %bb.375:
	s_or_b64 exec, exec, s[10:11]
                                        ; implicit-def: $vgpr6
.LBB55_376:
	s_andn2_saveexec_b64 s[8:9], s[8:9]
; %bb.377:
	s_mov_b32 s10, 0x7f800000
	v_mov_b32_e32 v3, 0x7c
	v_mov_b32_e32 v7, 0x7f
	v_cmp_lt_u32_e32 vcc, s10, v6
	v_cndmask_b32_e32 v3, v3, v7, vcc
; %bb.378:
	s_or_b64 exec, exec, s[8:9]
	v_lshrrev_b32_e32 v2, 24, v2
	s_movk_i32 s8, 0x80
	v_and_or_b32 v2, v2, s8, v3
	global_store_byte v[4:5], v2, off
.LBB55_379:
	s_mov_b64 s[10:11], 0
	s_mov_b64 s[8:9], -1
.LBB55_380:
	s_andn2_b64 vcc, exec, s[10:11]
	s_cbranch_vccnz .LBB55_388
; %bb.381:
	v_mov_b32_e32 v2, 14
	v_cmp_gt_i16_sdwa s[12:13], s77, v2 src0_sel:BYTE_0 src1_sel:DWORD
	s_mov_b64 s[10:11], -1
	s_and_b64 vcc, exec, s[12:13]
	s_cbranch_vccz .LBB55_385
; %bb.382:
	v_mov_b32_e32 v2, 15
	v_cmp_eq_u16_sdwa s[10:11], s77, v2 src0_sel:BYTE_0 src1_sel:DWORD
	s_mov_b64 s[0:1], -1
	s_and_b64 vcc, exec, s[10:11]
	s_cbranch_vccz .LBB55_384
; %bb.383:
	v_cvt_f32_f64_e32 v2, v[0:1]
	v_bfe_u32 v3, v2, 16, 1
	s_movk_i32 s0, 0x7fff
	v_add3_u32 v3, v2, v3, s0
	v_lshrrev_b32_e32 v3, 16, v3
	v_mov_b32_e32 v6, 0x7fc0
	v_cmp_o_f32_e32 vcc, v2, v2
	v_cndmask_b32_e32 v2, v6, v3, vcc
	global_store_short v[4:5], v2, off
	s_mov_b64 s[8:9], -1
	s_mov_b64 s[0:1], 0
.LBB55_384:
	s_mov_b64 s[10:11], 0
.LBB55_385:
	s_and_b64 vcc, exec, s[10:11]
	s_cbranch_vccz .LBB55_388
; %bb.386:
	v_mov_b32_e32 v2, 11
	v_cmp_eq_u16_sdwa s[10:11], s77, v2 src0_sel:BYTE_0 src1_sel:DWORD
	s_mov_b64 s[0:1], -1
	s_and_b64 vcc, exec, s[10:11]
	s_cbranch_vccz .LBB55_388
; %bb.387:
	v_cmp_neq_f64_e32 vcc, 0, v[0:1]
	s_mov_b64 s[0:1], 0
	v_cndmask_b32_e64 v2, 0, 1, vcc
	s_mov_b64 s[8:9], -1
	global_store_byte v[4:5], v2, off
.LBB55_388:
	s_mov_b64 s[10:11], 0
.LBB55_389:
	s_and_b64 vcc, exec, s[10:11]
	s_cbranch_vccz .LBB55_428
; %bb.390:
	v_mov_b32_e32 v2, 5
	v_cmp_lt_i16_sdwa s[10:11], s77, v2 src0_sel:BYTE_0 src1_sel:DWORD
	s_mov_b64 s[8:9], -1
	s_and_b64 vcc, exec, s[10:11]
	s_cbranch_vccnz .LBB55_411
; %bb.391:
	v_mov_b32_e32 v2, 8
	v_cmp_lt_i16_sdwa s[10:11], s77, v2 src0_sel:BYTE_0 src1_sel:DWORD
	s_and_b64 vcc, exec, s[10:11]
	s_cbranch_vccnz .LBB55_401
; %bb.392:
	v_mov_b32_e32 v2, 9
	v_cmp_lt_i16_sdwa s[10:11], s77, v2 src0_sel:BYTE_0 src1_sel:DWORD
	s_and_b64 vcc, exec, s[10:11]
	s_cbranch_vccnz .LBB55_398
; %bb.393:
	v_cmp_gt_i16_sdwa s[10:11], s77, v2 src0_sel:BYTE_0 src1_sel:DWORD
	s_and_b64 vcc, exec, s[10:11]
	s_cbranch_vccz .LBB55_395
; %bb.394:
	v_mov_b32_e32 v2, 0
	v_mov_b32_e32 v3, v2
	s_mov_b64 s[8:9], 0
	global_store_dwordx4 v[4:5], v[0:3], off
.LBB55_395:
	s_andn2_b64 vcc, exec, s[8:9]
	s_cbranch_vccnz .LBB55_397
; %bb.396:
	v_cvt_f32_f64_e32 v2, v[0:1]
	v_mov_b32_e32 v3, 0
	global_store_dwordx2 v[4:5], v[2:3], off
.LBB55_397:
	s_mov_b64 s[8:9], 0
.LBB55_398:
	s_andn2_b64 vcc, exec, s[8:9]
	s_cbranch_vccnz .LBB55_400
; %bb.399:
	v_cvt_f32_f64_e32 v2, v[0:1]
	v_cvt_f16_f32_e32 v2, v2
	global_store_dword v[4:5], v2, off
.LBB55_400:
	s_mov_b64 s[8:9], 0
.LBB55_401:
	s_andn2_b64 vcc, exec, s[8:9]
	s_cbranch_vccnz .LBB55_410
; %bb.402:
	v_mov_b32_e32 v2, 6
	v_cmp_lt_i16_sdwa s[10:11], s77, v2 src0_sel:BYTE_0 src1_sel:DWORD
	s_mov_b64 s[8:9], -1
	s_and_b64 vcc, exec, s[10:11]
	s_cbranch_vccnz .LBB55_408
; %bb.403:
	v_cmp_gt_i16_sdwa s[10:11], s77, v2 src0_sel:BYTE_0 src1_sel:DWORD
	s_and_b64 vcc, exec, s[10:11]
	s_cbranch_vccz .LBB55_405
; %bb.404:
	s_mov_b64 s[8:9], 0
	global_store_dwordx2 v[4:5], v[0:1], off
.LBB55_405:
	s_andn2_b64 vcc, exec, s[8:9]
	s_cbranch_vccnz .LBB55_407
; %bb.406:
	v_cvt_f32_f64_e32 v2, v[0:1]
	global_store_dword v[4:5], v2, off
.LBB55_407:
	s_mov_b64 s[8:9], 0
.LBB55_408:
	s_andn2_b64 vcc, exec, s[8:9]
	s_cbranch_vccnz .LBB55_410
; %bb.409:
	v_cvt_f32_f64_e32 v2, v[0:1]
	v_cvt_f16_f32_e32 v2, v2
	global_store_short v[4:5], v2, off
.LBB55_410:
	s_mov_b64 s[8:9], 0
.LBB55_411:
	s_andn2_b64 vcc, exec, s[8:9]
	s_cbranch_vccnz .LBB55_427
; %bb.412:
	v_mov_b32_e32 v2, 2
	v_cmp_lt_i16_sdwa s[10:11], s77, v2 src0_sel:BYTE_0 src1_sel:DWORD
	s_mov_b64 s[8:9], -1
	s_and_b64 vcc, exec, s[10:11]
	s_cbranch_vccnz .LBB55_422
; %bb.413:
	v_mov_b32_e32 v2, 3
	v_cmp_lt_i16_sdwa s[10:11], s77, v2 src0_sel:BYTE_0 src1_sel:DWORD
	s_and_b64 vcc, exec, s[10:11]
	s_cbranch_vccnz .LBB55_419
; %bb.414:
	v_cmp_gt_i16_sdwa s[10:11], s77, v2 src0_sel:BYTE_0 src1_sel:DWORD
	s_and_b64 vcc, exec, s[10:11]
	s_cbranch_vccz .LBB55_416
; %bb.415:
	v_trunc_f64_e32 v[2:3], v[0:1]
	s_movk_i32 s8, 0xffe0
	v_ldexp_f64 v[6:7], v[2:3], s8
	v_floor_f64_e32 v[6:7], v[6:7]
	v_fmac_f64_e32 v[2:3], 0xc1f00000, v[6:7]
	v_cvt_i32_f64_e32 v11, v[6:7]
	v_cvt_u32_f64_e32 v10, v[2:3]
	s_mov_b64 s[8:9], 0
	global_store_dwordx2 v[4:5], v[10:11], off
.LBB55_416:
	s_andn2_b64 vcc, exec, s[8:9]
	s_cbranch_vccnz .LBB55_418
; %bb.417:
	v_cvt_i32_f64_e32 v2, v[0:1]
	global_store_dword v[4:5], v2, off
.LBB55_418:
	s_mov_b64 s[8:9], 0
.LBB55_419:
	s_andn2_b64 vcc, exec, s[8:9]
	s_cbranch_vccnz .LBB55_421
; %bb.420:
	v_cvt_i32_f64_e32 v2, v[0:1]
	global_store_short v[4:5], v2, off
.LBB55_421:
	s_mov_b64 s[8:9], 0
.LBB55_422:
	s_andn2_b64 vcc, exec, s[8:9]
	s_cbranch_vccnz .LBB55_427
; %bb.423:
	v_mov_b32_e32 v2, 0
	v_cmp_gt_i16_sdwa s[10:11], s77, v2 src0_sel:BYTE_0 src1_sel:DWORD
	s_mov_b64 s[8:9], -1
	s_and_b64 vcc, exec, s[10:11]
	s_cbranch_vccz .LBB55_425
; %bb.424:
	v_cvt_i32_f64_e32 v2, v[0:1]
	s_mov_b64 s[8:9], 0
	global_store_byte v[4:5], v2, off
.LBB55_425:
	s_andn2_b64 vcc, exec, s[8:9]
	s_cbranch_vccnz .LBB55_427
; %bb.426:
	v_trunc_f64_e32 v[0:1], v[0:1]
	s_movk_i32 s8, 0xffe0
	v_ldexp_f64 v[2:3], v[0:1], s8
	v_floor_f64_e32 v[2:3], v[2:3]
	v_fmac_f64_e32 v[0:1], 0xc1f00000, v[2:3]
	v_cvt_u32_f64_e32 v0, v[0:1]
	global_store_byte v[4:5], v0, off
.LBB55_427:
	s_mov_b64 s[8:9], -1
.LBB55_428:
	s_andn2_b64 vcc, exec, s[8:9]
	s_cbranch_vccnz .LBB55_430
; %bb.429:
	v_add_u32_e32 v12, 0x80, v12
	s_mov_b64 s[8:9], -1
	s_branch .LBB55_543
.LBB55_430:
	s_mov_b64 s[8:9], 0
	s_branch .LBB55_542
.LBB55_431:
	s_mov_b64 s[2:3], -1
                                        ; implicit-def: $vgpr4_vgpr5
.LBB55_432:
	s_mov_b64 s[8:9], 0
.LBB55_433:
	s_and_b64 vcc, exec, s[8:9]
	s_cbranch_vccz .LBB55_437
; %bb.434:
	v_cmp_eq_u16_e32 vcc, 29, v8
	s_cbranch_vccz .LBB55_436
; %bb.435:
	global_load_dwordx2 v[4:5], v[0:1], off
	s_mov_b64 s[0:1], -1
	s_mov_b64 s[2:3], 0
	s_mov_b64 s[8:9], 0
	s_waitcnt vmcnt(0)
	v_cvt_f64_u32_e32 v[6:7], v5
	v_cvt_f64_u32_e32 v[4:5], v4
	v_ldexp_f64 v[6:7], v[6:7], 32
	v_add_f64 v[4:5], v[6:7], v[4:5]
	s_branch .LBB55_438
.LBB55_436:
	s_mov_b64 s[2:3], -1
                                        ; implicit-def: $vgpr4_vgpr5
.LBB55_437:
	s_mov_b64 s[8:9], 0
.LBB55_438:
	s_and_b64 vcc, exec, s[8:9]
	s_cbranch_vccz .LBB55_456
; %bb.439:
	v_cmp_gt_i16_e32 vcc, 27, v8
	s_cbranch_vccnz .LBB55_442
; %bb.440:
	v_cmp_lt_i16_e32 vcc, 27, v8
	s_cbranch_vccz .LBB55_443
; %bb.441:
	global_load_dword v3, v[0:1], off
	s_mov_b64 s[0:1], 0
	s_waitcnt vmcnt(0)
	v_cvt_f64_u32_e32 v[4:5], v3
	s_branch .LBB55_444
.LBB55_442:
	s_mov_b64 s[0:1], -1
                                        ; implicit-def: $vgpr4_vgpr5
	s_branch .LBB55_447
.LBB55_443:
	s_mov_b64 s[0:1], -1
                                        ; implicit-def: $vgpr4_vgpr5
.LBB55_444:
	s_andn2_b64 vcc, exec, s[0:1]
	s_cbranch_vccnz .LBB55_446
; %bb.445:
	global_load_ushort v3, v[0:1], off
	s_waitcnt vmcnt(0)
	v_cvt_f64_u32_e32 v[4:5], v3
.LBB55_446:
	s_mov_b64 s[0:1], 0
.LBB55_447:
	s_andn2_b64 vcc, exec, s[0:1]
	s_cbranch_vccnz .LBB55_455
; %bb.448:
	global_load_ubyte v3, v[0:1], off
	s_movk_i32 s0, 0x7f
                                        ; implicit-def: $sgpr8_sgpr9
	s_waitcnt vmcnt(0)
	v_cmp_lt_i16_e32 vcc, s0, v3
	s_mov_b64 s[0:1], 0
	s_and_saveexec_b64 s[10:11], vcc
	s_xor_b64 s[10:11], exec, s[10:11]
	s_cbranch_execz .LBB55_469
; %bb.449:
	s_movk_i32 s0, 0x80
	v_cmp_eq_u16_e32 vcc, s0, v3
	s_mov_b64 s[12:13], -1
                                        ; implicit-def: $sgpr8_sgpr9
	s_and_saveexec_b64 s[0:1], vcc
; %bb.450:
	s_mov_b32 s9, 0x7ff80000
	s_brev_b32 s8, 4
	s_xor_b64 s[12:13], exec, -1
; %bb.451:
	s_or_b64 exec, exec, s[0:1]
	s_and_b64 s[0:1], s[12:13], exec
	s_or_saveexec_b64 s[10:11], s[10:11]
	v_pk_mov_b32 v[4:5], s[8:9], s[8:9] op_sel:[0,1]
	s_xor_b64 exec, exec, s[10:11]
	s_cbranch_execnz .LBB55_470
.LBB55_452:
	s_or_b64 exec, exec, s[10:11]
	s_and_saveexec_b64 s[8:9], s[0:1]
	s_cbranch_execz .LBB55_454
.LBB55_453:
	v_lshlrev_b32_e32 v4, 24, v3
	v_and_b32_e32 v3, 0xffff, v3
	v_and_b32_e32 v5, 7, v3
	v_ffbh_u32_e32 v7, v5
	v_min_u32_e32 v7, 32, v7
	v_subrev_u32_e32 v9, 28, v7
	v_bfe_u32 v6, v3, 3, 4
	v_lshlrev_b32_e32 v3, v9, v3
	v_sub_u32_e32 v7, 29, v7
	v_and_b32_e32 v3, 7, v3
	v_cmp_eq_u32_e32 vcc, 0, v6
	v_cndmask_b32_e32 v6, v6, v7, vcc
	v_cndmask_b32_e32 v3, v5, v3, vcc
	v_mov_b32_e32 v5, 0x3b800000
	v_lshlrev_b32_e32 v3, 20, v3
	v_and_b32_e32 v4, 0x80000000, v4
	v_lshl_add_u32 v5, v6, 23, v5
	v_or3_b32 v3, v4, v5, v3
	v_cvt_f64_f32_e32 v[4:5], v3
.LBB55_454:
	s_or_b64 exec, exec, s[8:9]
.LBB55_455:
	s_mov_b64 s[0:1], -1
.LBB55_456:
	s_mov_b64 s[8:9], 0
.LBB55_457:
	s_and_b64 vcc, exec, s[8:9]
	s_cbranch_vccz .LBB55_492
; %bb.458:
	v_cmp_lt_i16_e32 vcc, 22, v8
	s_cbranch_vccz .LBB55_468
; %bb.459:
	v_cmp_gt_i16_e32 vcc, 24, v8
	s_cbranch_vccnz .LBB55_471
; %bb.460:
	v_cmp_lt_i16_e32 vcc, 24, v8
	s_cbranch_vccz .LBB55_472
; %bb.461:
	global_load_ubyte v3, v[0:1], off
	s_movk_i32 s0, 0x7f
                                        ; implicit-def: $sgpr8_sgpr9
	s_waitcnt vmcnt(0)
	v_cmp_lt_i16_e32 vcc, s0, v3
	s_mov_b64 s[0:1], 0
	s_and_saveexec_b64 s[10:11], vcc
	s_xor_b64 s[10:11], exec, s[10:11]
	s_cbranch_execz .LBB55_484
; %bb.462:
	s_movk_i32 s0, 0x80
	v_cmp_eq_u16_e32 vcc, s0, v3
	s_mov_b64 s[12:13], -1
                                        ; implicit-def: $sgpr8_sgpr9
	s_and_saveexec_b64 s[0:1], vcc
; %bb.463:
	s_mov_b32 s9, 0x7ff80000
	s_brev_b32 s8, 4
	s_xor_b64 s[12:13], exec, -1
; %bb.464:
	s_or_b64 exec, exec, s[0:1]
	s_and_b64 s[0:1], s[12:13], exec
	s_or_saveexec_b64 s[10:11], s[10:11]
	v_pk_mov_b32 v[4:5], s[8:9], s[8:9] op_sel:[0,1]
	s_xor_b64 exec, exec, s[10:11]
	s_cbranch_execnz .LBB55_485
.LBB55_465:
	s_or_b64 exec, exec, s[10:11]
	s_and_saveexec_b64 s[8:9], s[0:1]
	s_cbranch_execz .LBB55_467
.LBB55_466:
	v_lshlrev_b32_e32 v4, 24, v3
	v_and_b32_e32 v3, 0xffff, v3
	v_and_b32_e32 v5, 3, v3
	v_ffbh_u32_e32 v7, v5
	v_min_u32_e32 v7, 32, v7
	v_subrev_u32_e32 v9, 29, v7
	v_bfe_u32 v6, v3, 2, 5
	v_lshlrev_b32_e32 v3, v9, v3
	v_sub_u32_e32 v7, 30, v7
	v_and_b32_e32 v3, 3, v3
	v_cmp_eq_u32_e32 vcc, 0, v6
	v_cndmask_b32_e32 v6, v6, v7, vcc
	v_cndmask_b32_e32 v3, v5, v3, vcc
	v_mov_b32_e32 v5, 0x37800000
	v_lshlrev_b32_e32 v3, 21, v3
	v_and_b32_e32 v4, 0x80000000, v4
	v_lshl_add_u32 v5, v6, 23, v5
	v_or3_b32 v3, v4, v5, v3
	v_cvt_f64_f32_e32 v[4:5], v3
.LBB55_467:
	s_or_b64 exec, exec, s[8:9]
	s_mov_b64 s[0:1], 0
	s_branch .LBB55_473
.LBB55_468:
	s_mov_b64 s[8:9], -1
                                        ; implicit-def: $vgpr4_vgpr5
	s_branch .LBB55_479
.LBB55_469:
	s_or_saveexec_b64 s[10:11], s[10:11]
	v_pk_mov_b32 v[4:5], s[8:9], s[8:9] op_sel:[0,1]
	s_xor_b64 exec, exec, s[10:11]
	s_cbranch_execz .LBB55_452
.LBB55_470:
	v_cmp_ne_u16_e32 vcc, 0, v3
	s_andn2_b64 s[0:1], s[0:1], exec
	s_and_b64 s[8:9], vcc, exec
	v_pk_mov_b32 v[4:5], 0, 0
	s_or_b64 s[0:1], s[0:1], s[8:9]
	s_or_b64 exec, exec, s[10:11]
	s_and_saveexec_b64 s[8:9], s[0:1]
	s_cbranch_execnz .LBB55_453
	s_branch .LBB55_454
.LBB55_471:
	s_mov_b64 s[0:1], -1
                                        ; implicit-def: $vgpr4_vgpr5
	s_branch .LBB55_476
.LBB55_472:
	s_mov_b64 s[0:1], -1
                                        ; implicit-def: $vgpr4_vgpr5
.LBB55_473:
	s_and_b64 vcc, exec, s[0:1]
	s_cbranch_vccz .LBB55_475
; %bb.474:
	global_load_ubyte v3, v[0:1], off
	s_mov_b32 s0, 0x7f800000
	s_waitcnt vmcnt(0)
	v_lshlrev_b32_e32 v3, 24, v3
	v_and_b32_e32 v4, 0x7f000000, v3
	v_ffbh_u32_e32 v5, v4
	v_min_u32_e32 v5, 32, v5
	v_sub_u32_e64 v5, v5, 4 clamp
	v_lshlrev_b32_e32 v7, v5, v4
	v_lshlrev_b32_e32 v5, 23, v5
	v_lshrrev_b32_e32 v7, 4, v7
	v_add_u32_e32 v6, 0x1000000, v4
	v_sub_u32_e32 v5, v7, v5
	v_ashrrev_i32_e32 v6, 8, v6
	v_add_u32_e32 v5, 0x3c000000, v5
	v_and_or_b32 v5, v6, s0, v5
	v_cmp_ne_u32_e32 vcc, 0, v4
	v_cndmask_b32_e32 v4, 0, v5, vcc
	s_brev_b32 s0, 1
	v_and_or_b32 v3, v3, s0, v4
	v_cvt_f64_f32_e32 v[4:5], v3
.LBB55_475:
	s_mov_b64 s[0:1], 0
.LBB55_476:
	s_andn2_b64 vcc, exec, s[0:1]
	s_cbranch_vccnz .LBB55_478
; %bb.477:
	global_load_ubyte v3, v[0:1], off
	s_movk_i32 s0, 0x7f00
	s_brev_b32 s1, 16
	s_waitcnt vmcnt(0)
	v_lshlrev_b16_e32 v4, 8, v3
	v_lshlrev_b32_e32 v3, 25, v3
	v_lshrrev_b32_e32 v5, 4, v3
	v_and_or_b32 v6, v4, s0, 0.5
	v_or_b32_e32 v5, 0x70000000, v5
	v_add_f32_e32 v6, -0.5, v6
	v_mul_f32_e32 v5, 0x7800000, v5
	v_cmp_gt_u32_e32 vcc, s1, v3
	v_bfe_i32 v4, v4, 0, 16
	v_cndmask_b32_e32 v3, v5, v6, vcc
	s_brev_b32 s0, 1
	v_and_or_b32 v3, v4, s0, v3
	v_cvt_f64_f32_e32 v[4:5], v3
.LBB55_478:
	s_mov_b64 s[8:9], 0
	s_mov_b64 s[0:1], -1
.LBB55_479:
	s_andn2_b64 vcc, exec, s[8:9]
	s_cbranch_vccnz .LBB55_492
; %bb.480:
	v_cmp_lt_i16_e32 vcc, 14, v8
	s_cbranch_vccz .LBB55_483
; %bb.481:
	v_cmp_eq_u16_e32 vcc, 15, v8
	s_cbranch_vccz .LBB55_486
; %bb.482:
	global_load_ushort v3, v[0:1], off
	s_mov_b64 s[0:1], -1
	s_mov_b64 s[2:3], 0
	s_waitcnt vmcnt(0)
	v_lshlrev_b32_e32 v3, 16, v3
	v_cvt_f64_f32_e32 v[4:5], v3
	s_branch .LBB55_487
.LBB55_483:
	s_mov_b64 s[8:9], -1
                                        ; implicit-def: $vgpr4_vgpr5
	s_branch .LBB55_488
.LBB55_484:
	s_or_saveexec_b64 s[10:11], s[10:11]
	v_pk_mov_b32 v[4:5], s[8:9], s[8:9] op_sel:[0,1]
	s_xor_b64 exec, exec, s[10:11]
	s_cbranch_execz .LBB55_465
.LBB55_485:
	v_cmp_ne_u16_e32 vcc, 0, v3
	s_andn2_b64 s[0:1], s[0:1], exec
	s_and_b64 s[8:9], vcc, exec
	v_pk_mov_b32 v[4:5], 0, 0
	s_or_b64 s[0:1], s[0:1], s[8:9]
	s_or_b64 exec, exec, s[10:11]
	s_and_saveexec_b64 s[8:9], s[0:1]
	s_cbranch_execnz .LBB55_466
	s_branch .LBB55_467
.LBB55_486:
	s_mov_b64 s[2:3], -1
                                        ; implicit-def: $vgpr4_vgpr5
.LBB55_487:
	s_mov_b64 s[8:9], 0
.LBB55_488:
	s_and_b64 vcc, exec, s[8:9]
	s_cbranch_vccz .LBB55_492
; %bb.489:
	v_cmp_eq_u16_e32 vcc, 11, v8
	s_cbranch_vccz .LBB55_491
; %bb.490:
	global_load_ubyte v3, v[0:1], off
	s_waitcnt vmcnt(1)
	v_mov_b32_e32 v4, 0x3ff00000
	s_mov_b64 s[0:1], -1
	s_mov_b64 s[2:3], 0
	s_waitcnt vmcnt(0)
	v_cmp_ne_u16_e32 vcc, 0, v3
	v_cndmask_b32_e32 v5, 0, v4, vcc
	s_branch .LBB55_492
.LBB55_491:
	s_mov_b64 s[2:3], -1
                                        ; implicit-def: $vgpr4_vgpr5
.LBB55_492:
	s_branch .LBB55_295
.LBB55_493:
	v_cmp_gt_i16_e32 vcc, 5, v8
	s_cbranch_vccnz .LBB55_498
; %bb.494:
	v_cmp_gt_i16_e32 vcc, 8, v8
	s_cbranch_vccnz .LBB55_499
; %bb.495:
	;; [unrolled: 3-line block ×3, first 2 shown]
	v_cmp_lt_i16_e32 vcc, 9, v8
	s_cbranch_vccz .LBB55_501
; %bb.497:
	global_load_dwordx2 v[4:5], v[0:1], off
	s_mov_b64 s[0:1], 0
	s_branch .LBB55_502
.LBB55_498:
	s_mov_b64 s[0:1], -1
                                        ; implicit-def: $vgpr4_vgpr5
	s_branch .LBB55_520
.LBB55_499:
	s_mov_b64 s[0:1], -1
                                        ; implicit-def: $vgpr4_vgpr5
	s_branch .LBB55_508
.LBB55_500:
	s_mov_b64 s[0:1], -1
                                        ; implicit-def: $vgpr4_vgpr5
	s_branch .LBB55_505
.LBB55_501:
	s_mov_b64 s[0:1], -1
                                        ; implicit-def: $vgpr4_vgpr5
.LBB55_502:
	s_andn2_b64 vcc, exec, s[0:1]
	s_cbranch_vccnz .LBB55_504
; %bb.503:
	global_load_dword v3, v[0:1], off
	s_waitcnt vmcnt(0)
	v_cvt_f64_f32_e32 v[4:5], v3
.LBB55_504:
	s_mov_b64 s[0:1], 0
.LBB55_505:
	s_andn2_b64 vcc, exec, s[0:1]
	s_cbranch_vccnz .LBB55_507
; %bb.506:
	global_load_dword v3, v[0:1], off
	s_waitcnt vmcnt(0)
	v_cvt_f32_f16_e32 v3, v3
	v_cvt_f64_f32_e32 v[4:5], v3
.LBB55_507:
	s_mov_b64 s[0:1], 0
.LBB55_508:
	s_andn2_b64 vcc, exec, s[0:1]
	s_cbranch_vccnz .LBB55_519
; %bb.509:
	v_cmp_gt_i16_e32 vcc, 6, v8
	s_cbranch_vccnz .LBB55_512
; %bb.510:
	v_cmp_lt_i16_e32 vcc, 6, v8
	s_cbranch_vccz .LBB55_513
; %bb.511:
	global_load_dwordx2 v[4:5], v[0:1], off
	s_mov_b64 s[0:1], 0
	s_branch .LBB55_514
.LBB55_512:
	s_mov_b64 s[0:1], -1
                                        ; implicit-def: $vgpr4_vgpr5
	s_branch .LBB55_517
.LBB55_513:
	s_mov_b64 s[0:1], -1
                                        ; implicit-def: $vgpr4_vgpr5
.LBB55_514:
	s_andn2_b64 vcc, exec, s[0:1]
	s_cbranch_vccnz .LBB55_516
; %bb.515:
	global_load_dword v3, v[0:1], off
	s_waitcnt vmcnt(0)
	v_cvt_f64_f32_e32 v[4:5], v3
.LBB55_516:
	s_mov_b64 s[0:1], 0
.LBB55_517:
	s_andn2_b64 vcc, exec, s[0:1]
	s_cbranch_vccnz .LBB55_519
; %bb.518:
	global_load_ushort v3, v[0:1], off
	s_waitcnt vmcnt(0)
	v_cvt_f32_f16_e32 v3, v3
	v_cvt_f64_f32_e32 v[4:5], v3
.LBB55_519:
	s_mov_b64 s[0:1], 0
.LBB55_520:
	s_andn2_b64 vcc, exec, s[0:1]
	s_cbranch_vccnz .LBB55_540
; %bb.521:
	v_cmp_gt_i16_e32 vcc, 2, v8
	s_cbranch_vccnz .LBB55_525
; %bb.522:
	v_cmp_gt_i16_e32 vcc, 3, v8
	s_cbranch_vccnz .LBB55_526
; %bb.523:
	v_cmp_lt_i16_e32 vcc, 3, v8
	s_cbranch_vccz .LBB55_527
; %bb.524:
	global_load_dwordx2 v[4:5], v[0:1], off
	s_mov_b64 s[0:1], 0
	s_waitcnt vmcnt(0)
	v_cvt_f64_i32_e32 v[6:7], v5
	v_cvt_f64_u32_e32 v[4:5], v4
	v_ldexp_f64 v[6:7], v[6:7], 32
	v_add_f64 v[4:5], v[6:7], v[4:5]
	s_branch .LBB55_528
.LBB55_525:
	s_mov_b64 s[0:1], -1
                                        ; implicit-def: $vgpr4_vgpr5
	s_branch .LBB55_534
.LBB55_526:
	s_mov_b64 s[0:1], -1
                                        ; implicit-def: $vgpr4_vgpr5
	s_branch .LBB55_531
.LBB55_527:
	s_mov_b64 s[0:1], -1
                                        ; implicit-def: $vgpr4_vgpr5
.LBB55_528:
	s_andn2_b64 vcc, exec, s[0:1]
	s_cbranch_vccnz .LBB55_530
; %bb.529:
	global_load_dword v3, v[0:1], off
	s_waitcnt vmcnt(0)
	v_cvt_f64_i32_e32 v[4:5], v3
.LBB55_530:
	s_mov_b64 s[0:1], 0
.LBB55_531:
	s_andn2_b64 vcc, exec, s[0:1]
	s_cbranch_vccnz .LBB55_533
; %bb.532:
	global_load_sshort v3, v[0:1], off
	s_waitcnt vmcnt(0)
	v_cvt_f64_i32_e32 v[4:5], v3
.LBB55_533:
	s_mov_b64 s[0:1], 0
.LBB55_534:
	s_andn2_b64 vcc, exec, s[0:1]
	s_cbranch_vccnz .LBB55_540
; %bb.535:
	v_cmp_lt_i16_e32 vcc, 0, v8
	s_cbranch_vccz .LBB55_537
; %bb.536:
	global_load_sbyte v3, v[0:1], off
	s_mov_b64 s[0:1], 0
	s_waitcnt vmcnt(0)
	v_cvt_f64_i32_e32 v[4:5], v3
	s_branch .LBB55_538
.LBB55_537:
	s_mov_b64 s[0:1], -1
                                        ; implicit-def: $vgpr4_vgpr5
.LBB55_538:
	s_andn2_b64 vcc, exec, s[0:1]
	s_cbranch_vccnz .LBB55_540
; %bb.539:
	global_load_ubyte v0, v[0:1], off
	s_waitcnt vmcnt(0)
	v_cvt_f64_u32_e32 v[4:5], v0
.LBB55_540:
	s_branch .LBB55_296
.LBB55_541:
	s_mov_b64 s[8:9], 0
	s_mov_b64 s[0:1], s[54:55]
.LBB55_542:
                                        ; implicit-def: $vgpr12
.LBB55_543:
	s_andn2_b64 s[10:11], s[54:55], exec
	s_and_b64 s[0:1], s[0:1], exec
	s_or_b64 s[62:63], s[10:11], s[0:1]
	s_andn2_b64 s[0:1], s[56:57], exec
	s_and_b64 s[2:3], s[2:3], exec
	s_or_b64 s[60:61], s[0:1], s[2:3]
	s_orn2_b64 s[0:1], s[8:9], exec
.LBB55_544:
	s_or_b64 exec, exec, s[64:65]
	s_mov_b64 s[2:3], 0
	s_mov_b64 s[8:9], 0
	s_mov_b64 s[10:11], 0
                                        ; implicit-def: $vgpr0_vgpr1
                                        ; implicit-def: $vgpr2
                                        ; implicit-def: $vgpr6_vgpr7
	s_and_saveexec_b64 s[64:65], s[0:1]
	s_cbranch_execz .LBB55_921
; %bb.545:
	v_cmp_gt_i32_e32 vcc, s74, v12
	s_mov_b64 s[2:3], -1
	s_mov_b64 s[68:69], s[60:61]
	s_mov_b64 s[70:71], s[62:63]
	s_and_saveexec_b64 s[66:67], vcc
	s_cbranch_execz .LBB55_820
; %bb.546:
	s_andn2_b64 vcc, exec, s[40:41]
	s_cbranch_vccnz .LBB55_552
; %bb.547:
	s_mov_b32 s68, 0
	s_andn2_b64 vcc, exec, s[52:53]
	v_mov_b32_e32 v0, 0
	v_mov_b32_e32 v2, 0
	s_cbranch_vccnz .LBB55_558
; %bb.548:
	s_add_i32 s78, s75, 1
	s_cmp_eq_u32 s76, 2
	s_cbranch_scc1 .LBB55_553
; %bb.549:
	s_and_b32 s68, s78, 28
	s_mov_b32 s69, 0
	v_mov_b32_e32 v2, 0
	s_mov_b64 s[70:71], s[34:35]
	s_mov_b64 s[72:73], s[50:51]
	v_mov_b32_e32 v1, v12
	v_mov_b32_e32 v0, 0
.LBB55_550:                             ; =>This Inner Loop Header: Depth=1
	s_load_dwordx8 s[16:23], s[70:71], 0x4
	s_load_dwordx4 s[0:3], s[70:71], 0x24
	s_load_dwordx8 s[8:15], s[72:73], 0x0
	s_add_u32 s70, s70, 48
	s_addc_u32 s71, s71, 0
	s_waitcnt lgkmcnt(0)
	v_mul_hi_u32 v3, s17, v1
	v_add_u32_e32 v3, v1, v3
	v_lshrrev_b32_e32 v3, s18, v3
	s_waitcnt vmcnt(0)
	v_mul_lo_u32 v4, v3, s16
	v_mul_hi_u32 v5, s20, v3
	v_sub_u32_e32 v1, v1, v4
	v_add_u32_e32 v4, v3, v5
	v_lshrrev_b32_e32 v4, s21, v4
	v_mul_lo_u32 v6, v4, s19
	v_mul_hi_u32 v7, s23, v4
	v_sub_u32_e32 v3, v3, v6
	v_add_u32_e32 v6, v4, v7
	v_mul_lo_u32 v5, v1, s9
	v_mul_lo_u32 v1, v1, s8
	;; [unrolled: 1-line block ×4, first 2 shown]
	v_lshrrev_b32_e32 v6, s0, v6
	v_add3_u32 v2, v1, v2, v3
	v_mul_lo_u32 v1, v6, s22
	v_mul_hi_u32 v3, s2, v6
	v_sub_u32_e32 v1, v4, v1
	v_add_u32_e32 v3, v6, v3
	v_add3_u32 v0, v5, v0, v7
	v_mul_lo_u32 v4, v1, s12
	v_mul_lo_u32 v5, v1, s13
	v_lshrrev_b32_e32 v1, s3, v3
	s_add_i32 s69, s69, 4
	v_mul_lo_u32 v3, v1, s1
	s_add_u32 s72, s72, 32
	v_sub_u32_e32 v3, v6, v3
	s_addc_u32 s73, s73, 0
	v_mul_lo_u32 v6, v3, s14
	v_mul_lo_u32 v3, v3, s15
	s_cmp_eq_u32 s68, s69
	v_add3_u32 v0, v5, v0, v3
	v_add3_u32 v2, v4, v2, v6
	s_cbranch_scc0 .LBB55_550
; %bb.551:
	v_mov_b32_e32 v3, v0
	s_branch .LBB55_554
.LBB55_552:
	s_mov_b64 s[0:1], -1
                                        ; implicit-def: $vgpr0
                                        ; implicit-def: $vgpr2
	s_branch .LBB55_559
.LBB55_553:
	s_mov_b32 s69, s68
	v_pk_mov_b32 v[2:3], s[68:69], s[68:69] op_sel:[0,1]
                                        ; implicit-def: $vgpr0
	v_mov_b32_e32 v1, v12
.LBB55_554:
	s_and_b32 s8, s78, 3
	s_cmp_eq_u32 s8, 0
	s_cbranch_scc1 .LBB55_558
; %bb.555:
	s_lshl_b32 s0, s68, 3
	s_add_u32 s0, s0, s34
	s_addc_u32 s1, s35, 0
	s_add_u32 s0, s0, 0xc4
	s_addc_u32 s1, s1, 0
	s_mul_i32 s2, s68, 12
	s_add_u32 s2, s34, s2
	s_addc_u32 s3, s35, 0
.LBB55_556:                             ; =>This Inner Loop Header: Depth=1
	s_load_dwordx2 s[10:11], s[2:3], 0x4
	s_load_dword s9, s[2:3], 0xc
	s_load_dwordx2 s[12:13], s[0:1], 0x0
	v_mov_b32_e32 v0, v3
	s_add_u32 s2, s2, 12
	s_waitcnt lgkmcnt(0)
	v_mul_hi_u32 v3, s11, v1
	v_add_u32_e32 v3, v1, v3
	v_lshrrev_b32_e32 v3, s9, v3
	s_addc_u32 s3, s3, 0
	s_waitcnt vmcnt(0)
	v_mul_lo_u32 v4, v3, s10
	s_add_u32 s0, s0, 8
	v_sub_u32_e32 v6, v1, v4
	v_mov_b32_e32 v1, v3
	s_addc_u32 s1, s1, 0
	s_add_i32 s8, s8, -1
	v_mad_u64_u32 v[4:5], s[10:11], v6, s13, v[0:1]
	v_mad_u64_u32 v[2:3], s[10:11], v6, s12, v[2:3]
	s_cmp_lg_u32 s8, 0
	v_mov_b32_e32 v3, v4
	s_cbranch_scc1 .LBB55_556
; %bb.557:
	v_mov_b32_e32 v0, v3
.LBB55_558:
	s_mov_b64 s[0:1], 0
.LBB55_559:
	s_andn2_b64 vcc, exec, s[0:1]
	s_cbranch_vccnz .LBB55_562
; %bb.560:
	v_mul_hi_u32 v0, s29, v12
	v_add_u32_e32 v0, v12, v0
	v_lshrrev_b32_e32 v1, s30, v0
	v_mul_lo_u32 v0, v1, s28
	v_sub_u32_e32 v2, v12, v0
	v_mul_lo_u32 v0, v2, s37
	s_andn2_b64 vcc, exec, s[48:49]
	v_mul_lo_u32 v2, v2, s36
	s_cbranch_vccnz .LBB55_562
; %bb.561:
	v_mul_hi_u32 v3, s46, v1
	v_add_u32_e32 v3, v1, v3
	v_lshrrev_b32_e32 v3, s47, v3
	v_mul_lo_u32 v3, v3, s31
	v_sub_u32_e32 v1, v1, v3
	v_mad_u64_u32 v[2:3], s[0:1], v1, s38, v[2:3]
	v_mad_u64_u32 v[0:1], s[0:1], v1, s39, v[0:1]
.LBB55_562:
	v_mov_b32_e32 v1, s27
	v_add_co_u32_e32 v0, vcc, s26, v0
	v_addc_co_u32_e32 v1, vcc, 0, v1, vcc
	v_cmp_gt_i16_e32 vcc, 11, v8
	s_cbranch_vccnz .LBB55_569
; %bb.563:
	v_cmp_lt_i16_e32 vcc, 25, v8
	s_cbranch_vccz .LBB55_570
; %bb.564:
	v_cmp_lt_i16_e32 vcc, 28, v8
	s_cbranch_vccz .LBB55_571
	;; [unrolled: 3-line block ×4, first 2 shown]
; %bb.567:
	v_cmp_eq_u16_e32 vcc, 46, v8
	s_mov_b64 s[8:9], 0
	s_cbranch_vccz .LBB55_578
; %bb.568:
	global_load_dword v3, v[0:1], off
	s_mov_b64 s[0:1], -1
	s_mov_b64 s[2:3], 0
	s_waitcnt vmcnt(0)
	v_lshlrev_b32_e32 v3, 16, v3
	v_cvt_f64_f32_e32 v[4:5], v3
	s_branch .LBB55_579
.LBB55_569:
	s_mov_b64 s[8:9], -1
	s_mov_b64 s[0:1], 0
                                        ; implicit-def: $vgpr4_vgpr5
	s_mov_b64 s[2:3], s[60:61]
	s_branch .LBB55_644
.LBB55_570:
	s_mov_b64 s[8:9], -1
	s_mov_b64 s[0:1], 0
	s_mov_b64 s[2:3], s[60:61]
                                        ; implicit-def: $vgpr4_vgpr5
	s_branch .LBB55_608
.LBB55_571:
	s_mov_b64 s[8:9], -1
	s_mov_b64 s[0:1], 0
	s_mov_b64 s[2:3], s[60:61]
                                        ; implicit-def: $vgpr4_vgpr5
	s_branch .LBB55_589
.LBB55_572:
	s_mov_b64 s[8:9], -1
	s_mov_b64 s[0:1], 0
	s_mov_b64 s[2:3], s[60:61]
                                        ; implicit-def: $vgpr4_vgpr5
	s_branch .LBB55_584
.LBB55_573:
	s_or_saveexec_b64 s[12:13], s[12:13]
                                        ; implicit-def: $sgpr14
	s_xor_b64 exec, exec, s[12:13]
	s_cbranch_execz .LBB55_341
.LBB55_574:
	s_mov_b32 s14, 0x46000000
	v_add_f32_e64 v3, |v2|, s14
	v_and_b32_e32 v3, 0xff, v3
	v_cmp_ne_u32_e32 vcc, 0, v3
	s_andn2_b64 s[10:11], s[10:11], exec
	s_and_b64 s[16:17], vcc, exec
	s_mov_b32 s14, 0
	s_or_b64 s[10:11], s[10:11], s[16:17]
	s_or_b64 exec, exec, s[12:13]
	v_mov_b32_e32 v6, s14
	s_and_saveexec_b64 s[12:13], s[10:11]
	s_cbranch_execnz .LBB55_342
	s_branch .LBB55_343
.LBB55_575:
	s_mov_b64 s[8:9], -1
	s_mov_b64 s[0:1], 0
	s_mov_b64 s[2:3], s[60:61]
                                        ; implicit-def: $vgpr4_vgpr5
	s_branch .LBB55_579
.LBB55_576:
	s_or_saveexec_b64 s[12:13], s[12:13]
                                        ; implicit-def: $sgpr14
	s_xor_b64 exec, exec, s[12:13]
	s_cbranch_execz .LBB55_354
.LBB55_577:
	s_mov_b32 s14, 0x42800000
	v_add_f32_e64 v3, |v2|, s14
	v_and_b32_e32 v3, 0xff, v3
	v_cmp_ne_u32_e32 vcc, 0, v3
	s_andn2_b64 s[10:11], s[10:11], exec
	s_and_b64 s[16:17], vcc, exec
	s_mov_b32 s14, 0
	s_or_b64 s[10:11], s[10:11], s[16:17]
	s_or_b64 exec, exec, s[12:13]
	v_mov_b32_e32 v6, s14
	s_and_saveexec_b64 s[12:13], s[10:11]
	s_cbranch_execnz .LBB55_355
	s_branch .LBB55_356
.LBB55_578:
	s_mov_b64 s[2:3], -1
                                        ; implicit-def: $vgpr4_vgpr5
	s_mov_b64 s[0:1], 0
.LBB55_579:
	s_and_b64 vcc, exec, s[8:9]
	s_cbranch_vccz .LBB55_583
; %bb.580:
	v_cmp_eq_u16_e32 vcc, 44, v8
	s_cbranch_vccz .LBB55_582
; %bb.581:
	global_load_ubyte v3, v[0:1], off
	s_movk_i32 s2, 0xff
	v_mov_b32_e32 v6, 0x7ff80000
	v_bfrev_b32_e32 v7, 28
	s_mov_b64 s[0:1], -1
	s_waitcnt vmcnt(0)
	v_lshlrev_b32_e32 v4, 23, v3
	v_cvt_f64_f32_e32 v[4:5], v4
	v_cmp_ne_u32_e32 vcc, s2, v3
	v_cndmask_b32_e32 v4, v6, v5, vcc
	v_cmp_ne_u32_e32 vcc, 0, v3
	v_cndmask_b32_e32 v5, v7, v4, vcc
	s_mov_b64 s[2:3], 0
	s_branch .LBB55_583
.LBB55_582:
	s_mov_b64 s[2:3], -1
                                        ; implicit-def: $vgpr4_vgpr5
.LBB55_583:
	s_mov_b64 s[8:9], 0
.LBB55_584:
	s_and_b64 vcc, exec, s[8:9]
	s_cbranch_vccz .LBB55_588
; %bb.585:
	v_cmp_eq_u16_e32 vcc, 29, v8
	s_cbranch_vccz .LBB55_587
; %bb.586:
	global_load_dwordx2 v[4:5], v[0:1], off
	s_mov_b64 s[0:1], -1
	s_mov_b64 s[2:3], 0
	s_mov_b64 s[8:9], 0
	s_waitcnt vmcnt(0)
	v_cvt_f64_u32_e32 v[6:7], v5
	v_cvt_f64_u32_e32 v[4:5], v4
	v_ldexp_f64 v[6:7], v[6:7], 32
	v_add_f64 v[4:5], v[6:7], v[4:5]
	s_branch .LBB55_589
.LBB55_587:
	s_mov_b64 s[2:3], -1
                                        ; implicit-def: $vgpr4_vgpr5
.LBB55_588:
	s_mov_b64 s[8:9], 0
.LBB55_589:
	s_and_b64 vcc, exec, s[8:9]
	s_cbranch_vccz .LBB55_607
; %bb.590:
	v_cmp_gt_i16_e32 vcc, 27, v8
	s_cbranch_vccnz .LBB55_593
; %bb.591:
	v_cmp_lt_i16_e32 vcc, 27, v8
	s_cbranch_vccz .LBB55_594
; %bb.592:
	global_load_dword v3, v[0:1], off
	s_mov_b64 s[0:1], 0
	s_waitcnt vmcnt(0)
	v_cvt_f64_u32_e32 v[4:5], v3
	s_branch .LBB55_595
.LBB55_593:
	s_mov_b64 s[0:1], -1
                                        ; implicit-def: $vgpr4_vgpr5
	s_branch .LBB55_598
.LBB55_594:
	s_mov_b64 s[0:1], -1
                                        ; implicit-def: $vgpr4_vgpr5
.LBB55_595:
	s_andn2_b64 vcc, exec, s[0:1]
	s_cbranch_vccnz .LBB55_597
; %bb.596:
	global_load_ushort v3, v[0:1], off
	s_waitcnt vmcnt(0)
	v_cvt_f64_u32_e32 v[4:5], v3
.LBB55_597:
	s_mov_b64 s[0:1], 0
.LBB55_598:
	s_andn2_b64 vcc, exec, s[0:1]
	s_cbranch_vccnz .LBB55_606
; %bb.599:
	global_load_ubyte v3, v[0:1], off
	s_movk_i32 s0, 0x7f
                                        ; implicit-def: $sgpr8_sgpr9
	s_waitcnt vmcnt(0)
	v_cmp_lt_i16_e32 vcc, s0, v3
	s_mov_b64 s[0:1], 0
	s_and_saveexec_b64 s[10:11], vcc
	s_xor_b64 s[10:11], exec, s[10:11]
	s_cbranch_execz .LBB55_620
; %bb.600:
	s_movk_i32 s0, 0x80
	v_cmp_eq_u16_e32 vcc, s0, v3
	s_mov_b64 s[12:13], -1
                                        ; implicit-def: $sgpr8_sgpr9
	s_and_saveexec_b64 s[0:1], vcc
; %bb.601:
	s_mov_b32 s9, 0x7ff80000
	s_brev_b32 s8, 4
	s_xor_b64 s[12:13], exec, -1
; %bb.602:
	s_or_b64 exec, exec, s[0:1]
	s_and_b64 s[0:1], s[12:13], exec
	s_or_saveexec_b64 s[10:11], s[10:11]
	v_pk_mov_b32 v[4:5], s[8:9], s[8:9] op_sel:[0,1]
	s_xor_b64 exec, exec, s[10:11]
	s_cbranch_execnz .LBB55_621
.LBB55_603:
	s_or_b64 exec, exec, s[10:11]
	s_and_saveexec_b64 s[8:9], s[0:1]
	s_cbranch_execz .LBB55_605
.LBB55_604:
	v_lshlrev_b32_e32 v4, 24, v3
	v_and_b32_e32 v3, 0xffff, v3
	v_and_b32_e32 v5, 7, v3
	v_ffbh_u32_e32 v7, v5
	v_min_u32_e32 v7, 32, v7
	v_subrev_u32_e32 v9, 28, v7
	v_bfe_u32 v6, v3, 3, 4
	v_lshlrev_b32_e32 v3, v9, v3
	v_sub_u32_e32 v7, 29, v7
	v_and_b32_e32 v3, 7, v3
	v_cmp_eq_u32_e32 vcc, 0, v6
	v_cndmask_b32_e32 v6, v6, v7, vcc
	v_cndmask_b32_e32 v3, v5, v3, vcc
	v_mov_b32_e32 v5, 0x3b800000
	v_lshlrev_b32_e32 v3, 20, v3
	v_and_b32_e32 v4, 0x80000000, v4
	v_lshl_add_u32 v5, v6, 23, v5
	v_or3_b32 v3, v4, v5, v3
	v_cvt_f64_f32_e32 v[4:5], v3
.LBB55_605:
	s_or_b64 exec, exec, s[8:9]
.LBB55_606:
	s_mov_b64 s[0:1], -1
.LBB55_607:
	s_mov_b64 s[8:9], 0
.LBB55_608:
	s_and_b64 vcc, exec, s[8:9]
	s_cbranch_vccz .LBB55_643
; %bb.609:
	v_cmp_lt_i16_e32 vcc, 22, v8
	s_cbranch_vccz .LBB55_619
; %bb.610:
	v_cmp_gt_i16_e32 vcc, 24, v8
	s_cbranch_vccnz .LBB55_622
; %bb.611:
	v_cmp_lt_i16_e32 vcc, 24, v8
	s_cbranch_vccz .LBB55_623
; %bb.612:
	global_load_ubyte v3, v[0:1], off
	s_movk_i32 s0, 0x7f
                                        ; implicit-def: $sgpr8_sgpr9
	s_waitcnt vmcnt(0)
	v_cmp_lt_i16_e32 vcc, s0, v3
	s_mov_b64 s[0:1], 0
	s_and_saveexec_b64 s[10:11], vcc
	s_xor_b64 s[10:11], exec, s[10:11]
	s_cbranch_execz .LBB55_635
; %bb.613:
	s_movk_i32 s0, 0x80
	v_cmp_eq_u16_e32 vcc, s0, v3
	s_mov_b64 s[12:13], -1
                                        ; implicit-def: $sgpr8_sgpr9
	s_and_saveexec_b64 s[0:1], vcc
; %bb.614:
	s_mov_b32 s9, 0x7ff80000
	s_brev_b32 s8, 4
	s_xor_b64 s[12:13], exec, -1
; %bb.615:
	s_or_b64 exec, exec, s[0:1]
	s_and_b64 s[0:1], s[12:13], exec
	s_or_saveexec_b64 s[10:11], s[10:11]
	v_pk_mov_b32 v[4:5], s[8:9], s[8:9] op_sel:[0,1]
	s_xor_b64 exec, exec, s[10:11]
	s_cbranch_execnz .LBB55_636
.LBB55_616:
	s_or_b64 exec, exec, s[10:11]
	s_and_saveexec_b64 s[8:9], s[0:1]
	s_cbranch_execz .LBB55_618
.LBB55_617:
	v_lshlrev_b32_e32 v4, 24, v3
	v_and_b32_e32 v3, 0xffff, v3
	v_and_b32_e32 v5, 3, v3
	v_ffbh_u32_e32 v7, v5
	v_min_u32_e32 v7, 32, v7
	v_subrev_u32_e32 v9, 29, v7
	v_bfe_u32 v6, v3, 2, 5
	v_lshlrev_b32_e32 v3, v9, v3
	v_sub_u32_e32 v7, 30, v7
	v_and_b32_e32 v3, 3, v3
	v_cmp_eq_u32_e32 vcc, 0, v6
	v_cndmask_b32_e32 v6, v6, v7, vcc
	v_cndmask_b32_e32 v3, v5, v3, vcc
	v_mov_b32_e32 v5, 0x37800000
	v_lshlrev_b32_e32 v3, 21, v3
	v_and_b32_e32 v4, 0x80000000, v4
	v_lshl_add_u32 v5, v6, 23, v5
	v_or3_b32 v3, v4, v5, v3
	v_cvt_f64_f32_e32 v[4:5], v3
.LBB55_618:
	s_or_b64 exec, exec, s[8:9]
	s_mov_b64 s[0:1], 0
	s_branch .LBB55_624
.LBB55_619:
	s_mov_b64 s[8:9], -1
                                        ; implicit-def: $vgpr4_vgpr5
	s_branch .LBB55_630
.LBB55_620:
	s_or_saveexec_b64 s[10:11], s[10:11]
	v_pk_mov_b32 v[4:5], s[8:9], s[8:9] op_sel:[0,1]
	s_xor_b64 exec, exec, s[10:11]
	s_cbranch_execz .LBB55_603
.LBB55_621:
	v_cmp_ne_u16_e32 vcc, 0, v3
	s_andn2_b64 s[0:1], s[0:1], exec
	s_and_b64 s[8:9], vcc, exec
	v_pk_mov_b32 v[4:5], 0, 0
	s_or_b64 s[0:1], s[0:1], s[8:9]
	s_or_b64 exec, exec, s[10:11]
	s_and_saveexec_b64 s[8:9], s[0:1]
	s_cbranch_execnz .LBB55_604
	s_branch .LBB55_605
.LBB55_622:
	s_mov_b64 s[0:1], -1
                                        ; implicit-def: $vgpr4_vgpr5
	s_branch .LBB55_627
.LBB55_623:
	s_mov_b64 s[0:1], -1
                                        ; implicit-def: $vgpr4_vgpr5
.LBB55_624:
	s_and_b64 vcc, exec, s[0:1]
	s_cbranch_vccz .LBB55_626
; %bb.625:
	global_load_ubyte v3, v[0:1], off
	s_mov_b32 s0, 0x7f800000
	s_waitcnt vmcnt(0)
	v_lshlrev_b32_e32 v3, 24, v3
	v_and_b32_e32 v4, 0x7f000000, v3
	v_ffbh_u32_e32 v5, v4
	v_min_u32_e32 v5, 32, v5
	v_sub_u32_e64 v5, v5, 4 clamp
	v_lshlrev_b32_e32 v7, v5, v4
	v_lshlrev_b32_e32 v5, 23, v5
	v_lshrrev_b32_e32 v7, 4, v7
	v_add_u32_e32 v6, 0x1000000, v4
	v_sub_u32_e32 v5, v7, v5
	v_ashrrev_i32_e32 v6, 8, v6
	v_add_u32_e32 v5, 0x3c000000, v5
	v_and_or_b32 v5, v6, s0, v5
	v_cmp_ne_u32_e32 vcc, 0, v4
	v_cndmask_b32_e32 v4, 0, v5, vcc
	s_brev_b32 s0, 1
	v_and_or_b32 v3, v3, s0, v4
	v_cvt_f64_f32_e32 v[4:5], v3
.LBB55_626:
	s_mov_b64 s[0:1], 0
.LBB55_627:
	s_andn2_b64 vcc, exec, s[0:1]
	s_cbranch_vccnz .LBB55_629
; %bb.628:
	global_load_ubyte v3, v[0:1], off
	s_movk_i32 s0, 0x7f00
	s_brev_b32 s1, 16
	s_waitcnt vmcnt(0)
	v_lshlrev_b16_e32 v4, 8, v3
	v_lshlrev_b32_e32 v3, 25, v3
	v_lshrrev_b32_e32 v5, 4, v3
	v_and_or_b32 v6, v4, s0, 0.5
	v_or_b32_e32 v5, 0x70000000, v5
	v_add_f32_e32 v6, -0.5, v6
	v_mul_f32_e32 v5, 0x7800000, v5
	v_cmp_gt_u32_e32 vcc, s1, v3
	v_bfe_i32 v4, v4, 0, 16
	v_cndmask_b32_e32 v3, v5, v6, vcc
	s_brev_b32 s0, 1
	v_and_or_b32 v3, v4, s0, v3
	v_cvt_f64_f32_e32 v[4:5], v3
.LBB55_629:
	s_mov_b64 s[8:9], 0
	s_mov_b64 s[0:1], -1
.LBB55_630:
	s_andn2_b64 vcc, exec, s[8:9]
	s_cbranch_vccnz .LBB55_643
; %bb.631:
	v_cmp_lt_i16_e32 vcc, 14, v8
	s_cbranch_vccz .LBB55_634
; %bb.632:
	v_cmp_eq_u16_e32 vcc, 15, v8
	s_cbranch_vccz .LBB55_637
; %bb.633:
	global_load_ushort v3, v[0:1], off
	s_mov_b64 s[0:1], -1
	s_mov_b64 s[2:3], 0
	s_waitcnt vmcnt(0)
	v_lshlrev_b32_e32 v3, 16, v3
	v_cvt_f64_f32_e32 v[4:5], v3
	s_branch .LBB55_638
.LBB55_634:
	s_mov_b64 s[8:9], -1
                                        ; implicit-def: $vgpr4_vgpr5
	s_branch .LBB55_639
.LBB55_635:
	s_or_saveexec_b64 s[10:11], s[10:11]
	v_pk_mov_b32 v[4:5], s[8:9], s[8:9] op_sel:[0,1]
	s_xor_b64 exec, exec, s[10:11]
	s_cbranch_execz .LBB55_616
.LBB55_636:
	v_cmp_ne_u16_e32 vcc, 0, v3
	s_andn2_b64 s[0:1], s[0:1], exec
	s_and_b64 s[8:9], vcc, exec
	v_pk_mov_b32 v[4:5], 0, 0
	s_or_b64 s[0:1], s[0:1], s[8:9]
	s_or_b64 exec, exec, s[10:11]
	s_and_saveexec_b64 s[8:9], s[0:1]
	s_cbranch_execnz .LBB55_617
	s_branch .LBB55_618
.LBB55_637:
	s_mov_b64 s[2:3], -1
                                        ; implicit-def: $vgpr4_vgpr5
.LBB55_638:
	s_mov_b64 s[8:9], 0
.LBB55_639:
	s_and_b64 vcc, exec, s[8:9]
	s_cbranch_vccz .LBB55_643
; %bb.640:
	v_cmp_eq_u16_e32 vcc, 11, v8
	s_cbranch_vccz .LBB55_642
; %bb.641:
	global_load_ubyte v3, v[0:1], off
	s_waitcnt vmcnt(1)
	v_mov_b32_e32 v4, 0x3ff00000
	s_mov_b64 s[0:1], -1
	s_mov_b64 s[2:3], 0
	s_waitcnt vmcnt(0)
	v_cmp_ne_u16_e32 vcc, 0, v3
	v_cndmask_b32_e32 v5, 0, v4, vcc
	s_branch .LBB55_643
.LBB55_642:
	s_mov_b64 s[2:3], -1
                                        ; implicit-def: $vgpr4_vgpr5
.LBB55_643:
	s_mov_b64 s[8:9], 0
.LBB55_644:
	s_and_b64 vcc, exec, s[8:9]
	s_cbranch_vccz .LBB55_693
; %bb.645:
	v_cmp_gt_i16_e32 vcc, 5, v8
	s_cbranch_vccnz .LBB55_650
; %bb.646:
	v_cmp_gt_i16_e32 vcc, 8, v8
	s_cbranch_vccnz .LBB55_651
	;; [unrolled: 3-line block ×3, first 2 shown]
; %bb.648:
	v_cmp_lt_i16_e32 vcc, 9, v8
	s_cbranch_vccz .LBB55_653
; %bb.649:
	global_load_dwordx2 v[4:5], v[0:1], off
	s_mov_b64 s[0:1], 0
	s_branch .LBB55_654
.LBB55_650:
	s_mov_b64 s[0:1], -1
                                        ; implicit-def: $vgpr4_vgpr5
	s_branch .LBB55_672
.LBB55_651:
	s_mov_b64 s[0:1], -1
                                        ; implicit-def: $vgpr4_vgpr5
	s_branch .LBB55_660
.LBB55_652:
	s_mov_b64 s[0:1], -1
                                        ; implicit-def: $vgpr4_vgpr5
	s_branch .LBB55_657
.LBB55_653:
	s_mov_b64 s[0:1], -1
                                        ; implicit-def: $vgpr4_vgpr5
.LBB55_654:
	s_andn2_b64 vcc, exec, s[0:1]
	s_cbranch_vccnz .LBB55_656
; %bb.655:
	global_load_dword v3, v[0:1], off
	s_waitcnt vmcnt(0)
	v_cvt_f64_f32_e32 v[4:5], v3
.LBB55_656:
	s_mov_b64 s[0:1], 0
.LBB55_657:
	s_andn2_b64 vcc, exec, s[0:1]
	s_cbranch_vccnz .LBB55_659
; %bb.658:
	global_load_dword v3, v[0:1], off
	s_waitcnt vmcnt(0)
	v_cvt_f32_f16_e32 v3, v3
	v_cvt_f64_f32_e32 v[4:5], v3
.LBB55_659:
	s_mov_b64 s[0:1], 0
.LBB55_660:
	s_andn2_b64 vcc, exec, s[0:1]
	s_cbranch_vccnz .LBB55_671
; %bb.661:
	v_cmp_gt_i16_e32 vcc, 6, v8
	s_cbranch_vccnz .LBB55_664
; %bb.662:
	v_cmp_lt_i16_e32 vcc, 6, v8
	s_cbranch_vccz .LBB55_665
; %bb.663:
	global_load_dwordx2 v[4:5], v[0:1], off
	s_mov_b64 s[0:1], 0
	s_branch .LBB55_666
.LBB55_664:
	s_mov_b64 s[0:1], -1
                                        ; implicit-def: $vgpr4_vgpr5
	s_branch .LBB55_669
.LBB55_665:
	s_mov_b64 s[0:1], -1
                                        ; implicit-def: $vgpr4_vgpr5
.LBB55_666:
	s_andn2_b64 vcc, exec, s[0:1]
	s_cbranch_vccnz .LBB55_668
; %bb.667:
	global_load_dword v3, v[0:1], off
	s_waitcnt vmcnt(0)
	v_cvt_f64_f32_e32 v[4:5], v3
.LBB55_668:
	s_mov_b64 s[0:1], 0
.LBB55_669:
	s_andn2_b64 vcc, exec, s[0:1]
	s_cbranch_vccnz .LBB55_671
; %bb.670:
	global_load_ushort v3, v[0:1], off
	s_waitcnt vmcnt(0)
	v_cvt_f32_f16_e32 v3, v3
	v_cvt_f64_f32_e32 v[4:5], v3
.LBB55_671:
	s_mov_b64 s[0:1], 0
.LBB55_672:
	s_andn2_b64 vcc, exec, s[0:1]
	s_cbranch_vccnz .LBB55_692
; %bb.673:
	v_cmp_gt_i16_e32 vcc, 2, v8
	s_cbranch_vccnz .LBB55_677
; %bb.674:
	v_cmp_gt_i16_e32 vcc, 3, v8
	s_cbranch_vccnz .LBB55_678
; %bb.675:
	v_cmp_lt_i16_e32 vcc, 3, v8
	s_cbranch_vccz .LBB55_679
; %bb.676:
	global_load_dwordx2 v[4:5], v[0:1], off
	s_mov_b64 s[0:1], 0
	s_waitcnt vmcnt(0)
	v_cvt_f64_i32_e32 v[6:7], v5
	v_cvt_f64_u32_e32 v[4:5], v4
	v_ldexp_f64 v[6:7], v[6:7], 32
	v_add_f64 v[4:5], v[6:7], v[4:5]
	s_branch .LBB55_680
.LBB55_677:
	s_mov_b64 s[0:1], -1
                                        ; implicit-def: $vgpr4_vgpr5
	s_branch .LBB55_686
.LBB55_678:
	s_mov_b64 s[0:1], -1
                                        ; implicit-def: $vgpr4_vgpr5
	s_branch .LBB55_683
.LBB55_679:
	s_mov_b64 s[0:1], -1
                                        ; implicit-def: $vgpr4_vgpr5
.LBB55_680:
	s_andn2_b64 vcc, exec, s[0:1]
	s_cbranch_vccnz .LBB55_682
; %bb.681:
	global_load_dword v3, v[0:1], off
	s_waitcnt vmcnt(0)
	v_cvt_f64_i32_e32 v[4:5], v3
.LBB55_682:
	s_mov_b64 s[0:1], 0
.LBB55_683:
	s_andn2_b64 vcc, exec, s[0:1]
	s_cbranch_vccnz .LBB55_685
; %bb.684:
	global_load_sshort v3, v[0:1], off
	s_waitcnt vmcnt(0)
	v_cvt_f64_i32_e32 v[4:5], v3
.LBB55_685:
	s_mov_b64 s[0:1], 0
.LBB55_686:
	s_andn2_b64 vcc, exec, s[0:1]
	s_cbranch_vccnz .LBB55_692
; %bb.687:
	v_cmp_lt_i16_e32 vcc, 0, v8
	s_cbranch_vccz .LBB55_689
; %bb.688:
	global_load_sbyte v3, v[0:1], off
	s_mov_b64 s[0:1], 0
	s_waitcnt vmcnt(0)
	v_cvt_f64_i32_e32 v[4:5], v3
	s_branch .LBB55_690
.LBB55_689:
	s_mov_b64 s[0:1], -1
                                        ; implicit-def: $vgpr4_vgpr5
.LBB55_690:
	s_andn2_b64 vcc, exec, s[0:1]
	s_cbranch_vccnz .LBB55_692
; %bb.691:
	global_load_ubyte v0, v[0:1], off
	s_waitcnt vmcnt(0)
	v_cvt_f64_u32_e32 v[4:5], v0
.LBB55_692:
	s_mov_b64 s[0:1], -1
.LBB55_693:
	s_andn2_b64 vcc, exec, s[0:1]
	s_cbranch_vccnz .LBB55_701
; %bb.694:
	s_brev_b32 s0, -2
	v_mov_b32_e32 v0, s45
	v_mov_b32_e32 v3, s25
	s_waitcnt vmcnt(0)
	v_add_co_u32_e32 v4, vcc, s24, v2
	v_mov_b32_e32 v2, 11
	v_bfi_b32 v1, s0, v0, v5
	v_addc_co_u32_e32 v5, vcc, 0, v3, vcc
	v_cmp_lt_i16_sdwa s[0:1], s77, v2 src0_sel:BYTE_0 src1_sel:DWORD
	v_mov_b32_e32 v0, s44
	s_and_b64 vcc, exec, s[0:1]
	s_cbranch_vccnz .LBB55_702
; %bb.695:
	v_mov_b32_e32 v2, 25
	v_cmp_gt_i16_sdwa s[0:1], s77, v2 src0_sel:BYTE_0 src1_sel:DWORD
	s_and_b64 vcc, exec, s[0:1]
	s_cbranch_vccz .LBB55_703
; %bb.696:
	v_mov_b32_e32 v2, 28
	v_cmp_gt_i16_sdwa s[0:1], s77, v2 src0_sel:BYTE_0 src1_sel:DWORD
	s_and_b64 vcc, exec, s[0:1]
	s_cbranch_vccz .LBB55_704
	;; [unrolled: 5-line block ×4, first 2 shown]
; %bb.699:
	v_mov_b32_e32 v2, 46
	v_cmp_eq_u16_sdwa s[8:9], s77, v2 src0_sel:BYTE_0 src1_sel:DWORD
	s_mov_b64 s[10:11], 0
	s_mov_b64 s[0:1], -1
	s_and_b64 vcc, exec, s[8:9]
	s_mov_b64 s[8:9], 0
	s_cbranch_vccz .LBB55_707
; %bb.700:
	v_cvt_f32_f64_e32 v2, v[0:1]
	v_bfe_u32 v3, v2, 16, 1
	s_movk_i32 s0, 0x7fff
	v_add3_u32 v3, v2, v3, s0
	v_lshrrev_b32_e32 v3, 16, v3
	v_mov_b32_e32 v6, 0x7fc0
	v_cmp_o_f32_e32 vcc, v2, v2
	v_cndmask_b32_e32 v2, v6, v3, vcc
	global_store_dword v[4:5], v2, off
	s_mov_b64 s[8:9], -1
	s_mov_b64 s[0:1], 0
	s_branch .LBB55_707
.LBB55_701:
	s_mov_b64 s[8:9], 0
	s_mov_b64 s[0:1], s[62:63]
	s_branch .LBB55_818
.LBB55_702:
	s_mov_b64 s[10:11], -1
	s_mov_b64 s[8:9], 0
	s_mov_b64 s[0:1], s[62:63]
	s_branch .LBB55_776
.LBB55_703:
	s_mov_b64 s[10:11], -1
	s_mov_b64 s[8:9], 0
	s_mov_b64 s[0:1], s[62:63]
	s_branch .LBB55_734
.LBB55_704:
	s_mov_b64 s[10:11], -1
	s_mov_b64 s[8:9], 0
	s_mov_b64 s[0:1], s[62:63]
	s_branch .LBB55_717
.LBB55_705:
	s_mov_b64 s[10:11], -1
	s_mov_b64 s[8:9], 0
	s_mov_b64 s[0:1], s[62:63]
	s_branch .LBB55_713
.LBB55_706:
	s_mov_b64 s[10:11], -1
	s_mov_b64 s[8:9], 0
	s_mov_b64 s[0:1], s[62:63]
.LBB55_707:
	s_and_b64 vcc, exec, s[10:11]
	s_cbranch_vccz .LBB55_712
; %bb.708:
	v_mov_b32_e32 v2, 44
	v_cmp_eq_u16_sdwa s[10:11], s77, v2 src0_sel:BYTE_0 src1_sel:DWORD
	s_mov_b64 s[0:1], -1
	s_and_b64 vcc, exec, s[10:11]
	s_cbranch_vccz .LBB55_712
; %bb.709:
	v_cvt_f32_f64_e32 v2, v[0:1]
	v_bfe_u32 v3, v2, 23, 8
	s_movk_i32 s0, 0xff
	v_cmp_ne_u32_e32 vcc, s0, v3
	v_mov_b32_e32 v6, 0xff
	s_and_saveexec_b64 s[8:9], vcc
; %bb.710:
	s_mov_b32 s0, 0x3fffff
	v_lshrrev_b32_e32 v6, 23, v2
	v_and_b32_e32 v7, 0x400000, v2
	v_and_or_b32 v2, v2, s0, v3
	v_cmp_ne_u32_e32 vcc, 0, v7
	v_cmp_ne_u32_e64 s[0:1], 0, v2
	s_and_b64 s[0:1], vcc, s[0:1]
	v_cndmask_b32_e64 v2, 0, 1, s[0:1]
	v_add_u32_e32 v6, v6, v2
; %bb.711:
	s_or_b64 exec, exec, s[8:9]
	s_mov_b64 s[8:9], -1
	s_mov_b64 s[0:1], 0
	global_store_byte v[4:5], v6, off
.LBB55_712:
	s_mov_b64 s[10:11], 0
.LBB55_713:
	s_and_b64 vcc, exec, s[10:11]
	s_cbranch_vccz .LBB55_716
; %bb.714:
	v_mov_b32_e32 v2, 29
	v_cmp_eq_u16_sdwa s[10:11], s77, v2 src0_sel:BYTE_0 src1_sel:DWORD
	s_mov_b64 s[0:1], -1
	s_and_b64 vcc, exec, s[10:11]
	s_cbranch_vccz .LBB55_716
; %bb.715:
	v_trunc_f64_e32 v[2:3], v[0:1]
	s_movk_i32 s0, 0xffe0
	v_ldexp_f64 v[6:7], v[2:3], s0
	v_floor_f64_e32 v[6:7], v[6:7]
	v_fmac_f64_e32 v[2:3], 0xc1f00000, v[6:7]
	v_cvt_u32_f64_e32 v11, v[6:7]
	v_cvt_u32_f64_e32 v10, v[2:3]
	global_store_dwordx2 v[4:5], v[10:11], off
	s_mov_b64 s[8:9], -1
	s_mov_b64 s[0:1], 0
.LBB55_716:
	s_mov_b64 s[10:11], 0
.LBB55_717:
	s_and_b64 vcc, exec, s[10:11]
	s_cbranch_vccz .LBB55_733
; %bb.718:
	v_mov_b32_e32 v2, 27
	v_cmp_lt_i16_sdwa s[10:11], s77, v2 src0_sel:BYTE_0 src1_sel:DWORD
	s_mov_b64 s[8:9], -1
	s_and_b64 vcc, exec, s[10:11]
	s_cbranch_vccnz .LBB55_724
; %bb.719:
	v_cmp_gt_i16_sdwa s[10:11], s77, v2 src0_sel:BYTE_0 src1_sel:DWORD
	s_and_b64 vcc, exec, s[10:11]
	v_cvt_u32_f64_e32 v2, v[0:1]
	s_cbranch_vccz .LBB55_721
; %bb.720:
	s_mov_b64 s[8:9], 0
	global_store_dword v[4:5], v2, off
.LBB55_721:
	s_andn2_b64 vcc, exec, s[8:9]
	s_cbranch_vccnz .LBB55_723
; %bb.722:
	global_store_short v[4:5], v2, off
.LBB55_723:
	s_mov_b64 s[8:9], 0
.LBB55_724:
	s_andn2_b64 vcc, exec, s[8:9]
	s_cbranch_vccnz .LBB55_732
; %bb.725:
	v_cvt_f32_f64_e32 v2, v[0:1]
	v_and_b32_e32 v3, 0x7fffffff, v2
	s_mov_b32 s8, 0x43800000
	v_cmp_gt_u32_e32 vcc, s8, v3
	v_mov_b32_e32 v6, 0x80
	s_and_saveexec_b64 s[8:9], vcc
	s_cbranch_execz .LBB55_731
; %bb.726:
	s_mov_b32 s10, 0x3bffffff
	v_cmp_lt_u32_e32 vcc, s10, v3
	s_mov_b64 s[10:11], 0
                                        ; implicit-def: $vgpr3
	s_and_saveexec_b64 s[12:13], vcc
	s_xor_b64 s[12:13], exec, s[12:13]
	s_cbranch_execz .LBB55_849
; %bb.727:
	v_bfe_u32 v3, v2, 20, 1
	s_mov_b32 s14, 0x487ffff
	v_add3_u32 v3, v2, v3, s14
	s_mov_b64 s[10:11], exec
	v_lshrrev_b32_e32 v3, 20, v3
	s_or_saveexec_b64 s[12:13], s[12:13]
                                        ; implicit-def: $sgpr14
	s_xor_b64 exec, exec, s[12:13]
	s_cbranch_execnz .LBB55_850
.LBB55_728:
	s_or_b64 exec, exec, s[12:13]
	v_mov_b32_e32 v6, s14
	s_and_saveexec_b64 s[12:13], s[10:11]
.LBB55_729:
	v_lshrrev_b32_e32 v2, 24, v2
	s_movk_i32 s10, 0x80
	v_and_or_b32 v6, v2, s10, v3
.LBB55_730:
	s_or_b64 exec, exec, s[12:13]
.LBB55_731:
	s_or_b64 exec, exec, s[8:9]
	global_store_byte v[4:5], v6, off
.LBB55_732:
	s_mov_b64 s[8:9], -1
.LBB55_733:
	s_mov_b64 s[10:11], 0
.LBB55_734:
	s_and_b64 vcc, exec, s[10:11]
	s_cbranch_vccz .LBB55_775
; %bb.735:
	v_mov_b32_e32 v2, 22
	v_cmp_gt_i16_sdwa s[12:13], s77, v2 src0_sel:BYTE_0 src1_sel:DWORD
	s_mov_b64 s[10:11], -1
	s_and_b64 vcc, exec, s[12:13]
	s_cbranch_vccz .LBB55_767
; %bb.736:
	v_mov_b32_e32 v2, 24
	v_cmp_lt_i16_sdwa s[10:11], s77, v2 src0_sel:BYTE_0 src1_sel:DWORD
	s_mov_b64 s[8:9], -1
	s_and_b64 vcc, exec, s[10:11]
	s_cbranch_vccnz .LBB55_756
; %bb.737:
	v_cmp_gt_i16_sdwa s[10:11], s77, v2 src0_sel:BYTE_0 src1_sel:DWORD
	s_and_b64 vcc, exec, s[10:11]
	s_cbranch_vccz .LBB55_745
; %bb.738:
	v_cvt_f32_f64_e32 v2, v[0:1]
	v_and_b32_e32 v3, 0x7fffffff, v2
	s_mov_b32 s8, 0x47800000
	v_cmp_gt_u32_e32 vcc, s8, v3
	v_mov_b32_e32 v6, 0x80
	s_and_saveexec_b64 s[8:9], vcc
	s_cbranch_execz .LBB55_744
; %bb.739:
	s_mov_b32 s10, 0x37ffffff
	v_cmp_lt_u32_e32 vcc, s10, v3
	s_mov_b64 s[10:11], 0
                                        ; implicit-def: $vgpr3
	s_and_saveexec_b64 s[12:13], vcc
	s_xor_b64 s[12:13], exec, s[12:13]
	s_cbranch_execz .LBB55_852
; %bb.740:
	v_bfe_u32 v3, v2, 21, 1
	s_mov_b32 s14, 0x88fffff
	v_add3_u32 v3, v2, v3, s14
	s_mov_b64 s[10:11], exec
	v_lshrrev_b32_e32 v3, 21, v3
	s_or_saveexec_b64 s[12:13], s[12:13]
                                        ; implicit-def: $sgpr14
	s_xor_b64 exec, exec, s[12:13]
	s_cbranch_execnz .LBB55_853
.LBB55_741:
	s_or_b64 exec, exec, s[12:13]
	v_mov_b32_e32 v6, s14
	s_and_saveexec_b64 s[12:13], s[10:11]
.LBB55_742:
	v_lshrrev_b32_e32 v2, 24, v2
	s_movk_i32 s10, 0x80
	v_and_or_b32 v6, v2, s10, v3
.LBB55_743:
	s_or_b64 exec, exec, s[12:13]
.LBB55_744:
	s_or_b64 exec, exec, s[8:9]
	s_mov_b64 s[8:9], 0
	global_store_byte v[4:5], v6, off
.LBB55_745:
	s_and_b64 vcc, exec, s[8:9]
	s_cbranch_vccz .LBB55_755
; %bb.746:
	v_cvt_f32_f64_e32 v2, v[0:1]
	v_and_b32_e32 v6, 0x7fffffff, v2
	s_mov_b32 s8, 0x43f00000
	v_cmp_gt_u32_e32 vcc, s8, v6
                                        ; implicit-def: $vgpr3
	s_and_saveexec_b64 s[8:9], vcc
	s_xor_b64 s[8:9], exec, s[8:9]
	s_cbranch_execz .LBB55_752
; %bb.747:
	s_mov_b32 s10, 0x3c7fffff
	v_cmp_lt_u32_e32 vcc, s10, v6
                                        ; implicit-def: $vgpr3
	s_and_saveexec_b64 s[10:11], vcc
	s_xor_b64 s[10:11], exec, s[10:11]
; %bb.748:
	v_bfe_u32 v3, v2, 20, 1
	s_mov_b32 s12, 0x407ffff
	v_add3_u32 v3, v2, v3, s12
	v_lshrrev_b32_e32 v6, 20, v3
	v_and_b32_e32 v3, 0xff00000, v3
	s_mov_b32 s12, 0x7f00000
	v_mov_b32_e32 v7, 0x7e
	v_cmp_ne_u32_e32 vcc, s12, v3
	v_cndmask_b32_e32 v3, v7, v6, vcc
; %bb.749:
	s_andn2_saveexec_b64 s[10:11], s[10:11]
; %bb.750:
	s_mov_b32 s12, 0x46800000
	v_add_f32_e64 v3, |v2|, s12
; %bb.751:
	s_or_b64 exec, exec, s[10:11]
                                        ; implicit-def: $vgpr6
.LBB55_752:
	s_andn2_saveexec_b64 s[8:9], s[8:9]
; %bb.753:
	s_mov_b32 s10, 0x7f800000
	v_mov_b32_e32 v3, 0x7e
	v_mov_b32_e32 v7, 0x7f
	v_cmp_lt_u32_e32 vcc, s10, v6
	v_cndmask_b32_e32 v3, v3, v7, vcc
; %bb.754:
	s_or_b64 exec, exec, s[8:9]
	v_lshrrev_b32_e32 v2, 24, v2
	s_movk_i32 s8, 0x80
	v_and_or_b32 v2, v2, s8, v3
	global_store_byte v[4:5], v2, off
.LBB55_755:
	s_mov_b64 s[8:9], 0
.LBB55_756:
	s_andn2_b64 vcc, exec, s[8:9]
	s_cbranch_vccnz .LBB55_766
; %bb.757:
	v_cvt_f32_f64_e32 v2, v[0:1]
	v_and_b32_e32 v6, 0x7fffffff, v2
	s_mov_b32 s8, 0x47800000
	v_cmp_gt_u32_e32 vcc, s8, v6
                                        ; implicit-def: $vgpr3
	s_and_saveexec_b64 s[8:9], vcc
	s_xor_b64 s[8:9], exec, s[8:9]
	s_cbranch_execz .LBB55_763
; %bb.758:
	s_mov_b32 s10, 0x387fffff
	v_cmp_lt_u32_e32 vcc, s10, v6
                                        ; implicit-def: $vgpr3
	s_and_saveexec_b64 s[10:11], vcc
	s_xor_b64 s[10:11], exec, s[10:11]
; %bb.759:
	v_bfe_u32 v3, v2, 21, 1
	s_mov_b32 s12, 0x80fffff
	v_add3_u32 v3, v2, v3, s12
	v_lshrrev_b32_e32 v3, 21, v3
; %bb.760:
	s_andn2_saveexec_b64 s[10:11], s[10:11]
; %bb.761:
	s_mov_b32 s12, 0x43000000
	v_add_f32_e64 v3, |v2|, s12
; %bb.762:
	s_or_b64 exec, exec, s[10:11]
                                        ; implicit-def: $vgpr6
.LBB55_763:
	s_andn2_saveexec_b64 s[8:9], s[8:9]
; %bb.764:
	s_mov_b32 s10, 0x7f800000
	v_mov_b32_e32 v3, 0x7c
	v_mov_b32_e32 v7, 0x7f
	v_cmp_lt_u32_e32 vcc, s10, v6
	v_cndmask_b32_e32 v3, v3, v7, vcc
; %bb.765:
	s_or_b64 exec, exec, s[8:9]
	v_lshrrev_b32_e32 v2, 24, v2
	s_movk_i32 s8, 0x80
	v_and_or_b32 v2, v2, s8, v3
	global_store_byte v[4:5], v2, off
.LBB55_766:
	s_mov_b64 s[10:11], 0
	s_mov_b64 s[8:9], -1
.LBB55_767:
	s_andn2_b64 vcc, exec, s[10:11]
	s_cbranch_vccnz .LBB55_775
; %bb.768:
	v_mov_b32_e32 v2, 14
	v_cmp_gt_i16_sdwa s[12:13], s77, v2 src0_sel:BYTE_0 src1_sel:DWORD
	s_mov_b64 s[10:11], -1
	s_and_b64 vcc, exec, s[12:13]
	s_cbranch_vccz .LBB55_772
; %bb.769:
	v_mov_b32_e32 v2, 15
	v_cmp_eq_u16_sdwa s[10:11], s77, v2 src0_sel:BYTE_0 src1_sel:DWORD
	s_mov_b64 s[0:1], -1
	s_and_b64 vcc, exec, s[10:11]
	s_cbranch_vccz .LBB55_771
; %bb.770:
	v_cvt_f32_f64_e32 v2, v[0:1]
	v_bfe_u32 v3, v2, 16, 1
	s_movk_i32 s0, 0x7fff
	v_add3_u32 v3, v2, v3, s0
	v_lshrrev_b32_e32 v3, 16, v3
	v_mov_b32_e32 v6, 0x7fc0
	v_cmp_o_f32_e32 vcc, v2, v2
	v_cndmask_b32_e32 v2, v6, v3, vcc
	global_store_short v[4:5], v2, off
	s_mov_b64 s[8:9], -1
	s_mov_b64 s[0:1], 0
.LBB55_771:
	s_mov_b64 s[10:11], 0
.LBB55_772:
	s_and_b64 vcc, exec, s[10:11]
	s_cbranch_vccz .LBB55_775
; %bb.773:
	v_mov_b32_e32 v2, 11
	v_cmp_eq_u16_sdwa s[10:11], s77, v2 src0_sel:BYTE_0 src1_sel:DWORD
	s_mov_b64 s[0:1], -1
	s_and_b64 vcc, exec, s[10:11]
	s_cbranch_vccz .LBB55_775
; %bb.774:
	v_cmp_neq_f64_e32 vcc, 0, v[0:1]
	s_mov_b64 s[0:1], 0
	v_cndmask_b32_e64 v2, 0, 1, vcc
	s_mov_b64 s[8:9], -1
	global_store_byte v[4:5], v2, off
.LBB55_775:
	s_mov_b64 s[10:11], 0
.LBB55_776:
	s_and_b64 vcc, exec, s[10:11]
	s_cbranch_vccz .LBB55_815
; %bb.777:
	v_mov_b32_e32 v2, 5
	v_cmp_lt_i16_sdwa s[10:11], s77, v2 src0_sel:BYTE_0 src1_sel:DWORD
	s_mov_b64 s[8:9], -1
	s_and_b64 vcc, exec, s[10:11]
	s_cbranch_vccnz .LBB55_798
; %bb.778:
	v_mov_b32_e32 v2, 8
	v_cmp_lt_i16_sdwa s[10:11], s77, v2 src0_sel:BYTE_0 src1_sel:DWORD
	s_and_b64 vcc, exec, s[10:11]
	s_cbranch_vccnz .LBB55_788
; %bb.779:
	v_mov_b32_e32 v2, 9
	v_cmp_lt_i16_sdwa s[10:11], s77, v2 src0_sel:BYTE_0 src1_sel:DWORD
	s_and_b64 vcc, exec, s[10:11]
	s_cbranch_vccnz .LBB55_785
; %bb.780:
	v_cmp_gt_i16_sdwa s[10:11], s77, v2 src0_sel:BYTE_0 src1_sel:DWORD
	s_and_b64 vcc, exec, s[10:11]
	s_cbranch_vccz .LBB55_782
; %bb.781:
	v_mov_b32_e32 v2, 0
	v_mov_b32_e32 v3, v2
	s_mov_b64 s[8:9], 0
	global_store_dwordx4 v[4:5], v[0:3], off
.LBB55_782:
	s_andn2_b64 vcc, exec, s[8:9]
	s_cbranch_vccnz .LBB55_784
; %bb.783:
	v_cvt_f32_f64_e32 v2, v[0:1]
	v_mov_b32_e32 v3, 0
	global_store_dwordx2 v[4:5], v[2:3], off
.LBB55_784:
	s_mov_b64 s[8:9], 0
.LBB55_785:
	s_andn2_b64 vcc, exec, s[8:9]
	s_cbranch_vccnz .LBB55_787
; %bb.786:
	v_cvt_f32_f64_e32 v2, v[0:1]
	v_cvt_f16_f32_e32 v2, v2
	global_store_dword v[4:5], v2, off
.LBB55_787:
	s_mov_b64 s[8:9], 0
.LBB55_788:
	s_andn2_b64 vcc, exec, s[8:9]
	s_cbranch_vccnz .LBB55_797
; %bb.789:
	v_mov_b32_e32 v2, 6
	v_cmp_lt_i16_sdwa s[10:11], s77, v2 src0_sel:BYTE_0 src1_sel:DWORD
	s_mov_b64 s[8:9], -1
	s_and_b64 vcc, exec, s[10:11]
	s_cbranch_vccnz .LBB55_795
; %bb.790:
	v_cmp_gt_i16_sdwa s[10:11], s77, v2 src0_sel:BYTE_0 src1_sel:DWORD
	s_and_b64 vcc, exec, s[10:11]
	s_cbranch_vccz .LBB55_792
; %bb.791:
	s_mov_b64 s[8:9], 0
	global_store_dwordx2 v[4:5], v[0:1], off
.LBB55_792:
	s_andn2_b64 vcc, exec, s[8:9]
	s_cbranch_vccnz .LBB55_794
; %bb.793:
	v_cvt_f32_f64_e32 v2, v[0:1]
	global_store_dword v[4:5], v2, off
.LBB55_794:
	s_mov_b64 s[8:9], 0
.LBB55_795:
	s_andn2_b64 vcc, exec, s[8:9]
	s_cbranch_vccnz .LBB55_797
; %bb.796:
	v_cvt_f32_f64_e32 v2, v[0:1]
	v_cvt_f16_f32_e32 v2, v2
	global_store_short v[4:5], v2, off
.LBB55_797:
	s_mov_b64 s[8:9], 0
.LBB55_798:
	s_andn2_b64 vcc, exec, s[8:9]
	s_cbranch_vccnz .LBB55_814
; %bb.799:
	v_mov_b32_e32 v2, 2
	v_cmp_lt_i16_sdwa s[10:11], s77, v2 src0_sel:BYTE_0 src1_sel:DWORD
	s_mov_b64 s[8:9], -1
	s_and_b64 vcc, exec, s[10:11]
	s_cbranch_vccnz .LBB55_809
; %bb.800:
	v_mov_b32_e32 v2, 3
	v_cmp_lt_i16_sdwa s[10:11], s77, v2 src0_sel:BYTE_0 src1_sel:DWORD
	s_and_b64 vcc, exec, s[10:11]
	s_cbranch_vccnz .LBB55_806
; %bb.801:
	v_cmp_gt_i16_sdwa s[10:11], s77, v2 src0_sel:BYTE_0 src1_sel:DWORD
	s_and_b64 vcc, exec, s[10:11]
	s_cbranch_vccz .LBB55_803
; %bb.802:
	v_trunc_f64_e32 v[2:3], v[0:1]
	s_movk_i32 s8, 0xffe0
	v_ldexp_f64 v[6:7], v[2:3], s8
	v_floor_f64_e32 v[6:7], v[6:7]
	v_fmac_f64_e32 v[2:3], 0xc1f00000, v[6:7]
	v_cvt_i32_f64_e32 v11, v[6:7]
	v_cvt_u32_f64_e32 v10, v[2:3]
	s_mov_b64 s[8:9], 0
	global_store_dwordx2 v[4:5], v[10:11], off
.LBB55_803:
	s_andn2_b64 vcc, exec, s[8:9]
	s_cbranch_vccnz .LBB55_805
; %bb.804:
	v_cvt_i32_f64_e32 v2, v[0:1]
	global_store_dword v[4:5], v2, off
.LBB55_805:
	s_mov_b64 s[8:9], 0
.LBB55_806:
	s_andn2_b64 vcc, exec, s[8:9]
	s_cbranch_vccnz .LBB55_808
; %bb.807:
	v_cvt_i32_f64_e32 v2, v[0:1]
	global_store_short v[4:5], v2, off
.LBB55_808:
	s_mov_b64 s[8:9], 0
.LBB55_809:
	s_andn2_b64 vcc, exec, s[8:9]
	s_cbranch_vccnz .LBB55_814
; %bb.810:
	v_mov_b32_e32 v2, 0
	v_cmp_gt_i16_sdwa s[10:11], s77, v2 src0_sel:BYTE_0 src1_sel:DWORD
	s_mov_b64 s[8:9], -1
	s_and_b64 vcc, exec, s[10:11]
	s_cbranch_vccz .LBB55_812
; %bb.811:
	v_cvt_i32_f64_e32 v2, v[0:1]
	s_mov_b64 s[8:9], 0
	global_store_byte v[4:5], v2, off
.LBB55_812:
	s_andn2_b64 vcc, exec, s[8:9]
	s_cbranch_vccnz .LBB55_814
; %bb.813:
	v_trunc_f64_e32 v[0:1], v[0:1]
	s_movk_i32 s8, 0xffe0
	v_ldexp_f64 v[2:3], v[0:1], s8
	v_floor_f64_e32 v[2:3], v[2:3]
	v_fmac_f64_e32 v[0:1], 0xc1f00000, v[2:3]
	v_cvt_u32_f64_e32 v0, v[0:1]
	global_store_byte v[4:5], v0, off
.LBB55_814:
	s_mov_b64 s[8:9], -1
.LBB55_815:
	s_andn2_b64 vcc, exec, s[8:9]
	s_cbranch_vccnz .LBB55_817
; %bb.816:
	v_add_u32_e32 v12, 0x80, v12
	s_mov_b64 s[8:9], -1
	s_branch .LBB55_819
.LBB55_817:
	s_mov_b64 s[8:9], 0
.LBB55_818:
                                        ; implicit-def: $vgpr12
.LBB55_819:
	s_andn2_b64 s[10:11], s[62:63], exec
	s_and_b64 s[0:1], s[0:1], exec
	s_or_b64 s[70:71], s[10:11], s[0:1]
	s_andn2_b64 s[0:1], s[60:61], exec
	s_and_b64 s[2:3], s[2:3], exec
	s_or_b64 s[68:69], s[0:1], s[2:3]
	s_orn2_b64 s[2:3], s[8:9], exec
.LBB55_820:
	s_or_b64 exec, exec, s[66:67]
	s_mov_b64 s[0:1], 0
	s_mov_b64 s[8:9], 0
	s_mov_b64 s[10:11], 0
                                        ; implicit-def: $vgpr0_vgpr1
                                        ; implicit-def: $vgpr2
                                        ; implicit-def: $vgpr6_vgpr7
	s_and_saveexec_b64 s[66:67], s[2:3]
	s_cbranch_execz .LBB55_920
; %bb.821:
	v_cmp_gt_i32_e32 vcc, s74, v12
	s_mov_b64 s[2:3], 0
	s_mov_b64 s[12:13], s[68:69]
                                        ; implicit-def: $vgpr0_vgpr1
                                        ; implicit-def: $vgpr2
                                        ; implicit-def: $vgpr6_vgpr7
	s_and_saveexec_b64 s[72:73], vcc
	s_cbranch_execz .LBB55_919
; %bb.822:
	s_andn2_b64 vcc, exec, s[40:41]
	s_cbranch_vccnz .LBB55_828
; %bb.823:
	s_mov_b32 s74, 0
	s_andn2_b64 vcc, exec, s[52:53]
	v_mov_b32_e32 v0, 0
	v_mov_b32_e32 v2, 0
	s_cbranch_vccnz .LBB55_834
; %bb.824:
	s_add_i32 s78, s75, 1
	s_cmp_eq_u32 s76, 2
	s_cbranch_scc1 .LBB55_829
; %bb.825:
	s_and_b32 s74, s78, 28
	s_mov_b32 s75, 0
	v_mov_b32_e32 v2, 0
	s_mov_b64 s[52:53], s[34:35]
	v_mov_b32_e32 v1, v12
	v_mov_b32_e32 v0, 0
.LBB55_826:                             ; =>This Inner Loop Header: Depth=1
	s_load_dwordx8 s[16:23], s[52:53], 0x4
	s_load_dwordx4 s[0:3], s[52:53], 0x24
	s_load_dwordx8 s[8:15], s[50:51], 0x0
	s_add_u32 s52, s52, 48
	s_addc_u32 s53, s53, 0
	s_waitcnt lgkmcnt(0)
	v_mul_hi_u32 v3, s17, v1
	v_add_u32_e32 v3, v1, v3
	v_lshrrev_b32_e32 v3, s18, v3
	s_waitcnt vmcnt(0)
	v_mul_lo_u32 v4, v3, s16
	v_mul_hi_u32 v5, s20, v3
	v_sub_u32_e32 v1, v1, v4
	v_add_u32_e32 v4, v3, v5
	v_lshrrev_b32_e32 v4, s21, v4
	v_mul_lo_u32 v6, v4, s19
	v_mul_hi_u32 v7, s23, v4
	v_sub_u32_e32 v3, v3, v6
	v_add_u32_e32 v6, v4, v7
	v_mul_lo_u32 v5, v1, s9
	v_mul_lo_u32 v1, v1, s8
	;; [unrolled: 1-line block ×4, first 2 shown]
	v_lshrrev_b32_e32 v6, s0, v6
	v_add3_u32 v2, v1, v2, v3
	v_mul_lo_u32 v1, v6, s22
	v_mul_hi_u32 v3, s2, v6
	v_sub_u32_e32 v1, v4, v1
	v_add_u32_e32 v3, v6, v3
	v_add3_u32 v0, v5, v0, v7
	v_mul_lo_u32 v4, v1, s12
	v_mul_lo_u32 v5, v1, s13
	v_lshrrev_b32_e32 v1, s3, v3
	s_add_i32 s75, s75, 4
	v_mul_lo_u32 v3, v1, s1
	s_add_u32 s50, s50, 32
	v_sub_u32_e32 v3, v6, v3
	s_addc_u32 s51, s51, 0
	v_mul_lo_u32 v6, v3, s14
	v_mul_lo_u32 v3, v3, s15
	s_cmp_eq_u32 s74, s75
	v_add3_u32 v0, v5, v0, v3
	v_add3_u32 v2, v4, v2, v6
	s_cbranch_scc0 .LBB55_826
; %bb.827:
	v_mov_b32_e32 v3, v0
	s_branch .LBB55_830
.LBB55_828:
	s_mov_b64 s[0:1], -1
                                        ; implicit-def: $vgpr0
                                        ; implicit-def: $vgpr2
	s_branch .LBB55_835
.LBB55_829:
	s_mov_b32 s75, s74
	v_pk_mov_b32 v[2:3], s[74:75], s[74:75] op_sel:[0,1]
                                        ; implicit-def: $vgpr0
	v_mov_b32_e32 v1, v12
.LBB55_830:
	s_and_b32 s8, s78, 3
	s_cmp_eq_u32 s8, 0
	s_cbranch_scc1 .LBB55_834
; %bb.831:
	s_lshl_b32 s0, s74, 3
	s_add_u32 s0, s0, s34
	s_addc_u32 s1, s35, 0
	s_add_u32 s0, s0, 0xc4
	s_addc_u32 s1, s1, 0
	s_mul_i32 s2, s74, 12
	s_add_u32 s2, s34, s2
	s_addc_u32 s3, s35, 0
.LBB55_832:                             ; =>This Inner Loop Header: Depth=1
	s_load_dwordx2 s[10:11], s[2:3], 0x4
	s_load_dword s9, s[2:3], 0xc
	s_load_dwordx2 s[12:13], s[0:1], 0x0
	v_mov_b32_e32 v0, v3
	s_add_u32 s2, s2, 12
	s_waitcnt lgkmcnt(0)
	v_mul_hi_u32 v3, s11, v1
	v_add_u32_e32 v3, v1, v3
	v_lshrrev_b32_e32 v3, s9, v3
	s_addc_u32 s3, s3, 0
	s_waitcnt vmcnt(0)
	v_mul_lo_u32 v4, v3, s10
	s_add_u32 s0, s0, 8
	v_sub_u32_e32 v6, v1, v4
	v_mov_b32_e32 v1, v3
	s_addc_u32 s1, s1, 0
	s_add_i32 s8, s8, -1
	v_mad_u64_u32 v[4:5], s[10:11], v6, s13, v[0:1]
	v_mad_u64_u32 v[2:3], s[10:11], v6, s12, v[2:3]
	s_cmp_lg_u32 s8, 0
	v_mov_b32_e32 v3, v4
	s_cbranch_scc1 .LBB55_832
; %bb.833:
	v_mov_b32_e32 v0, v3
.LBB55_834:
	s_mov_b64 s[0:1], 0
.LBB55_835:
	s_andn2_b64 vcc, exec, s[0:1]
	s_cbranch_vccnz .LBB55_838
; %bb.836:
	v_mul_hi_u32 v0, s29, v12
	v_add_u32_e32 v0, v12, v0
	v_lshrrev_b32_e32 v1, s30, v0
	v_mul_lo_u32 v0, v1, s28
	v_sub_u32_e32 v2, v12, v0
	v_mul_lo_u32 v0, v2, s37
	s_andn2_b64 vcc, exec, s[48:49]
	v_mul_lo_u32 v2, v2, s36
	s_cbranch_vccnz .LBB55_838
; %bb.837:
	v_mul_hi_u32 v3, s46, v1
	v_add_u32_e32 v3, v1, v3
	v_lshrrev_b32_e32 v3, s47, v3
	v_mul_lo_u32 v3, v3, s31
	v_sub_u32_e32 v1, v1, v3
	v_mad_u64_u32 v[2:3], s[0:1], v1, s38, v[2:3]
	v_mad_u64_u32 v[0:1], s[0:1], v1, s39, v[0:1]
.LBB55_838:
	v_mov_b32_e32 v1, s27
	v_add_co_u32_e32 v0, vcc, s26, v0
	v_addc_co_u32_e32 v1, vcc, 0, v1, vcc
	v_cmp_gt_i16_e32 vcc, 11, v8
	s_cbranch_vccnz .LBB55_845
; %bb.839:
	v_cmp_lt_i16_e32 vcc, 25, v8
	s_mov_b64 s[2:3], 0
	s_cbranch_vccz .LBB55_846
; %bb.840:
	v_cmp_lt_i16_e32 vcc, 28, v8
	s_cbranch_vccz .LBB55_847
; %bb.841:
	v_cmp_lt_i16_e32 vcc, 43, v8
	;; [unrolled: 3-line block ×3, first 2 shown]
	s_cbranch_vccz .LBB55_851
; %bb.843:
	v_cmp_eq_u16_e32 vcc, 46, v8
	s_mov_b64 s[10:11], 0
	s_cbranch_vccz .LBB55_854
; %bb.844:
	global_load_dword v3, v[0:1], off
	s_mov_b64 s[0:1], 0
	s_mov_b64 s[8:9], -1
	s_waitcnt vmcnt(0)
	v_lshlrev_b32_e32 v3, 16, v3
	v_cvt_f64_f32_e32 v[6:7], v3
	s_branch .LBB55_855
.LBB55_845:
	s_mov_b64 s[12:13], -1
	s_mov_b64 s[8:9], 0
	s_mov_b64 s[2:3], 0
	s_mov_b64 s[0:1], s[68:69]
                                        ; implicit-def: $vgpr6_vgpr7
	s_branch .LBB55_918
.LBB55_846:
	s_mov_b64 s[10:11], -1
	s_mov_b64 s[8:9], 0
	s_mov_b64 s[0:1], s[68:69]
                                        ; implicit-def: $vgpr6_vgpr7
	s_branch .LBB55_884
.LBB55_847:
	s_mov_b64 s[10:11], -1
	s_mov_b64 s[8:9], 0
	s_mov_b64 s[0:1], s[68:69]
                                        ; implicit-def: $vgpr6_vgpr7
	s_branch .LBB55_865
.LBB55_848:
	s_mov_b64 s[10:11], -1
	s_mov_b64 s[8:9], 0
	s_mov_b64 s[0:1], s[68:69]
                                        ; implicit-def: $vgpr6_vgpr7
	s_branch .LBB55_860
.LBB55_849:
	s_or_saveexec_b64 s[12:13], s[12:13]
                                        ; implicit-def: $sgpr14
	s_xor_b64 exec, exec, s[12:13]
	s_cbranch_execz .LBB55_728
.LBB55_850:
	s_mov_b32 s14, 0x46000000
	v_add_f32_e64 v3, |v2|, s14
	v_and_b32_e32 v3, 0xff, v3
	v_cmp_ne_u32_e32 vcc, 0, v3
	s_andn2_b64 s[10:11], s[10:11], exec
	s_and_b64 s[16:17], vcc, exec
	s_mov_b32 s14, 0
	s_or_b64 s[10:11], s[10:11], s[16:17]
	s_or_b64 exec, exec, s[12:13]
	v_mov_b32_e32 v6, s14
	s_and_saveexec_b64 s[12:13], s[10:11]
	s_cbranch_execnz .LBB55_729
	s_branch .LBB55_730
.LBB55_851:
	s_mov_b64 s[10:11], -1
	s_mov_b64 s[8:9], 0
	s_mov_b64 s[0:1], s[68:69]
                                        ; implicit-def: $vgpr6_vgpr7
	s_branch .LBB55_855
.LBB55_852:
	s_or_saveexec_b64 s[12:13], s[12:13]
                                        ; implicit-def: $sgpr14
	s_xor_b64 exec, exec, s[12:13]
	s_cbranch_execz .LBB55_741
.LBB55_853:
	s_mov_b32 s14, 0x42800000
	v_add_f32_e64 v3, |v2|, s14
	v_and_b32_e32 v3, 0xff, v3
	v_cmp_ne_u32_e32 vcc, 0, v3
	s_andn2_b64 s[10:11], s[10:11], exec
	s_and_b64 s[16:17], vcc, exec
	s_mov_b32 s14, 0
	s_or_b64 s[10:11], s[10:11], s[16:17]
	s_or_b64 exec, exec, s[12:13]
	v_mov_b32_e32 v6, s14
	s_and_saveexec_b64 s[12:13], s[10:11]
	s_cbranch_execnz .LBB55_742
	s_branch .LBB55_743
.LBB55_854:
	s_mov_b64 s[0:1], -1
                                        ; implicit-def: $vgpr6_vgpr7
	s_mov_b64 s[8:9], 0
.LBB55_855:
	s_and_b64 vcc, exec, s[10:11]
	s_cbranch_vccz .LBB55_859
; %bb.856:
	v_cmp_eq_u16_e32 vcc, 44, v8
	s_cbranch_vccz .LBB55_858
; %bb.857:
	global_load_ubyte v3, v[0:1], off
	s_movk_i32 s8, 0xff
	v_mov_b32_e32 v6, 0x7ff80000
	v_bfrev_b32_e32 v7, 28
	s_mov_b64 s[0:1], 0
	s_waitcnt vmcnt(0)
	v_lshlrev_b32_e32 v4, 23, v3
	v_cvt_f64_f32_e32 v[4:5], v4
	v_cmp_ne_u32_e32 vcc, s8, v3
	v_cndmask_b32_e32 v4, v6, v5, vcc
	v_cmp_ne_u32_e32 vcc, 0, v3
	v_cndmask_b32_e32 v7, v7, v4, vcc
	s_mov_b64 s[8:9], -1
	s_branch .LBB55_859
.LBB55_858:
	s_mov_b64 s[0:1], -1
                                        ; implicit-def: $vgpr6_vgpr7
.LBB55_859:
	s_mov_b64 s[10:11], 0
.LBB55_860:
	s_and_b64 vcc, exec, s[10:11]
	s_cbranch_vccz .LBB55_864
; %bb.861:
	v_cmp_eq_u16_e32 vcc, 29, v8
	s_cbranch_vccz .LBB55_863
; %bb.862:
	global_load_dwordx2 v[4:5], v[0:1], off
	s_mov_b64 s[0:1], 0
	s_mov_b64 s[8:9], -1
	s_mov_b64 s[10:11], 0
	s_waitcnt vmcnt(0)
	v_cvt_f64_u32_e32 v[6:7], v5
	v_cvt_f64_u32_e32 v[4:5], v4
	v_ldexp_f64 v[6:7], v[6:7], 32
	v_add_f64 v[6:7], v[6:7], v[4:5]
	s_branch .LBB55_865
.LBB55_863:
	s_mov_b64 s[0:1], -1
                                        ; implicit-def: $vgpr6_vgpr7
.LBB55_864:
	s_mov_b64 s[10:11], 0
.LBB55_865:
	s_and_b64 vcc, exec, s[10:11]
	s_cbranch_vccz .LBB55_883
; %bb.866:
	v_cmp_gt_i16_e32 vcc, 27, v8
	s_cbranch_vccnz .LBB55_869
; %bb.867:
	v_cmp_lt_i16_e32 vcc, 27, v8
	s_cbranch_vccz .LBB55_870
; %bb.868:
	global_load_dword v3, v[0:1], off
	s_mov_b64 s[8:9], 0
	s_waitcnt vmcnt(0)
	v_cvt_f64_u32_e32 v[6:7], v3
	s_branch .LBB55_871
.LBB55_869:
	s_mov_b64 s[8:9], -1
                                        ; implicit-def: $vgpr6_vgpr7
	s_branch .LBB55_874
.LBB55_870:
	s_mov_b64 s[8:9], -1
                                        ; implicit-def: $vgpr6_vgpr7
.LBB55_871:
	s_andn2_b64 vcc, exec, s[8:9]
	s_cbranch_vccnz .LBB55_873
; %bb.872:
	global_load_ushort v3, v[0:1], off
	s_waitcnt vmcnt(0)
	v_cvt_f64_u32_e32 v[6:7], v3
.LBB55_873:
	s_mov_b64 s[8:9], 0
.LBB55_874:
	s_andn2_b64 vcc, exec, s[8:9]
	s_cbranch_vccnz .LBB55_882
; %bb.875:
	global_load_ubyte v3, v[0:1], off
	s_movk_i32 s8, 0x7f
                                        ; implicit-def: $sgpr10_sgpr11
	s_waitcnt vmcnt(0)
	v_cmp_lt_i16_e32 vcc, s8, v3
	s_mov_b64 s[8:9], 0
	s_and_saveexec_b64 s[12:13], vcc
	s_xor_b64 s[12:13], exec, s[12:13]
	s_cbranch_execz .LBB55_896
; %bb.876:
	s_movk_i32 s8, 0x80
	v_cmp_eq_u16_e32 vcc, s8, v3
	s_mov_b64 s[14:15], -1
                                        ; implicit-def: $sgpr10_sgpr11
	s_and_saveexec_b64 s[8:9], vcc
; %bb.877:
	s_mov_b32 s11, 0x7ff80000
	s_brev_b32 s10, 4
	s_xor_b64 s[14:15], exec, -1
; %bb.878:
	s_or_b64 exec, exec, s[8:9]
	s_and_b64 s[8:9], s[14:15], exec
	s_or_saveexec_b64 s[12:13], s[12:13]
	v_pk_mov_b32 v[6:7], s[10:11], s[10:11] op_sel:[0,1]
	s_xor_b64 exec, exec, s[12:13]
	s_cbranch_execnz .LBB55_897
.LBB55_879:
	s_or_b64 exec, exec, s[12:13]
	s_and_saveexec_b64 s[10:11], s[8:9]
	s_cbranch_execz .LBB55_881
.LBB55_880:
	v_lshlrev_b32_e32 v4, 24, v3
	v_and_b32_e32 v3, 0xffff, v3
	v_and_b32_e32 v5, 7, v3
	v_ffbh_u32_e32 v7, v5
	v_min_u32_e32 v7, 32, v7
	v_subrev_u32_e32 v9, 28, v7
	v_bfe_u32 v6, v3, 3, 4
	v_lshlrev_b32_e32 v3, v9, v3
	v_sub_u32_e32 v7, 29, v7
	v_and_b32_e32 v3, 7, v3
	v_cmp_eq_u32_e32 vcc, 0, v6
	v_cndmask_b32_e32 v6, v6, v7, vcc
	v_cndmask_b32_e32 v3, v5, v3, vcc
	v_mov_b32_e32 v5, 0x3b800000
	v_lshlrev_b32_e32 v3, 20, v3
	v_and_b32_e32 v4, 0x80000000, v4
	v_lshl_add_u32 v5, v6, 23, v5
	v_or3_b32 v3, v4, v5, v3
	v_cvt_f64_f32_e32 v[6:7], v3
.LBB55_881:
	s_or_b64 exec, exec, s[10:11]
.LBB55_882:
	s_mov_b64 s[8:9], -1
.LBB55_883:
	s_mov_b64 s[10:11], 0
.LBB55_884:
	s_and_b64 vcc, exec, s[10:11]
	s_cbranch_vccz .LBB55_917
; %bb.885:
	v_cmp_lt_i16_e32 vcc, 22, v8
	s_cbranch_vccz .LBB55_895
; %bb.886:
	v_cmp_gt_i16_e32 vcc, 24, v8
	s_cbranch_vccnz .LBB55_898
; %bb.887:
	v_cmp_lt_i16_e32 vcc, 24, v8
	s_cbranch_vccz .LBB55_899
; %bb.888:
	global_load_ubyte v3, v[0:1], off
	s_movk_i32 s2, 0x7f
                                        ; implicit-def: $sgpr8_sgpr9
	s_waitcnt vmcnt(0)
	v_cmp_lt_i16_e32 vcc, s2, v3
	s_mov_b64 s[2:3], 0
	s_and_saveexec_b64 s[10:11], vcc
	s_xor_b64 s[10:11], exec, s[10:11]
	s_cbranch_execz .LBB55_911
; %bb.889:
	s_movk_i32 s2, 0x80
	v_cmp_eq_u16_e32 vcc, s2, v3
	s_mov_b64 s[12:13], -1
                                        ; implicit-def: $sgpr8_sgpr9
	s_and_saveexec_b64 s[2:3], vcc
; %bb.890:
	s_mov_b32 s9, 0x7ff80000
	s_brev_b32 s8, 4
	s_xor_b64 s[12:13], exec, -1
; %bb.891:
	s_or_b64 exec, exec, s[2:3]
	s_and_b64 s[2:3], s[12:13], exec
	s_or_saveexec_b64 s[10:11], s[10:11]
	v_pk_mov_b32 v[6:7], s[8:9], s[8:9] op_sel:[0,1]
	s_xor_b64 exec, exec, s[10:11]
	s_cbranch_execnz .LBB55_912
.LBB55_892:
	s_or_b64 exec, exec, s[10:11]
	s_and_saveexec_b64 s[8:9], s[2:3]
	s_cbranch_execz .LBB55_894
.LBB55_893:
	v_lshlrev_b32_e32 v4, 24, v3
	v_and_b32_e32 v3, 0xffff, v3
	v_and_b32_e32 v5, 3, v3
	v_ffbh_u32_e32 v7, v5
	v_min_u32_e32 v7, 32, v7
	v_subrev_u32_e32 v9, 29, v7
	v_bfe_u32 v6, v3, 2, 5
	v_lshlrev_b32_e32 v3, v9, v3
	v_sub_u32_e32 v7, 30, v7
	v_and_b32_e32 v3, 3, v3
	v_cmp_eq_u32_e32 vcc, 0, v6
	v_cndmask_b32_e32 v6, v6, v7, vcc
	v_cndmask_b32_e32 v3, v5, v3, vcc
	v_mov_b32_e32 v5, 0x37800000
	v_lshlrev_b32_e32 v3, 21, v3
	v_and_b32_e32 v4, 0x80000000, v4
	v_lshl_add_u32 v5, v6, 23, v5
	v_or3_b32 v3, v4, v5, v3
	v_cvt_f64_f32_e32 v[6:7], v3
.LBB55_894:
	s_or_b64 exec, exec, s[8:9]
	s_mov_b64 s[2:3], 0
	s_branch .LBB55_900
.LBB55_895:
	s_mov_b64 s[2:3], -1
                                        ; implicit-def: $vgpr6_vgpr7
	s_branch .LBB55_906
.LBB55_896:
	s_or_saveexec_b64 s[12:13], s[12:13]
	v_pk_mov_b32 v[6:7], s[10:11], s[10:11] op_sel:[0,1]
	s_xor_b64 exec, exec, s[12:13]
	s_cbranch_execz .LBB55_879
.LBB55_897:
	v_cmp_ne_u16_e32 vcc, 0, v3
	s_andn2_b64 s[8:9], s[8:9], exec
	s_and_b64 s[10:11], vcc, exec
	v_pk_mov_b32 v[6:7], 0, 0
	s_or_b64 s[8:9], s[8:9], s[10:11]
	s_or_b64 exec, exec, s[12:13]
	s_and_saveexec_b64 s[10:11], s[8:9]
	s_cbranch_execnz .LBB55_880
	s_branch .LBB55_881
.LBB55_898:
	s_mov_b64 s[2:3], -1
                                        ; implicit-def: $vgpr6_vgpr7
	s_branch .LBB55_903
.LBB55_899:
	s_mov_b64 s[2:3], -1
                                        ; implicit-def: $vgpr6_vgpr7
.LBB55_900:
	s_and_b64 vcc, exec, s[2:3]
	s_cbranch_vccz .LBB55_902
; %bb.901:
	global_load_ubyte v3, v[0:1], off
	s_mov_b32 s2, 0x7f800000
	s_waitcnt vmcnt(0)
	v_lshlrev_b32_e32 v3, 24, v3
	v_and_b32_e32 v4, 0x7f000000, v3
	v_ffbh_u32_e32 v5, v4
	v_min_u32_e32 v5, 32, v5
	v_sub_u32_e64 v5, v5, 4 clamp
	v_lshlrev_b32_e32 v7, v5, v4
	v_lshlrev_b32_e32 v5, 23, v5
	v_lshrrev_b32_e32 v7, 4, v7
	v_add_u32_e32 v6, 0x1000000, v4
	v_sub_u32_e32 v5, v7, v5
	v_ashrrev_i32_e32 v6, 8, v6
	v_add_u32_e32 v5, 0x3c000000, v5
	v_and_or_b32 v5, v6, s2, v5
	v_cmp_ne_u32_e32 vcc, 0, v4
	v_cndmask_b32_e32 v4, 0, v5, vcc
	s_brev_b32 s2, 1
	v_and_or_b32 v3, v3, s2, v4
	v_cvt_f64_f32_e32 v[6:7], v3
.LBB55_902:
	s_mov_b64 s[2:3], 0
.LBB55_903:
	s_andn2_b64 vcc, exec, s[2:3]
	s_cbranch_vccnz .LBB55_905
; %bb.904:
	global_load_ubyte v3, v[0:1], off
	s_movk_i32 s2, 0x7f00
	s_brev_b32 s3, 16
	s_waitcnt vmcnt(0)
	v_lshlrev_b16_e32 v4, 8, v3
	v_lshlrev_b32_e32 v3, 25, v3
	v_lshrrev_b32_e32 v5, 4, v3
	v_and_or_b32 v6, v4, s2, 0.5
	v_or_b32_e32 v5, 0x70000000, v5
	v_add_f32_e32 v6, -0.5, v6
	v_mul_f32_e32 v5, 0x7800000, v5
	v_cmp_gt_u32_e32 vcc, s3, v3
	v_bfe_i32 v4, v4, 0, 16
	v_cndmask_b32_e32 v3, v5, v6, vcc
	s_brev_b32 s2, 1
	v_and_or_b32 v3, v4, s2, v3
	v_cvt_f64_f32_e32 v[6:7], v3
.LBB55_905:
	s_mov_b64 s[2:3], 0
	s_mov_b64 s[8:9], -1
.LBB55_906:
	s_andn2_b64 vcc, exec, s[2:3]
	s_mov_b64 s[2:3], 0
	s_cbranch_vccnz .LBB55_917
; %bb.907:
	v_cmp_lt_i16_e32 vcc, 14, v8
	s_cbranch_vccz .LBB55_910
; %bb.908:
	v_cmp_eq_u16_e32 vcc, 15, v8
	s_cbranch_vccz .LBB55_913
; %bb.909:
	global_load_ushort v3, v[0:1], off
	s_mov_b64 s[0:1], 0
	s_mov_b64 s[8:9], -1
	s_waitcnt vmcnt(0)
	v_lshlrev_b32_e32 v3, 16, v3
	v_cvt_f64_f32_e32 v[6:7], v3
	s_branch .LBB55_914
.LBB55_910:
	s_mov_b64 s[10:11], -1
                                        ; implicit-def: $vgpr6_vgpr7
	s_branch .LBB55_915
.LBB55_911:
	s_or_saveexec_b64 s[10:11], s[10:11]
	v_pk_mov_b32 v[6:7], s[8:9], s[8:9] op_sel:[0,1]
	s_xor_b64 exec, exec, s[10:11]
	s_cbranch_execz .LBB55_892
.LBB55_912:
	v_cmp_ne_u16_e32 vcc, 0, v3
	s_andn2_b64 s[2:3], s[2:3], exec
	s_and_b64 s[8:9], vcc, exec
	v_pk_mov_b32 v[6:7], 0, 0
	s_or_b64 s[2:3], s[2:3], s[8:9]
	s_or_b64 exec, exec, s[10:11]
	s_and_saveexec_b64 s[8:9], s[2:3]
	s_cbranch_execnz .LBB55_893
	s_branch .LBB55_894
.LBB55_913:
	s_mov_b64 s[0:1], -1
                                        ; implicit-def: $vgpr6_vgpr7
.LBB55_914:
	s_mov_b64 s[10:11], 0
.LBB55_915:
	s_and_b64 vcc, exec, s[10:11]
	s_cbranch_vccz .LBB55_917
; %bb.916:
	v_cmp_ne_u16_e32 vcc, 11, v8
	s_andn2_b64 s[0:1], s[0:1], exec
	s_and_b64 s[10:11], vcc, exec
	s_mov_b64 s[2:3], -1
	s_or_b64 s[0:1], s[0:1], s[10:11]
                                        ; implicit-def: $vgpr6_vgpr7
.LBB55_917:
	s_mov_b64 s[12:13], 0
.LBB55_918:
	s_and_b64 s[10:11], s[8:9], exec
	s_and_b64 s[8:9], s[12:13], exec
	s_andn2_b64 s[12:13], s[68:69], exec
	s_and_b64 s[0:1], s[0:1], exec
	s_and_b64 s[2:3], s[2:3], exec
	s_or_b64 s[12:13], s[12:13], s[0:1]
.LBB55_919:
	s_or_b64 exec, exec, s[72:73]
	s_and_b64 s[0:1], s[2:3], exec
	s_andn2_b64 s[2:3], s[68:69], exec
	s_and_b64 s[12:13], s[12:13], exec
	s_and_b64 s[10:11], s[10:11], exec
	;; [unrolled: 1-line block ×3, first 2 shown]
	s_or_b64 s[68:69], s[2:3], s[12:13]
.LBB55_920:
	s_or_b64 exec, exec, s[66:67]
	s_andn2_b64 s[2:3], s[62:63], exec
	s_and_b64 s[12:13], s[70:71], exec
	s_or_b64 s[62:63], s[2:3], s[12:13]
	s_and_b64 s[2:3], s[0:1], exec
	s_andn2_b64 s[0:1], s[60:61], exec
	s_and_b64 s[12:13], s[68:69], exec
	s_and_b64 s[10:11], s[10:11], exec
	;; [unrolled: 1-line block ×3, first 2 shown]
	s_or_b64 s[60:61], s[0:1], s[12:13]
.LBB55_921:
	s_or_b64 exec, exec, s[64:65]
	s_andn2_b64 s[0:1], s[54:55], exec
	s_and_b64 s[12:13], s[62:63], exec
	s_or_b64 s[54:55], s[0:1], s[12:13]
	s_and_b64 s[0:1], s[10:11], exec
	s_and_b64 s[10:11], s[8:9], exec
	;; [unrolled: 1-line block ×3, first 2 shown]
	s_andn2_b64 s[2:3], s[56:57], exec
	s_and_b64 s[8:9], s[60:61], exec
	s_or_b64 s[56:57], s[2:3], s[8:9]
	s_or_b64 exec, exec, s[58:59]
	s_mov_b64 s[2:3], 0
	s_and_saveexec_b64 s[8:9], s[56:57]
	s_cbranch_execz .LBB55_276
.LBB55_922:
	s_mov_b64 s[2:3], exec
	s_andn2_b64 s[62:63], s[62:63], exec
	s_trap 2
                                        ; implicit-def: $vgpr6_vgpr7
	s_or_b64 exec, exec, s[8:9]
	s_and_saveexec_b64 s[8:9], s[62:63]
	s_xor_b64 s[8:9], exec, s[8:9]
	s_cbranch_execnz .LBB55_277
.LBB55_923:
	s_or_b64 exec, exec, s[8:9]
	s_and_saveexec_b64 s[8:9], s[10:11]
	s_cbranch_execz .LBB55_969
.LBB55_924:
	v_cmp_gt_i16_e32 vcc, 5, v8
	s_cbranch_vccnz .LBB55_929
; %bb.925:
	v_cmp_gt_i16_e32 vcc, 8, v8
	s_cbranch_vccnz .LBB55_930
; %bb.926:
	v_cmp_gt_i16_e32 vcc, 9, v8
	s_cbranch_vccnz .LBB55_931
; %bb.927:
	v_cmp_lt_i16_e32 vcc, 9, v8
	s_cbranch_vccz .LBB55_932
; %bb.928:
	global_load_dwordx2 v[6:7], v[0:1], off
	s_mov_b64 s[10:11], 0
	s_branch .LBB55_933
.LBB55_929:
                                        ; implicit-def: $vgpr6_vgpr7
	s_branch .LBB55_950
.LBB55_930:
                                        ; implicit-def: $vgpr6_vgpr7
	s_branch .LBB55_939
.LBB55_931:
	s_mov_b64 s[10:11], -1
                                        ; implicit-def: $vgpr6_vgpr7
	s_branch .LBB55_936
.LBB55_932:
	s_mov_b64 s[10:11], -1
                                        ; implicit-def: $vgpr6_vgpr7
.LBB55_933:
	s_andn2_b64 vcc, exec, s[10:11]
	s_cbranch_vccnz .LBB55_935
; %bb.934:
	global_load_dword v3, v[0:1], off
	s_waitcnt vmcnt(0)
	v_cvt_f64_f32_e32 v[6:7], v3
.LBB55_935:
	s_mov_b64 s[10:11], 0
.LBB55_936:
	s_andn2_b64 vcc, exec, s[10:11]
	s_cbranch_vccnz .LBB55_938
; %bb.937:
	global_load_dword v3, v[0:1], off
	s_waitcnt vmcnt(0)
	v_cvt_f32_f16_e32 v3, v3
	v_cvt_f64_f32_e32 v[6:7], v3
.LBB55_938:
	s_cbranch_execnz .LBB55_949
.LBB55_939:
	v_cmp_gt_i16_e32 vcc, 6, v8
	s_cbranch_vccnz .LBB55_942
; %bb.940:
	v_cmp_lt_i16_e32 vcc, 6, v8
	s_cbranch_vccz .LBB55_943
; %bb.941:
	global_load_dwordx2 v[6:7], v[0:1], off
	s_mov_b64 s[10:11], 0
	s_branch .LBB55_944
.LBB55_942:
	s_mov_b64 s[10:11], -1
                                        ; implicit-def: $vgpr6_vgpr7
	s_branch .LBB55_947
.LBB55_943:
	s_mov_b64 s[10:11], -1
                                        ; implicit-def: $vgpr6_vgpr7
.LBB55_944:
	s_andn2_b64 vcc, exec, s[10:11]
	s_cbranch_vccnz .LBB55_946
; %bb.945:
	global_load_dword v3, v[0:1], off
	s_waitcnt vmcnt(0)
	v_cvt_f64_f32_e32 v[6:7], v3
.LBB55_946:
	s_mov_b64 s[10:11], 0
.LBB55_947:
	s_andn2_b64 vcc, exec, s[10:11]
	s_cbranch_vccnz .LBB55_949
; %bb.948:
	global_load_ushort v3, v[0:1], off
	s_waitcnt vmcnt(0)
	v_cvt_f32_f16_e32 v3, v3
	v_cvt_f64_f32_e32 v[6:7], v3
.LBB55_949:
	s_cbranch_execnz .LBB55_968
.LBB55_950:
	v_cmp_gt_i16_e32 vcc, 2, v8
	s_cbranch_vccnz .LBB55_954
; %bb.951:
	v_cmp_gt_i16_e32 vcc, 3, v8
	s_cbranch_vccnz .LBB55_955
; %bb.952:
	v_cmp_lt_i16_e32 vcc, 3, v8
	s_cbranch_vccz .LBB55_956
; %bb.953:
	global_load_dwordx2 v[4:5], v[0:1], off
	s_mov_b64 s[10:11], 0
	s_waitcnt vmcnt(0)
	v_cvt_f64_i32_e32 v[6:7], v5
	v_cvt_f64_u32_e32 v[4:5], v4
	v_ldexp_f64 v[6:7], v[6:7], 32
	v_add_f64 v[6:7], v[6:7], v[4:5]
	s_branch .LBB55_957
.LBB55_954:
                                        ; implicit-def: $vgpr6_vgpr7
	s_branch .LBB55_963
.LBB55_955:
	s_mov_b64 s[10:11], -1
                                        ; implicit-def: $vgpr6_vgpr7
	s_branch .LBB55_960
.LBB55_956:
	s_mov_b64 s[10:11], -1
                                        ; implicit-def: $vgpr6_vgpr7
.LBB55_957:
	s_andn2_b64 vcc, exec, s[10:11]
	s_cbranch_vccnz .LBB55_959
; %bb.958:
	global_load_dword v3, v[0:1], off
	s_waitcnt vmcnt(0)
	v_cvt_f64_i32_e32 v[6:7], v3
.LBB55_959:
	s_mov_b64 s[10:11], 0
.LBB55_960:
	s_andn2_b64 vcc, exec, s[10:11]
	s_cbranch_vccnz .LBB55_962
; %bb.961:
	global_load_sshort v3, v[0:1], off
	s_waitcnt vmcnt(0)
	v_cvt_f64_i32_e32 v[6:7], v3
.LBB55_962:
	s_cbranch_execnz .LBB55_968
.LBB55_963:
	v_cmp_lt_i16_e32 vcc, 0, v8
	s_cbranch_vccz .LBB55_965
; %bb.964:
	global_load_sbyte v3, v[0:1], off
	s_mov_b64 s[10:11], 0
	s_waitcnt vmcnt(0)
	v_cvt_f64_i32_e32 v[6:7], v3
	s_branch .LBB55_966
.LBB55_965:
	s_mov_b64 s[10:11], -1
                                        ; implicit-def: $vgpr6_vgpr7
.LBB55_966:
	s_andn2_b64 vcc, exec, s[10:11]
	s_cbranch_vccnz .LBB55_968
; %bb.967:
	global_load_ubyte v0, v[0:1], off
	s_waitcnt vmcnt(0)
	v_cvt_f64_u32_e32 v[6:7], v0
.LBB55_968:
	s_or_b64 s[0:1], s[0:1], exec
.LBB55_969:
	s_or_b64 exec, exec, s[8:9]
	s_mov_b64 s[12:13], 0
	s_mov_b64 s[10:11], 0
                                        ; implicit-def: $vgpr6
                                        ; implicit-def: $vgpr4_vgpr5
                                        ; implicit-def: $vgpr0_vgpr1
	s_and_saveexec_b64 s[8:9], s[0:1]
	s_cbranch_execz .LBB55_1044
; %bb.970:
	v_mov_b32_e32 v3, s25
	s_waitcnt vmcnt(0)
	v_add_co_u32_e32 v4, vcc, s24, v2
	v_mov_b32_e32 v2, 0xff
	v_addc_co_u32_e32 v5, vcc, 0, v3, vcc
	v_and_b32_e32 v6, s77, v2
	s_brev_b32 s0, -2
	v_mov_b32_e32 v0, s45
	v_cmp_gt_i16_e32 vcc, 11, v6
	v_bfi_b32 v1, s0, v0, v7
	v_mov_b32_e32 v0, s44
	s_cbranch_vccnz .LBB55_1047
; %bb.971:
	v_cmp_lt_i16_e32 vcc, 25, v6
	s_mov_b64 s[12:13], -1
	s_mov_b64 s[0:1], s[54:55]
	s_cbranch_vccz .LBB55_1004
; %bb.972:
	v_cmp_lt_i16_e32 vcc, 28, v6
	s_mov_b64 s[10:11], -1
	s_mov_b64 s[0:1], s[54:55]
	s_cbranch_vccz .LBB55_988
; %bb.973:
	v_cmp_lt_i16_e32 vcc, 43, v6
	s_mov_b64 s[0:1], s[54:55]
	s_cbranch_vccz .LBB55_984
; %bb.974:
	v_cmp_lt_i16_e32 vcc, 45, v6
	s_mov_b64 s[0:1], s[54:55]
	s_cbranch_vccz .LBB55_978
; %bb.975:
	v_cmp_eq_u16_e32 vcc, 46, v6
	s_mov_b64 s[0:1], -1
	s_cbranch_vccz .LBB55_977
; %bb.976:
	v_cvt_f32_f64_e32 v2, v[0:1]
	v_bfe_u32 v3, v2, 16, 1
	s_movk_i32 s0, 0x7fff
	v_add3_u32 v3, v2, v3, s0
	v_lshrrev_b32_e32 v3, 16, v3
	v_mov_b32_e32 v7, 0x7fc0
	v_cmp_o_f32_e32 vcc, v2, v2
	v_cndmask_b32_e32 v2, v7, v3, vcc
	global_store_dword v[4:5], v2, off
	s_mov_b64 s[0:1], 0
.LBB55_977:
	s_mov_b64 s[10:11], 0
.LBB55_978:
	s_and_b64 vcc, exec, s[10:11]
	s_cbranch_vccz .LBB55_983
; %bb.979:
	v_cmp_eq_u16_e32 vcc, 44, v6
	s_mov_b64 s[0:1], -1
	s_cbranch_vccz .LBB55_983
; %bb.980:
	v_cvt_f32_f64_e32 v2, v[0:1]
	v_bfe_u32 v3, v2, 23, 8
	s_movk_i32 s0, 0xff
	v_cmp_ne_u32_e32 vcc, s0, v3
	v_mov_b32_e32 v7, 0xff
	s_and_saveexec_b64 s[10:11], vcc
; %bb.981:
	s_mov_b32 s0, 0x3fffff
	v_lshrrev_b32_e32 v7, 23, v2
	v_and_b32_e32 v8, 0x400000, v2
	v_and_or_b32 v2, v2, s0, v3
	v_cmp_ne_u32_e32 vcc, 0, v8
	v_cmp_ne_u32_e64 s[0:1], 0, v2
	s_and_b64 s[0:1], vcc, s[0:1]
	v_cndmask_b32_e64 v2, 0, 1, s[0:1]
	v_add_u32_e32 v7, v7, v2
; %bb.982:
	s_or_b64 exec, exec, s[10:11]
	s_mov_b64 s[0:1], 0
	global_store_byte v[4:5], v7, off
.LBB55_983:
	s_mov_b64 s[10:11], 0
.LBB55_984:
	s_and_b64 vcc, exec, s[10:11]
	s_cbranch_vccz .LBB55_987
; %bb.985:
	v_cmp_eq_u16_e32 vcc, 29, v6
	s_mov_b64 s[0:1], -1
	s_cbranch_vccz .LBB55_987
; %bb.986:
	v_trunc_f64_e32 v[2:3], v[0:1]
	s_movk_i32 s0, 0xffe0
	v_ldexp_f64 v[8:9], v[2:3], s0
	v_floor_f64_e32 v[8:9], v[8:9]
	v_fmac_f64_e32 v[2:3], 0xc1f00000, v[8:9]
	v_cvt_u32_f64_e32 v11, v[8:9]
	v_cvt_u32_f64_e32 v10, v[2:3]
	global_store_dwordx2 v[4:5], v[10:11], off
	s_mov_b64 s[0:1], 0
.LBB55_987:
	s_mov_b64 s[10:11], 0
.LBB55_988:
	s_and_b64 vcc, exec, s[10:11]
	s_cbranch_vccz .LBB55_1003
; %bb.989:
	v_cmp_gt_i16_e32 vcc, 27, v6
	s_mov_b64 s[10:11], -1
	s_cbranch_vccnz .LBB55_995
; %bb.990:
	v_cmp_lt_i16_e32 vcc, 27, v6
	s_cbranch_vccz .LBB55_992
; %bb.991:
	v_cvt_u32_f64_e32 v2, v[0:1]
	s_mov_b64 s[10:11], 0
	global_store_dword v[4:5], v2, off
.LBB55_992:
	s_andn2_b64 vcc, exec, s[10:11]
	s_cbranch_vccnz .LBB55_994
; %bb.993:
	v_cvt_u32_f64_e32 v2, v[0:1]
	global_store_short v[4:5], v2, off
.LBB55_994:
	s_mov_b64 s[10:11], 0
.LBB55_995:
	s_andn2_b64 vcc, exec, s[10:11]
	s_cbranch_vccnz .LBB55_1003
; %bb.996:
	v_cvt_f32_f64_e32 v2, v[0:1]
	v_and_b32_e32 v3, 0x7fffffff, v2
	s_mov_b32 s10, 0x43800000
	v_cmp_gt_u32_e32 vcc, s10, v3
	v_mov_b32_e32 v7, 0x80
	s_and_saveexec_b64 s[10:11], vcc
	s_cbranch_execz .LBB55_1002
; %bb.997:
	s_mov_b32 s12, 0x3bffffff
	v_cmp_lt_u32_e32 vcc, s12, v3
	s_mov_b64 s[12:13], 0
                                        ; implicit-def: $vgpr3
	s_and_saveexec_b64 s[14:15], vcc
	s_xor_b64 s[14:15], exec, s[14:15]
	s_cbranch_execz .LBB55_1160
; %bb.998:
	v_bfe_u32 v3, v2, 20, 1
	s_mov_b32 s16, 0x487ffff
	v_add3_u32 v3, v2, v3, s16
	s_mov_b64 s[12:13], exec
	v_lshrrev_b32_e32 v3, 20, v3
	s_or_saveexec_b64 s[14:15], s[14:15]
                                        ; implicit-def: $sgpr16
	s_xor_b64 exec, exec, s[14:15]
	s_cbranch_execnz .LBB55_1161
.LBB55_999:
	s_or_b64 exec, exec, s[14:15]
	v_mov_b32_e32 v7, s16
	s_and_saveexec_b64 s[14:15], s[12:13]
.LBB55_1000:
	v_lshrrev_b32_e32 v2, 24, v2
	s_movk_i32 s12, 0x80
	v_and_or_b32 v7, v2, s12, v3
.LBB55_1001:
	s_or_b64 exec, exec, s[14:15]
.LBB55_1002:
	s_or_b64 exec, exec, s[10:11]
	global_store_byte v[4:5], v7, off
.LBB55_1003:
	s_mov_b64 s[12:13], 0
.LBB55_1004:
	s_mov_b64 s[10:11], 0
	s_and_b64 vcc, exec, s[12:13]
	s_cbranch_vccz .LBB55_1048
; %bb.1005:
	v_cmp_lt_i16_e32 vcc, 22, v6
	s_mov_b64 s[12:13], -1
	s_cbranch_vccz .LBB55_1037
; %bb.1006:
	v_cmp_gt_i16_e32 vcc, 24, v6
	s_cbranch_vccnz .LBB55_1026
; %bb.1007:
	v_cmp_lt_i16_e32 vcc, 24, v6
	s_cbranch_vccz .LBB55_1015
; %bb.1008:
	v_cvt_f32_f64_e32 v2, v[0:1]
	v_and_b32_e32 v3, 0x7fffffff, v2
	s_mov_b32 s12, 0x47800000
	v_cmp_gt_u32_e32 vcc, s12, v3
	v_mov_b32_e32 v7, 0x80
	s_and_saveexec_b64 s[12:13], vcc
	s_cbranch_execz .LBB55_1014
; %bb.1009:
	s_mov_b32 s14, 0x37ffffff
	v_cmp_lt_u32_e32 vcc, s14, v3
	s_mov_b64 s[14:15], 0
                                        ; implicit-def: $vgpr3
	s_and_saveexec_b64 s[16:17], vcc
	s_xor_b64 s[16:17], exec, s[16:17]
	s_cbranch_execz .LBB55_1285
; %bb.1010:
	v_bfe_u32 v3, v2, 21, 1
	s_mov_b32 s18, 0x88fffff
	v_add3_u32 v3, v2, v3, s18
	s_mov_b64 s[14:15], exec
	v_lshrrev_b32_e32 v3, 21, v3
	s_or_saveexec_b64 s[16:17], s[16:17]
                                        ; implicit-def: $sgpr18
	s_xor_b64 exec, exec, s[16:17]
	s_cbranch_execnz .LBB55_1286
.LBB55_1011:
	s_or_b64 exec, exec, s[16:17]
	v_mov_b32_e32 v7, s18
	s_and_saveexec_b64 s[16:17], s[14:15]
.LBB55_1012:
	v_lshrrev_b32_e32 v2, 24, v2
	s_movk_i32 s14, 0x80
	v_and_or_b32 v7, v2, s14, v3
.LBB55_1013:
	s_or_b64 exec, exec, s[16:17]
.LBB55_1014:
	s_or_b64 exec, exec, s[12:13]
	s_mov_b64 s[12:13], 0
	global_store_byte v[4:5], v7, off
.LBB55_1015:
	s_and_b64 vcc, exec, s[12:13]
	s_cbranch_vccz .LBB55_1025
; %bb.1016:
	v_cvt_f32_f64_e32 v2, v[0:1]
	v_and_b32_e32 v7, 0x7fffffff, v2
	s_mov_b32 s12, 0x43f00000
	v_cmp_gt_u32_e32 vcc, s12, v7
                                        ; implicit-def: $vgpr3
	s_and_saveexec_b64 s[12:13], vcc
	s_xor_b64 s[12:13], exec, s[12:13]
	s_cbranch_execz .LBB55_1022
; %bb.1017:
	s_mov_b32 s14, 0x3c7fffff
	v_cmp_lt_u32_e32 vcc, s14, v7
                                        ; implicit-def: $vgpr3
	s_and_saveexec_b64 s[14:15], vcc
	s_xor_b64 s[14:15], exec, s[14:15]
; %bb.1018:
	v_bfe_u32 v3, v2, 20, 1
	s_mov_b32 s16, 0x407ffff
	v_add3_u32 v3, v2, v3, s16
	v_lshrrev_b32_e32 v7, 20, v3
	v_and_b32_e32 v3, 0xff00000, v3
	s_mov_b32 s16, 0x7f00000
	v_mov_b32_e32 v8, 0x7e
	v_cmp_ne_u32_e32 vcc, s16, v3
	v_cndmask_b32_e32 v3, v8, v7, vcc
; %bb.1019:
	s_andn2_saveexec_b64 s[14:15], s[14:15]
; %bb.1020:
	s_mov_b32 s16, 0x46800000
	v_add_f32_e64 v3, |v2|, s16
; %bb.1021:
	s_or_b64 exec, exec, s[14:15]
                                        ; implicit-def: $vgpr7
.LBB55_1022:
	s_andn2_saveexec_b64 s[12:13], s[12:13]
; %bb.1023:
	s_mov_b32 s14, 0x7f800000
	v_mov_b32_e32 v3, 0x7e
	v_mov_b32_e32 v8, 0x7f
	v_cmp_lt_u32_e32 vcc, s14, v7
	v_cndmask_b32_e32 v3, v3, v8, vcc
; %bb.1024:
	s_or_b64 exec, exec, s[12:13]
	v_lshrrev_b32_e32 v2, 24, v2
	s_movk_i32 s12, 0x80
	v_and_or_b32 v2, v2, s12, v3
	global_store_byte v[4:5], v2, off
.LBB55_1025:
	s_mov_b64 s[12:13], 0
.LBB55_1026:
	s_andn2_b64 vcc, exec, s[12:13]
	s_cbranch_vccnz .LBB55_1036
; %bb.1027:
	v_cvt_f32_f64_e32 v2, v[0:1]
	v_and_b32_e32 v7, 0x7fffffff, v2
	s_mov_b32 s12, 0x47800000
	v_cmp_gt_u32_e32 vcc, s12, v7
                                        ; implicit-def: $vgpr3
	s_and_saveexec_b64 s[12:13], vcc
	s_xor_b64 s[12:13], exec, s[12:13]
	s_cbranch_execz .LBB55_1033
; %bb.1028:
	s_mov_b32 s14, 0x387fffff
	v_cmp_lt_u32_e32 vcc, s14, v7
                                        ; implicit-def: $vgpr3
	s_and_saveexec_b64 s[14:15], vcc
	s_xor_b64 s[14:15], exec, s[14:15]
; %bb.1029:
	v_bfe_u32 v3, v2, 21, 1
	s_mov_b32 s16, 0x80fffff
	v_add3_u32 v3, v2, v3, s16
	v_lshrrev_b32_e32 v3, 21, v3
; %bb.1030:
	s_andn2_saveexec_b64 s[14:15], s[14:15]
; %bb.1031:
	s_mov_b32 s16, 0x43000000
	v_add_f32_e64 v3, |v2|, s16
; %bb.1032:
	s_or_b64 exec, exec, s[14:15]
                                        ; implicit-def: $vgpr7
.LBB55_1033:
	s_andn2_saveexec_b64 s[12:13], s[12:13]
; %bb.1034:
	s_mov_b32 s14, 0x7f800000
	v_mov_b32_e32 v3, 0x7c
	v_mov_b32_e32 v8, 0x7f
	v_cmp_lt_u32_e32 vcc, s14, v7
	v_cndmask_b32_e32 v3, v3, v8, vcc
; %bb.1035:
	s_or_b64 exec, exec, s[12:13]
	v_lshrrev_b32_e32 v2, 24, v2
	s_movk_i32 s12, 0x80
	v_and_or_b32 v2, v2, s12, v3
	global_store_byte v[4:5], v2, off
.LBB55_1036:
	s_mov_b64 s[12:13], 0
.LBB55_1037:
	s_andn2_b64 vcc, exec, s[12:13]
	s_mov_b64 s[12:13], 0
	s_cbranch_vccnz .LBB55_1049
; %bb.1038:
	v_cmp_lt_i16_e32 vcc, 14, v6
	s_mov_b64 s[14:15], -1
	s_cbranch_vccz .LBB55_1042
; %bb.1039:
	v_cmp_eq_u16_e32 vcc, 15, v6
	s_mov_b64 s[0:1], -1
	s_cbranch_vccz .LBB55_1041
; %bb.1040:
	v_cvt_f32_f64_e32 v2, v[0:1]
	v_bfe_u32 v3, v2, 16, 1
	s_movk_i32 s0, 0x7fff
	v_add3_u32 v3, v2, v3, s0
	v_lshrrev_b32_e32 v3, 16, v3
	v_mov_b32_e32 v7, 0x7fc0
	v_cmp_o_f32_e32 vcc, v2, v2
	v_cndmask_b32_e32 v2, v7, v3, vcc
	global_store_short v[4:5], v2, off
	s_mov_b64 s[0:1], 0
.LBB55_1041:
	s_mov_b64 s[14:15], 0
.LBB55_1042:
	s_and_b64 vcc, exec, s[14:15]
	s_cbranch_vccz .LBB55_1049
; %bb.1043:
	v_cmp_ne_u16_e32 vcc, 11, v6
	s_andn2_b64 s[0:1], s[0:1], exec
	s_and_b64 s[14:15], vcc, exec
	s_mov_b64 s[12:13], -1
	s_or_b64 s[0:1], s[0:1], s[14:15]
	s_branch .LBB55_1049
.LBB55_1044:
	s_or_b64 exec, exec, s[8:9]
	s_and_saveexec_b64 s[0:1], s[54:55]
	s_cbranch_execnz .LBB55_1050
.LBB55_1045:
	s_or_b64 exec, exec, s[0:1]
	s_and_saveexec_b64 s[0:1], s[12:13]
	s_xor_b64 s[0:1], exec, s[0:1]
	s_cbranch_execz .LBB55_1051
.LBB55_1046:
	v_cmp_neq_f64_e32 vcc, 0, v[0:1]
	v_cndmask_b32_e64 v2, 0, 1, vcc
	s_waitcnt vmcnt(0)
	global_store_byte v[4:5], v2, off
	s_or_b64 exec, exec, s[0:1]
	s_and_saveexec_b64 s[0:1], s[10:11]
	s_xor_b64 s[0:1], exec, s[0:1]
	s_cbranch_execz .LBB55_1089
	s_branch .LBB55_1052
.LBB55_1047:
	s_mov_b64 s[10:11], -1
	s_mov_b64 s[0:1], s[54:55]
	s_branch .LBB55_1049
.LBB55_1048:
	s_mov_b64 s[12:13], 0
.LBB55_1049:
	s_andn2_b64 s[14:15], s[54:55], exec
	s_and_b64 s[0:1], s[0:1], exec
	s_and_b64 s[10:11], s[10:11], exec
	;; [unrolled: 1-line block ×3, first 2 shown]
	s_or_b64 s[54:55], s[14:15], s[0:1]
	s_or_b64 exec, exec, s[8:9]
	s_and_saveexec_b64 s[0:1], s[54:55]
	s_cbranch_execz .LBB55_1045
.LBB55_1050:
	s_or_b64 s[2:3], s[2:3], exec
	s_andn2_b64 s[12:13], s[12:13], exec
	s_trap 2
	s_or_b64 exec, exec, s[0:1]
	s_and_saveexec_b64 s[0:1], s[12:13]
	s_xor_b64 s[0:1], exec, s[0:1]
	s_cbranch_execnz .LBB55_1046
.LBB55_1051:
	s_or_b64 exec, exec, s[0:1]
	s_and_saveexec_b64 s[0:1], s[10:11]
	s_xor_b64 s[0:1], exec, s[0:1]
	s_cbranch_execz .LBB55_1089
.LBB55_1052:
	s_waitcnt vmcnt(0)
	v_cmp_gt_i16_e32 vcc, 5, v6
	s_mov_b64 s[8:9], -1
	s_cbranch_vccnz .LBB55_1073
; %bb.1053:
	v_cmp_gt_i16_e32 vcc, 8, v6
	s_cbranch_vccnz .LBB55_1063
; %bb.1054:
	v_cmp_gt_i16_e32 vcc, 9, v6
	s_cbranch_vccnz .LBB55_1060
; %bb.1055:
	v_cmp_lt_i16_e32 vcc, 9, v6
	s_cbranch_vccz .LBB55_1057
; %bb.1056:
	v_mov_b32_e32 v2, 0
	v_mov_b32_e32 v3, v2
	s_mov_b64 s[8:9], 0
	global_store_dwordx4 v[4:5], v[0:3], off
.LBB55_1057:
	s_andn2_b64 vcc, exec, s[8:9]
	s_cbranch_vccnz .LBB55_1059
; %bb.1058:
	v_cvt_f32_f64_e32 v2, v[0:1]
	v_mov_b32_e32 v3, 0
	global_store_dwordx2 v[4:5], v[2:3], off
.LBB55_1059:
	s_mov_b64 s[8:9], 0
.LBB55_1060:
	s_andn2_b64 vcc, exec, s[8:9]
	s_cbranch_vccnz .LBB55_1062
; %bb.1061:
	v_cvt_f32_f64_e32 v2, v[0:1]
	v_cvt_f16_f32_e32 v2, v2
	global_store_dword v[4:5], v2, off
.LBB55_1062:
	s_mov_b64 s[8:9], 0
.LBB55_1063:
	s_andn2_b64 vcc, exec, s[8:9]
	s_cbranch_vccnz .LBB55_1072
; %bb.1064:
	v_cmp_gt_i16_e32 vcc, 6, v6
	s_mov_b64 s[8:9], -1
	s_cbranch_vccnz .LBB55_1070
; %bb.1065:
	v_cmp_lt_i16_e32 vcc, 6, v6
	s_cbranch_vccz .LBB55_1067
; %bb.1066:
	s_mov_b64 s[8:9], 0
	global_store_dwordx2 v[4:5], v[0:1], off
.LBB55_1067:
	s_andn2_b64 vcc, exec, s[8:9]
	s_cbranch_vccnz .LBB55_1069
; %bb.1068:
	v_cvt_f32_f64_e32 v2, v[0:1]
	global_store_dword v[4:5], v2, off
.LBB55_1069:
	s_mov_b64 s[8:9], 0
.LBB55_1070:
	s_andn2_b64 vcc, exec, s[8:9]
	s_cbranch_vccnz .LBB55_1072
; %bb.1071:
	v_cvt_f32_f64_e32 v2, v[0:1]
	v_cvt_f16_f32_e32 v2, v2
	global_store_short v[4:5], v2, off
.LBB55_1072:
	s_mov_b64 s[8:9], 0
.LBB55_1073:
	s_andn2_b64 vcc, exec, s[8:9]
	s_cbranch_vccnz .LBB55_1089
; %bb.1074:
	v_cmp_gt_i16_e32 vcc, 2, v6
	s_mov_b64 s[8:9], -1
	s_cbranch_vccnz .LBB55_1084
; %bb.1075:
	v_cmp_gt_i16_e32 vcc, 3, v6
	s_cbranch_vccnz .LBB55_1081
; %bb.1076:
	v_cmp_lt_i16_e32 vcc, 3, v6
	s_cbranch_vccz .LBB55_1078
; %bb.1077:
	v_trunc_f64_e32 v[2:3], v[0:1]
	s_movk_i32 s8, 0xffe0
	v_ldexp_f64 v[8:9], v[2:3], s8
	v_floor_f64_e32 v[8:9], v[8:9]
	v_fmac_f64_e32 v[2:3], 0xc1f00000, v[8:9]
	v_cvt_i32_f64_e32 v11, v[8:9]
	v_cvt_u32_f64_e32 v10, v[2:3]
	s_mov_b64 s[8:9], 0
	global_store_dwordx2 v[4:5], v[10:11], off
.LBB55_1078:
	s_andn2_b64 vcc, exec, s[8:9]
	s_cbranch_vccnz .LBB55_1080
; %bb.1079:
	v_cvt_i32_f64_e32 v2, v[0:1]
	global_store_dword v[4:5], v2, off
.LBB55_1080:
	s_mov_b64 s[8:9], 0
.LBB55_1081:
	s_andn2_b64 vcc, exec, s[8:9]
	s_cbranch_vccnz .LBB55_1083
; %bb.1082:
	v_cvt_i32_f64_e32 v2, v[0:1]
	global_store_short v[4:5], v2, off
.LBB55_1083:
	s_mov_b64 s[8:9], 0
.LBB55_1084:
	s_andn2_b64 vcc, exec, s[8:9]
	s_cbranch_vccnz .LBB55_1089
; %bb.1085:
	v_cmp_lt_i16_e32 vcc, 0, v6
	s_mov_b64 s[8:9], -1
	s_cbranch_vccz .LBB55_1087
; %bb.1086:
	v_cvt_i32_f64_e32 v2, v[0:1]
	s_mov_b64 s[8:9], 0
	global_store_byte v[4:5], v2, off
.LBB55_1087:
	s_andn2_b64 vcc, exec, s[8:9]
	s_cbranch_vccnz .LBB55_1089
; %bb.1088:
	v_trunc_f64_e32 v[0:1], v[0:1]
	s_movk_i32 s8, 0xffe0
	v_ldexp_f64 v[2:3], v[0:1], s8
	v_floor_f64_e32 v[2:3], v[2:3]
	v_fmac_f64_e32 v[0:1], 0xc1f00000, v[2:3]
	v_cvt_u32_f64_e32 v0, v[0:1]
	global_store_byte v[4:5], v0, off
.LBB55_1089:
	s_or_b64 exec, exec, s[0:1]
	s_and_b64 s[28:29], s[2:3], exec
                                        ; implicit-def: $vgpr15
                                        ; implicit-def: $vgpr12
.LBB55_1090:
	s_or_saveexec_b64 s[30:31], s[42:43]
	s_mov_b64 s[0:1], 0
                                        ; implicit-def: $vgpr4_vgpr5
                                        ; implicit-def: $sgpr18
                                        ; implicit-def: $vgpr0_vgpr1
	s_xor_b64 exec, exec, s[30:31]
	s_cbranch_execz .LBB55_2046
; %bb.1091:
	v_cndmask_b32_e64 v0, 0, 1, s[40:41]
	v_cmp_ne_u32_e64 s[0:1], 1, v0
	s_andn2_b64 vcc, exec, s[40:41]
	s_cbranch_vccnz .LBB55_1098
; %bb.1092:
	s_mov_b32 s2, 0
	s_cmp_lg_u32 s33, 0
	v_mov_b32_e32 v0, 0
	v_mov_b32_e32 v2, 0
	s_cbranch_scc0 .LBB55_1097
; %bb.1093:
	s_min_u32 s38, s76, 15
	s_add_i32 s38, s38, 1
	s_cmp_eq_u32 s76, 2
	s_cbranch_scc1 .LBB55_1099
; %bb.1094:
	s_add_u32 s6, s34, 0xc4
	s_addc_u32 s7, s35, 0
	s_and_b32 s2, s38, 28
	s_mov_b32 s3, 0
	v_mov_b32_e32 v2, 0
	s_mov_b64 s[36:37], s[34:35]
	v_mov_b32_e32 v1, v12
	v_mov_b32_e32 v0, 0
.LBB55_1095:                            ; =>This Inner Loop Header: Depth=1
	s_load_dwordx8 s[16:23], s[36:37], 0x4
	s_load_dwordx4 s[24:27], s[36:37], 0x24
	s_load_dwordx8 s[8:15], s[6:7], 0x0
	s_add_u32 s36, s36, 48
	s_addc_u32 s37, s37, 0
	s_waitcnt lgkmcnt(0)
	v_mul_hi_u32 v3, s17, v1
	v_add_u32_e32 v3, v1, v3
	v_lshrrev_b32_e32 v3, s18, v3
	s_waitcnt vmcnt(0)
	v_mul_lo_u32 v4, v3, s16
	v_mul_hi_u32 v5, s20, v3
	v_sub_u32_e32 v1, v1, v4
	v_add_u32_e32 v4, v3, v5
	v_lshrrev_b32_e32 v4, s21, v4
	v_mul_lo_u32 v6, v4, s19
	v_mul_hi_u32 v7, s23, v4
	v_sub_u32_e32 v3, v3, v6
	v_add_u32_e32 v6, v4, v7
	v_mul_lo_u32 v5, v1, s9
	v_mul_lo_u32 v1, v1, s8
	;; [unrolled: 1-line block ×4, first 2 shown]
	v_lshrrev_b32_e32 v6, s24, v6
	v_add3_u32 v2, v1, v2, v3
	v_mul_lo_u32 v1, v6, s22
	v_mul_hi_u32 v3, s26, v6
	v_sub_u32_e32 v1, v4, v1
	v_add_u32_e32 v3, v6, v3
	v_add3_u32 v0, v5, v0, v7
	v_mul_lo_u32 v4, v1, s12
	v_mul_lo_u32 v5, v1, s13
	v_lshrrev_b32_e32 v1, s27, v3
	s_add_i32 s3, s3, 4
	v_mul_lo_u32 v3, v1, s25
	s_add_u32 s6, s6, 32
	v_sub_u32_e32 v3, v6, v3
	s_addc_u32 s7, s7, 0
	v_mul_lo_u32 v6, v3, s14
	v_mul_lo_u32 v3, v3, s15
	s_cmp_lg_u32 s2, s3
	v_add3_u32 v0, v5, v0, v3
	v_add3_u32 v2, v4, v2, v6
	s_cbranch_scc1 .LBB55_1095
; %bb.1096:
	v_mov_b32_e32 v3, v0
	s_and_b32 s8, s38, 3
	s_cmp_eq_u32 s8, 0
	s_cbranch_scc0 .LBB55_1100
.LBB55_1097:
	s_cbranch_execz .LBB55_1103
	s_branch .LBB55_1105
.LBB55_1098:
                                        ; implicit-def: $vgpr0
                                        ; implicit-def: $vgpr2
	s_branch .LBB55_1103
.LBB55_1099:
	s_mov_b32 s3, s2
	v_pk_mov_b32 v[2:3], s[2:3], s[2:3] op_sel:[0,1]
                                        ; implicit-def: $vgpr0
	v_mov_b32_e32 v1, v12
	s_and_b32 s8, s38, 3
	s_cmp_eq_u32 s8, 0
	s_cbranch_scc1 .LBB55_1097
.LBB55_1100:
	s_lshl_b32 s3, s2, 3
	s_add_u32 s3, s3, s34
	s_addc_u32 s7, 0, s35
	s_add_u32 s6, s3, 0xc4
	s_addc_u32 s7, s7, 0
	s_mul_i32 s2, s2, 12
	s_add_u32 s2, s34, s2
	s_addc_u32 s3, 0, s35
.LBB55_1101:                            ; =>This Inner Loop Header: Depth=1
	s_load_dwordx2 s[10:11], s[2:3], 0x4
	s_load_dword s9, s[2:3], 0xc
	s_load_dwordx2 s[12:13], s[6:7], 0x0
	v_mov_b32_e32 v0, v3
	s_add_u32 s2, s2, 12
	s_waitcnt lgkmcnt(0)
	v_mul_hi_u32 v3, s11, v1
	v_add_u32_e32 v3, v1, v3
	v_lshrrev_b32_e32 v3, s9, v3
	s_addc_u32 s3, s3, 0
	s_waitcnt vmcnt(0)
	v_mul_lo_u32 v4, v3, s10
	s_add_u32 s6, s6, 8
	v_sub_u32_e32 v6, v1, v4
	v_mov_b32_e32 v1, v3
	s_addc_u32 s7, s7, 0
	s_add_i32 s8, s8, -1
	v_mad_u64_u32 v[4:5], s[10:11], v6, s13, v[0:1]
	v_mad_u64_u32 v[2:3], s[10:11], v6, s12, v[2:3]
	s_cmp_lg_u32 s8, 0
	v_mov_b32_e32 v3, v4
	s_cbranch_scc1 .LBB55_1101
; %bb.1102:
	v_mov_b32_e32 v0, v3
	s_cbranch_execnz .LBB55_1105
.LBB55_1103:
	s_load_dwordx4 s[8:11], s[34:35], 0x4
	s_load_dwordx2 s[2:3], s[34:35], 0xc4
	s_cmp_lt_u32 s33, 2
	s_waitcnt lgkmcnt(0)
	v_mul_hi_u32 v0, s9, v12
	v_add_u32_e32 v0, v12, v0
	v_lshrrev_b32_e32 v1, s10, v0
	v_mul_lo_u32 v0, v1, s8
	v_sub_u32_e32 v2, v12, v0
	v_mul_lo_u32 v0, v2, s3
	v_mul_lo_u32 v2, v2, s2
	s_cbranch_scc1 .LBB55_1105
; %bb.1104:
	s_load_dwordx4 s[8:11], s[34:35], 0x10
	s_load_dwordx2 s[2:3], s[34:35], 0xcc
	s_waitcnt lgkmcnt(0)
	v_mul_hi_u32 v3, s9, v1
	v_add_u32_e32 v3, v1, v3
	v_lshrrev_b32_e32 v3, s10, v3
	v_mul_lo_u32 v3, v3, s8
	v_sub_u32_e32 v1, v1, v3
	v_mad_u64_u32 v[2:3], s[6:7], v1, s2, v[2:3]
	v_mad_u64_u32 v[0:1], s[2:3], v1, s3, v[0:1]
.LBB55_1105:
	s_and_b64 vcc, exec, s[0:1]
	v_add_u32_e32 v1, 0x80, v12
	s_cbranch_vccnz .LBB55_1112
; %bb.1106:
	s_mov_b32 s2, 0
	s_cmp_lg_u32 s33, 0
	v_mov_b32_e32 v10, 0
	v_mov_b32_e32 v8, 0
	s_cbranch_scc0 .LBB55_1111
; %bb.1107:
	s_min_u32 s38, s76, 15
	s_add_i32 s38, s38, 1
	s_cmp_eq_u32 s76, 2
	s_cbranch_scc1 .LBB55_1113
; %bb.1108:
	s_add_u32 s6, s34, 0xc4
	s_addc_u32 s7, s35, 0
	s_and_b32 s2, s38, 28
	s_mov_b32 s3, 0
	v_mov_b32_e32 v8, 0
	s_mov_b64 s[36:37], s[34:35]
	v_mov_b32_e32 v3, v1
	v_mov_b32_e32 v10, 0
.LBB55_1109:                            ; =>This Inner Loop Header: Depth=1
	s_load_dwordx8 s[16:23], s[36:37], 0x4
	s_load_dwordx4 s[24:27], s[36:37], 0x24
	s_load_dwordx8 s[8:15], s[6:7], 0x0
	s_add_u32 s36, s36, 48
	s_addc_u32 s37, s37, 0
	s_waitcnt vmcnt(0) lgkmcnt(0)
	v_mul_hi_u32 v4, s17, v3
	v_add_u32_e32 v4, v3, v4
	v_lshrrev_b32_e32 v4, s18, v4
	v_mul_lo_u32 v5, v4, s16
	v_mul_hi_u32 v6, s20, v4
	v_sub_u32_e32 v3, v3, v5
	v_add_u32_e32 v5, v4, v6
	v_lshrrev_b32_e32 v5, s21, v5
	v_mul_lo_u32 v7, v5, s19
	v_mul_hi_u32 v9, s23, v5
	v_sub_u32_e32 v4, v4, v7
	v_add_u32_e32 v7, v5, v9
	v_mul_lo_u32 v6, v3, s9
	v_mul_lo_u32 v3, v3, s8
	;; [unrolled: 1-line block ×4, first 2 shown]
	v_lshrrev_b32_e32 v7, s24, v7
	v_add3_u32 v4, v3, v8, v4
	v_mul_lo_u32 v3, v7, s22
	v_mul_hi_u32 v8, s26, v7
	v_sub_u32_e32 v3, v5, v3
	v_add_u32_e32 v5, v7, v8
	v_add3_u32 v6, v6, v10, v9
	v_mul_lo_u32 v8, v3, s12
	v_mul_lo_u32 v9, v3, s13
	v_lshrrev_b32_e32 v3, s27, v5
	s_add_i32 s3, s3, 4
	v_mul_lo_u32 v5, v3, s25
	s_add_u32 s6, s6, 32
	v_sub_u32_e32 v5, v7, v5
	s_addc_u32 s7, s7, 0
	v_mul_lo_u32 v7, v5, s14
	v_mul_lo_u32 v5, v5, s15
	s_cmp_lg_u32 s2, s3
	v_add3_u32 v10, v9, v6, v5
	v_add3_u32 v8, v8, v4, v7
	s_cbranch_scc1 .LBB55_1109
; %bb.1110:
	v_mov_b32_e32 v9, v10
	s_and_b32 s8, s38, 3
	s_cmp_eq_u32 s8, 0
	s_cbranch_scc0 .LBB55_1114
.LBB55_1111:
	s_cbranch_execz .LBB55_1117
	s_branch .LBB55_1119
.LBB55_1112:
                                        ; implicit-def: $vgpr10
                                        ; implicit-def: $vgpr8
	s_branch .LBB55_1117
.LBB55_1113:
	s_mov_b32 s3, s2
	v_pk_mov_b32 v[8:9], s[2:3], s[2:3] op_sel:[0,1]
                                        ; implicit-def: $vgpr10
	v_mov_b32_e32 v3, v1
	s_and_b32 s8, s38, 3
	s_cmp_eq_u32 s8, 0
	s_cbranch_scc1 .LBB55_1111
.LBB55_1114:
	s_lshl_b32 s3, s2, 3
	s_add_u32 s3, s3, s34
	s_addc_u32 s7, 0, s35
	s_add_u32 s6, s3, 0xc4
	s_addc_u32 s7, s7, 0
	s_mul_i32 s2, s2, 12
	s_add_u32 s2, s34, s2
	s_addc_u32 s3, 0, s35
.LBB55_1115:                            ; =>This Inner Loop Header: Depth=1
	s_load_dwordx2 s[10:11], s[2:3], 0x4
	s_load_dword s9, s[2:3], 0xc
	s_load_dwordx2 s[12:13], s[6:7], 0x0
	s_add_u32 s2, s2, 12
	s_addc_u32 s3, s3, 0
	s_waitcnt vmcnt(0) lgkmcnt(0)
	v_mul_hi_u32 v5, s11, v3
	v_add_u32_e32 v5, v3, v5
	v_lshrrev_b32_e32 v5, s9, v5
	v_mul_lo_u32 v6, v5, s10
	v_mov_b32_e32 v4, v9
	s_add_u32 s6, s6, 8
	v_sub_u32_e32 v6, v3, v6
	s_addc_u32 s7, s7, 0
	s_add_i32 s8, s8, -1
	v_mov_b32_e32 v3, v5
	v_mad_u64_u32 v[4:5], s[10:11], v6, s13, v[4:5]
	v_mad_u64_u32 v[8:9], s[10:11], v6, s12, v[8:9]
	s_cmp_lg_u32 s8, 0
	v_mov_b32_e32 v9, v4
	s_cbranch_scc1 .LBB55_1115
; %bb.1116:
	v_mov_b32_e32 v10, v9
	s_cbranch_execnz .LBB55_1119
.LBB55_1117:
	s_load_dwordx4 s[8:11], s[34:35], 0x4
	s_load_dwordx2 s[2:3], s[34:35], 0xc4
	s_cmp_lt_u32 s33, 2
	s_waitcnt lgkmcnt(0)
	v_mul_hi_u32 v3, s9, v1
	v_add_u32_e32 v3, v1, v3
	v_lshrrev_b32_e32 v3, s10, v3
	s_waitcnt vmcnt(0)
	v_mul_lo_u32 v4, v3, s8
	v_sub_u32_e32 v1, v1, v4
	v_mul_lo_u32 v10, v1, s3
	v_mul_lo_u32 v8, v1, s2
	s_cbranch_scc1 .LBB55_1119
; %bb.1118:
	s_load_dwordx4 s[8:11], s[34:35], 0x10
	s_load_dwordx2 s[2:3], s[34:35], 0xcc
	s_waitcnt lgkmcnt(0)
	v_mul_hi_u32 v1, s9, v3
	v_add_u32_e32 v1, v3, v1
	v_lshrrev_b32_e32 v1, s10, v1
	v_mul_lo_u32 v1, v1, s8
	v_sub_u32_e32 v1, v3, v1
	v_mad_u64_u32 v[8:9], s[6:7], v1, s2, v[8:9]
	v_mad_u64_u32 v[10:11], s[2:3], v1, s3, v[10:11]
.LBB55_1119:
	s_and_b64 vcc, exec, s[0:1]
	v_add_u32_e32 v1, 0x100, v12
	s_cbranch_vccnz .LBB55_1126
; %bb.1120:
	s_mov_b32 s2, 0
	s_cmp_lg_u32 s33, 0
	v_mov_b32_e32 v12, 0
	s_waitcnt vmcnt(0)
	v_mov_b32_e32 v6, 0
	s_cbranch_scc0 .LBB55_1125
; %bb.1121:
	s_min_u32 s38, s76, 15
	s_add_i32 s38, s38, 1
	s_cmp_eq_u32 s76, 2
	s_cbranch_scc1 .LBB55_1127
; %bb.1122:
	s_add_u32 s6, s34, 0xc4
	s_addc_u32 s7, s35, 0
	s_and_b32 s2, s38, 28
	s_mov_b32 s3, 0
	v_mov_b32_e32 v6, 0
	s_mov_b64 s[36:37], s[34:35]
	v_mov_b32_e32 v3, v1
	v_mov_b32_e32 v12, 0
.LBB55_1123:                            ; =>This Inner Loop Header: Depth=1
	s_load_dwordx8 s[16:23], s[36:37], 0x4
	s_load_dwordx4 s[24:27], s[36:37], 0x24
	s_load_dwordx8 s[8:15], s[6:7], 0x0
	s_add_u32 s36, s36, 48
	s_addc_u32 s37, s37, 0
	s_waitcnt lgkmcnt(0)
	v_mul_hi_u32 v4, s17, v3
	v_add_u32_e32 v4, v3, v4
	v_lshrrev_b32_e32 v4, s18, v4
	v_mul_lo_u32 v5, v4, s16
	v_mul_hi_u32 v7, s20, v4
	v_sub_u32_e32 v3, v3, v5
	v_add_u32_e32 v5, v4, v7
	v_lshrrev_b32_e32 v5, s21, v5
	v_mul_lo_u32 v9, v5, s19
	v_mul_hi_u32 v11, s23, v5
	v_sub_u32_e32 v4, v4, v9
	v_add_u32_e32 v9, v5, v11
	v_mul_lo_u32 v7, v3, s9
	v_mul_lo_u32 v3, v3, s8
	;; [unrolled: 1-line block ×4, first 2 shown]
	v_lshrrev_b32_e32 v9, s24, v9
	v_add3_u32 v4, v3, v6, v4
	v_add3_u32 v6, v7, v12, v11
	v_mul_lo_u32 v3, v9, s22
	v_mul_hi_u32 v7, s26, v9
	v_sub_u32_e32 v3, v5, v3
	v_add_u32_e32 v5, v9, v7
	v_mul_lo_u32 v7, v3, s12
	v_mul_lo_u32 v11, v3, s13
	v_lshrrev_b32_e32 v3, s27, v5
	s_add_i32 s3, s3, 4
	v_mul_lo_u32 v5, v3, s25
	s_add_u32 s6, s6, 32
	v_sub_u32_e32 v5, v9, v5
	s_addc_u32 s7, s7, 0
	v_mul_lo_u32 v9, v5, s14
	v_mul_lo_u32 v5, v5, s15
	s_cmp_lg_u32 s2, s3
	v_add3_u32 v12, v11, v6, v5
	v_add3_u32 v6, v7, v4, v9
	s_cbranch_scc1 .LBB55_1123
; %bb.1124:
	v_mov_b32_e32 v7, v12
	s_and_b32 s8, s38, 3
	s_cmp_eq_u32 s8, 0
	s_cbranch_scc0 .LBB55_1128
.LBB55_1125:
	s_cbranch_execz .LBB55_1131
	s_branch .LBB55_1133
.LBB55_1126:
                                        ; implicit-def: $vgpr12
                                        ; implicit-def: $vgpr6
	s_branch .LBB55_1131
.LBB55_1127:
	s_mov_b32 s3, s2
	v_pk_mov_b32 v[6:7], s[2:3], s[2:3] op_sel:[0,1]
                                        ; implicit-def: $vgpr12
	v_mov_b32_e32 v3, v1
	s_and_b32 s8, s38, 3
	s_cmp_eq_u32 s8, 0
	s_cbranch_scc1 .LBB55_1125
.LBB55_1128:
	s_lshl_b32 s3, s2, 3
	s_add_u32 s3, s3, s34
	s_addc_u32 s7, 0, s35
	s_add_u32 s6, s3, 0xc4
	s_addc_u32 s7, s7, 0
	s_mul_i32 s2, s2, 12
	s_add_u32 s2, s34, s2
	s_addc_u32 s3, 0, s35
.LBB55_1129:                            ; =>This Inner Loop Header: Depth=1
	s_load_dwordx2 s[10:11], s[2:3], 0x4
	s_load_dword s9, s[2:3], 0xc
	s_load_dwordx2 s[12:13], s[6:7], 0x0
	s_add_u32 s2, s2, 12
	v_mov_b32_e32 v4, v7
	s_waitcnt lgkmcnt(0)
	v_mul_hi_u32 v5, s11, v3
	v_add_u32_e32 v5, v3, v5
	v_lshrrev_b32_e32 v5, s9, v5
	s_addc_u32 s3, s3, 0
	v_mul_lo_u32 v7, v5, s10
	s_add_u32 s6, s6, 8
	v_sub_u32_e32 v7, v3, v7
	s_addc_u32 s7, s7, 0
	s_add_i32 s8, s8, -1
	v_mov_b32_e32 v3, v5
	v_mad_u64_u32 v[4:5], s[10:11], v7, s13, v[4:5]
	v_mad_u64_u32 v[6:7], s[10:11], v7, s12, v[6:7]
	s_cmp_lg_u32 s8, 0
	v_mov_b32_e32 v7, v4
	s_cbranch_scc1 .LBB55_1129
; %bb.1130:
	v_mov_b32_e32 v12, v7
	s_cbranch_execnz .LBB55_1133
.LBB55_1131:
	s_load_dwordx4 s[8:11], s[34:35], 0x4
	s_load_dwordx2 s[2:3], s[34:35], 0xc4
	s_cmp_lt_u32 s33, 2
	s_waitcnt lgkmcnt(0)
	v_mul_hi_u32 v3, s9, v1
	v_add_u32_e32 v3, v1, v3
	v_lshrrev_b32_e32 v3, s10, v3
	s_waitcnt vmcnt(0)
	v_mul_lo_u32 v4, v3, s8
	v_sub_u32_e32 v1, v1, v4
	v_mul_lo_u32 v12, v1, s3
	v_mul_lo_u32 v6, v1, s2
	s_cbranch_scc1 .LBB55_1133
; %bb.1132:
	s_load_dwordx4 s[8:11], s[34:35], 0x10
	s_load_dwordx2 s[2:3], s[34:35], 0xcc
	s_waitcnt lgkmcnt(0)
	v_mul_hi_u32 v1, s9, v3
	v_add_u32_e32 v1, v3, v1
	v_lshrrev_b32_e32 v1, s10, v1
	v_mul_lo_u32 v1, v1, s8
	v_sub_u32_e32 v1, v3, v1
	v_mad_u64_u32 v[6:7], s[6:7], v1, s2, v[6:7]
	v_mad_u64_u32 v[12:13], s[2:3], v1, s3, v[12:13]
.LBB55_1133:
	s_and_b64 vcc, exec, s[0:1]
	s_cbranch_vccnz .LBB55_1140
; %bb.1134:
	s_mov_b32 s6, 0
	s_cmp_lg_u32 s33, 0
	v_mov_b32_e32 v14, 0
	s_waitcnt vmcnt(0)
	v_mov_b32_e32 v4, 0
	s_cbranch_scc0 .LBB55_1139
; %bb.1135:
	s_min_u32 s36, s76, 15
	s_add_i32 s36, s36, 1
	s_cmp_eq_u32 s76, 2
	s_cbranch_scc1 .LBB55_1141
; %bb.1136:
	s_add_u32 s24, s34, 0xc4
	s_addc_u32 s25, s35, 0
	s_and_b32 s6, s36, 28
	s_mov_b32 s7, 0
	v_mov_b32_e32 v4, 0
	s_mov_b64 s[26:27], s[34:35]
	v_mov_b32_e32 v1, v15
	v_mov_b32_e32 v14, 0
.LBB55_1137:                            ; =>This Inner Loop Header: Depth=1
	s_load_dwordx8 s[16:23], s[26:27], 0x4
	s_load_dwordx4 s[0:3], s[26:27], 0x24
	s_load_dwordx8 s[8:15], s[24:25], 0x0
	s_add_u32 s26, s26, 48
	s_addc_u32 s27, s27, 0
	s_waitcnt lgkmcnt(0)
	v_mul_hi_u32 v3, s17, v1
	v_add_u32_e32 v3, v1, v3
	v_lshrrev_b32_e32 v3, s18, v3
	v_mul_lo_u32 v5, v3, s16
	v_mul_hi_u32 v7, s20, v3
	v_sub_u32_e32 v1, v1, v5
	v_add_u32_e32 v5, v3, v7
	v_lshrrev_b32_e32 v5, s21, v5
	v_mul_lo_u32 v9, v5, s19
	v_mul_hi_u32 v11, s23, v5
	v_sub_u32_e32 v3, v3, v9
	v_add_u32_e32 v9, v5, v11
	v_mul_lo_u32 v7, v1, s9
	v_mul_lo_u32 v1, v1, s8
	;; [unrolled: 1-line block ×4, first 2 shown]
	v_lshrrev_b32_e32 v9, s0, v9
	v_add3_u32 v3, v1, v4, v3
	v_add3_u32 v4, v7, v14, v11
	v_mul_lo_u32 v1, v9, s22
	v_mul_hi_u32 v7, s2, v9
	v_sub_u32_e32 v1, v5, v1
	v_add_u32_e32 v5, v9, v7
	v_mul_lo_u32 v7, v1, s12
	v_mul_lo_u32 v11, v1, s13
	v_lshrrev_b32_e32 v1, s3, v5
	s_add_i32 s7, s7, 4
	v_mul_lo_u32 v5, v1, s1
	s_add_u32 s24, s24, 32
	v_sub_u32_e32 v5, v9, v5
	s_addc_u32 s25, s25, 0
	v_mul_lo_u32 v9, v5, s14
	v_mul_lo_u32 v5, v5, s15
	s_cmp_lg_u32 s6, s7
	v_add3_u32 v14, v11, v4, v5
	v_add3_u32 v4, v7, v3, v9
	s_cbranch_scc1 .LBB55_1137
; %bb.1138:
	v_mov_b32_e32 v5, v14
	s_and_b32 s7, s36, 3
	s_cmp_eq_u32 s7, 0
	s_cbranch_scc0 .LBB55_1142
.LBB55_1139:
	s_cbranch_execz .LBB55_1145
	s_branch .LBB55_1147
.LBB55_1140:
                                        ; implicit-def: $vgpr14
                                        ; implicit-def: $vgpr4
	s_branch .LBB55_1145
.LBB55_1141:
	s_mov_b32 s7, s6
	v_pk_mov_b32 v[4:5], s[6:7], s[6:7] op_sel:[0,1]
                                        ; implicit-def: $vgpr14
	v_mov_b32_e32 v1, v15
	s_and_b32 s7, s36, 3
	s_cmp_eq_u32 s7, 0
	s_cbranch_scc1 .LBB55_1139
.LBB55_1142:
	s_lshl_b32 s0, s6, 3
	s_add_u32 s0, s0, s34
	s_addc_u32 s1, 0, s35
	s_add_u32 s0, s0, 0xc4
	s_addc_u32 s1, s1, 0
	s_mul_i32 s2, s6, 12
	s_add_u32 s2, s34, s2
	s_addc_u32 s3, 0, s35
.LBB55_1143:                            ; =>This Inner Loop Header: Depth=1
	s_load_dwordx2 s[8:9], s[2:3], 0x4
	s_load_dword s6, s[2:3], 0xc
	s_load_dwordx2 s[10:11], s[0:1], 0x0
	s_add_u32 s2, s2, 12
	v_mov_b32_e32 v14, v5
	s_waitcnt lgkmcnt(0)
	v_mul_hi_u32 v3, s9, v1
	v_add_u32_e32 v3, v1, v3
	v_lshrrev_b32_e32 v3, s6, v3
	s_addc_u32 s3, s3, 0
	v_mul_lo_u32 v5, v3, s8
	s_add_u32 s0, s0, 8
	v_sub_u32_e32 v5, v1, v5
	s_addc_u32 s1, s1, 0
	s_add_i32 s7, s7, -1
	v_mad_u64_u32 v[16:17], s[8:9], v5, s11, v[14:15]
	v_mad_u64_u32 v[4:5], s[8:9], v5, s10, v[4:5]
	s_cmp_lg_u32 s7, 0
	v_mov_b32_e32 v1, v3
	v_mov_b32_e32 v5, v16
	s_cbranch_scc1 .LBB55_1143
; %bb.1144:
	v_mov_b32_e32 v14, v5
	s_cbranch_execnz .LBB55_1147
.LBB55_1145:
	s_load_dwordx4 s[0:3], s[34:35], 0x4
	s_load_dwordx2 s[6:7], s[34:35], 0xc4
	s_cmp_lt_u32 s33, 2
	s_waitcnt lgkmcnt(0)
	v_mul_hi_u32 v1, s1, v15
	v_add_u32_e32 v1, v15, v1
	v_lshrrev_b32_e32 v1, s2, v1
	v_mul_lo_u32 v3, v1, s0
	v_sub_u32_e32 v3, v15, v3
	v_mul_lo_u32 v14, v3, s7
	s_waitcnt vmcnt(0)
	v_mul_lo_u32 v4, v3, s6
	s_cbranch_scc1 .LBB55_1147
; %bb.1146:
	s_load_dwordx4 s[0:3], s[34:35], 0x10
	s_load_dwordx2 s[6:7], s[34:35], 0xcc
	s_waitcnt lgkmcnt(0)
	v_mul_hi_u32 v3, s1, v1
	v_add_u32_e32 v3, v1, v3
	v_lshrrev_b32_e32 v3, s2, v3
	v_mul_lo_u32 v3, v3, s0
	v_sub_u32_e32 v1, v1, v3
	v_mad_u64_u32 v[4:5], s[0:1], v1, s6, v[4:5]
	v_mad_u64_u32 v[14:15], s[0:1], v1, s7, v[14:15]
.LBB55_1147:
	s_load_dword s0, s[4:5], 0x170
	s_load_dwordx4 s[8:11], s[34:35], 0x148
	s_waitcnt lgkmcnt(0)
	s_lshr_b32 s18, s0, 8
	v_mov_b32_e32 v1, s11
	v_add_co_u32_e32 v16, vcc, s10, v0
	v_mov_b32_e32 v0, 11
	v_addc_co_u32_e32 v17, vcc, 0, v1, vcc
	v_cmp_lt_i16_sdwa s[0:1], s18, v0 src0_sel:BYTE_0 src1_sel:DWORD
	s_and_b64 vcc, exec, s[0:1]
	s_cbranch_vccnz .LBB55_1154
; %bb.1148:
	v_mov_b32_e32 v0, 25
	v_cmp_gt_i16_sdwa s[0:1], s18, v0 src0_sel:BYTE_0 src1_sel:DWORD
	s_mov_b64 s[4:5], 0
	s_and_b64 vcc, exec, s[0:1]
	s_cbranch_vccz .LBB55_1156
; %bb.1149:
	v_mov_b32_e32 v0, 28
	v_cmp_gt_i16_sdwa s[0:1], s18, v0 src0_sel:BYTE_0 src1_sel:DWORD
	s_and_b64 vcc, exec, s[0:1]
	s_cbranch_vccz .LBB55_1157
; %bb.1150:
	v_mov_b32_e32 v0, 43
	v_cmp_gt_i16_sdwa s[0:1], s18, v0 src0_sel:BYTE_0 src1_sel:DWORD
	;; [unrolled: 5-line block ×3, first 2 shown]
	s_and_b64 vcc, exec, s[0:1]
	s_cbranch_vccz .LBB55_1159
; %bb.1152:
	v_mov_b32_e32 v0, 46
	v_cmp_eq_u16_sdwa s[0:1], s18, v0 src0_sel:BYTE_0 src1_sel:DWORD
	s_mov_b64 s[2:3], 0
	s_and_b64 vcc, exec, s[0:1]
	s_cbranch_vccz .LBB55_1162
; %bb.1153:
	global_load_dword v0, v[16:17], off
	s_mov_b64 s[0:1], 0
	s_mov_b64 s[6:7], -1
	s_waitcnt vmcnt(0)
	v_lshlrev_b32_e32 v0, 16, v0
	v_cvt_f64_f32_e32 v[0:1], v0
	s_branch .LBB55_1163
.LBB55_1154:
	s_mov_b64 s[6:7], 0
                                        ; implicit-def: $vgpr0_vgpr1
	s_mov_b64 s[2:3], s[28:29]
	s_cbranch_execnz .LBB55_1226
.LBB55_1155:
	s_andn2_b64 vcc, exec, s[6:7]
	s_cbranch_vccz .LBB55_1271
	s_branch .LBB55_2044
.LBB55_1156:
	s_mov_b64 s[6:7], 0
	s_mov_b64 s[0:1], 0
                                        ; implicit-def: $vgpr0_vgpr1
	s_cbranch_execnz .LBB55_1191
	s_branch .LBB55_1222
.LBB55_1157:
	s_mov_b64 s[2:3], -1
	s_mov_b64 s[6:7], 0
	s_mov_b64 s[0:1], 0
                                        ; implicit-def: $vgpr0_vgpr1
	s_branch .LBB55_1172
.LBB55_1158:
	s_mov_b64 s[6:7], 0
	s_mov_b64 s[0:1], 0
                                        ; implicit-def: $vgpr0_vgpr1
	s_cbranch_execnz .LBB55_1168
	s_branch .LBB55_1171
.LBB55_1159:
	s_mov_b64 s[2:3], -1
	s_mov_b64 s[6:7], 0
	s_mov_b64 s[0:1], 0
                                        ; implicit-def: $vgpr0_vgpr1
	s_branch .LBB55_1163
.LBB55_1160:
	s_or_saveexec_b64 s[14:15], s[14:15]
                                        ; implicit-def: $sgpr16
	s_xor_b64 exec, exec, s[14:15]
	s_cbranch_execz .LBB55_999
.LBB55_1161:
	s_mov_b32 s16, 0x46000000
	v_add_f32_e64 v3, |v2|, s16
	v_and_b32_e32 v3, 0xff, v3
	v_cmp_ne_u32_e32 vcc, 0, v3
	s_andn2_b64 s[12:13], s[12:13], exec
	s_and_b64 s[18:19], vcc, exec
	s_mov_b32 s16, 0
	s_or_b64 s[12:13], s[12:13], s[18:19]
	s_or_b64 exec, exec, s[14:15]
	v_mov_b32_e32 v7, s16
	s_and_saveexec_b64 s[14:15], s[12:13]
	s_cbranch_execnz .LBB55_1000
	s_branch .LBB55_1001
.LBB55_1162:
	s_mov_b64 s[0:1], -1
                                        ; implicit-def: $vgpr0_vgpr1
	s_mov_b64 s[6:7], 0
.LBB55_1163:
	s_and_b64 vcc, exec, s[2:3]
	s_cbranch_vccz .LBB55_1166
; %bb.1164:
	v_mov_b32_e32 v0, 44
	v_cmp_eq_u16_sdwa s[0:1], s18, v0 src0_sel:BYTE_0 src1_sel:DWORD
	s_and_b64 vcc, exec, s[0:1]
	s_cbranch_vccz .LBB55_1167
; %bb.1165:
	global_load_ubyte v3, v[16:17], off
	s_movk_i32 s2, 0xff
	s_waitcnt vmcnt(1)
	v_mov_b32_e32 v5, 0x7ff80000
	v_bfrev_b32_e32 v7, 28
	s_mov_b64 s[0:1], 0
	s_mov_b64 s[6:7], -1
	s_waitcnt vmcnt(0)
	v_lshlrev_b32_e32 v0, 23, v3
	v_cvt_f64_f32_e32 v[0:1], v0
	v_cmp_ne_u32_e32 vcc, s2, v3
	v_cndmask_b32_e32 v0, v5, v1, vcc
	v_cmp_ne_u32_e32 vcc, 0, v3
	v_cndmask_b32_e32 v1, v7, v0, vcc
.LBB55_1166:
	s_branch .LBB55_1171
.LBB55_1167:
	s_mov_b64 s[0:1], -1
                                        ; implicit-def: $vgpr0_vgpr1
	s_branch .LBB55_1171
.LBB55_1168:
	v_mov_b32_e32 v0, 29
	v_cmp_eq_u16_sdwa s[0:1], s18, v0 src0_sel:BYTE_0 src1_sel:DWORD
	s_and_b64 vcc, exec, s[0:1]
	s_cbranch_vccz .LBB55_1170
; %bb.1169:
	global_load_dwordx2 v[0:1], v[16:17], off
	s_mov_b64 s[0:1], 0
	s_mov_b64 s[6:7], -1
	s_mov_b64 s[2:3], 0
	s_waitcnt vmcnt(0)
	v_cvt_f64_u32_e32 v[18:19], v1
	v_cvt_f64_u32_e32 v[0:1], v0
	v_ldexp_f64 v[18:19], v[18:19], 32
	v_add_f64 v[0:1], v[18:19], v[0:1]
	s_branch .LBB55_1172
.LBB55_1170:
	s_mov_b64 s[0:1], -1
                                        ; implicit-def: $vgpr0_vgpr1
.LBB55_1171:
	s_mov_b64 s[2:3], 0
.LBB55_1172:
	s_and_b64 vcc, exec, s[2:3]
	s_cbranch_vccz .LBB55_1190
; %bb.1173:
	v_mov_b32_e32 v0, 27
	v_cmp_lt_i16_sdwa s[2:3], s18, v0 src0_sel:BYTE_0 src1_sel:DWORD
	s_and_b64 vcc, exec, s[2:3]
	s_cbranch_vccnz .LBB55_1176
; %bb.1174:
	v_cmp_gt_i16_sdwa s[2:3], s18, v0 src0_sel:BYTE_0 src1_sel:DWORD
	s_and_b64 vcc, exec, s[2:3]
	s_cbranch_vccz .LBB55_1177
; %bb.1175:
	global_load_dword v0, v[16:17], off
	s_mov_b64 s[2:3], 0
	s_waitcnt vmcnt(0)
	v_cvt_f64_u32_e32 v[0:1], v0
	s_branch .LBB55_1178
.LBB55_1176:
	s_mov_b64 s[2:3], -1
                                        ; implicit-def: $vgpr0_vgpr1
	s_branch .LBB55_1181
.LBB55_1177:
	s_mov_b64 s[2:3], -1
                                        ; implicit-def: $vgpr0_vgpr1
.LBB55_1178:
	s_andn2_b64 vcc, exec, s[2:3]
	s_cbranch_vccnz .LBB55_1180
; %bb.1179:
	global_load_ushort v0, v[16:17], off
	s_waitcnt vmcnt(0)
	v_cvt_f64_u32_e32 v[0:1], v0
.LBB55_1180:
	s_mov_b64 s[2:3], 0
.LBB55_1181:
	s_andn2_b64 vcc, exec, s[2:3]
	s_cbranch_vccnz .LBB55_1189
; %bb.1182:
	global_load_ubyte v3, v[16:17], off
	s_movk_i32 s2, 0x7f
                                        ; implicit-def: $sgpr6_sgpr7
	s_waitcnt vmcnt(0)
	v_cmp_lt_i16_e32 vcc, s2, v3
	s_mov_b64 s[2:3], 0
	s_and_saveexec_b64 s[12:13], vcc
	s_xor_b64 s[12:13], exec, s[12:13]
	s_cbranch_execz .LBB55_1202
; %bb.1183:
	s_movk_i32 s2, 0x80
	v_cmp_eq_u16_e32 vcc, s2, v3
	s_mov_b64 s[14:15], -1
                                        ; implicit-def: $sgpr6_sgpr7
	s_and_saveexec_b64 s[2:3], vcc
; %bb.1184:
	s_mov_b32 s7, 0x7ff80000
	s_brev_b32 s6, 4
	s_xor_b64 s[14:15], exec, -1
; %bb.1185:
	s_or_b64 exec, exec, s[2:3]
	s_and_b64 s[2:3], s[14:15], exec
	s_or_saveexec_b64 s[12:13], s[12:13]
	v_pk_mov_b32 v[0:1], s[6:7], s[6:7] op_sel:[0,1]
	s_xor_b64 exec, exec, s[12:13]
	s_cbranch_execnz .LBB55_1203
.LBB55_1186:
	s_or_b64 exec, exec, s[12:13]
	s_and_saveexec_b64 s[6:7], s[2:3]
	s_cbranch_execz .LBB55_1188
.LBB55_1187:
	v_and_b32_e32 v1, 0xffff, v3
	v_lshlrev_b32_e32 v0, 24, v3
	v_and_b32_e32 v3, 7, v1
	v_ffbh_u32_e32 v7, v3
	v_min_u32_e32 v7, 32, v7
	v_subrev_u32_e32 v9, 28, v7
	v_bfe_u32 v5, v1, 3, 4
	v_lshlrev_b32_e32 v1, v9, v1
	v_sub_u32_e32 v7, 29, v7
	v_and_b32_e32 v1, 7, v1
	v_cmp_eq_u32_e32 vcc, 0, v5
	v_cndmask_b32_e32 v5, v5, v7, vcc
	v_cndmask_b32_e32 v1, v3, v1, vcc
	v_mov_b32_e32 v3, 0x3b800000
	v_lshlrev_b32_e32 v1, 20, v1
	v_and_b32_e32 v0, 0x80000000, v0
	v_lshl_add_u32 v3, v5, 23, v3
	v_or3_b32 v0, v0, v3, v1
	v_cvt_f64_f32_e32 v[0:1], v0
.LBB55_1188:
	s_or_b64 exec, exec, s[6:7]
.LBB55_1189:
	s_mov_b64 s[6:7], -1
.LBB55_1190:
	s_branch .LBB55_1222
.LBB55_1191:
	v_mov_b32_e32 v0, 22
	v_cmp_gt_i16_sdwa s[2:3], s18, v0 src0_sel:BYTE_0 src1_sel:DWORD
	s_and_b64 vcc, exec, s[2:3]
	s_cbranch_vccz .LBB55_1201
; %bb.1192:
	v_mov_b32_e32 v0, 24
	v_cmp_lt_i16_sdwa s[2:3], s18, v0 src0_sel:BYTE_0 src1_sel:DWORD
	s_and_b64 vcc, exec, s[2:3]
	s_cbranch_vccnz .LBB55_1204
; %bb.1193:
	v_cmp_gt_i16_sdwa s[2:3], s18, v0 src0_sel:BYTE_0 src1_sel:DWORD
	s_and_b64 vcc, exec, s[2:3]
	s_cbranch_vccz .LBB55_1205
; %bb.1194:
	global_load_ubyte v3, v[16:17], off
	s_movk_i32 s2, 0x7f
                                        ; implicit-def: $sgpr4_sgpr5
	s_waitcnt vmcnt(0)
	v_cmp_lt_i16_e32 vcc, s2, v3
	s_mov_b64 s[2:3], 0
	s_and_saveexec_b64 s[6:7], vcc
	s_xor_b64 s[6:7], exec, s[6:7]
	s_cbranch_execz .LBB55_1216
; %bb.1195:
	s_movk_i32 s2, 0x80
	v_cmp_eq_u16_e32 vcc, s2, v3
	s_mov_b64 s[12:13], -1
                                        ; implicit-def: $sgpr4_sgpr5
	s_and_saveexec_b64 s[2:3], vcc
; %bb.1196:
	s_mov_b32 s5, 0x7ff80000
	s_brev_b32 s4, 4
	s_xor_b64 s[12:13], exec, -1
; %bb.1197:
	s_or_b64 exec, exec, s[2:3]
	s_and_b64 s[2:3], s[12:13], exec
	s_or_saveexec_b64 s[6:7], s[6:7]
	v_pk_mov_b32 v[0:1], s[4:5], s[4:5] op_sel:[0,1]
	s_xor_b64 exec, exec, s[6:7]
	s_cbranch_execnz .LBB55_1217
.LBB55_1198:
	s_or_b64 exec, exec, s[6:7]
	s_and_saveexec_b64 s[4:5], s[2:3]
	s_cbranch_execz .LBB55_1200
.LBB55_1199:
	v_and_b32_e32 v1, 0xffff, v3
	v_lshlrev_b32_e32 v0, 24, v3
	v_and_b32_e32 v3, 3, v1
	v_ffbh_u32_e32 v7, v3
	v_min_u32_e32 v7, 32, v7
	v_subrev_u32_e32 v9, 29, v7
	v_bfe_u32 v5, v1, 2, 5
	v_lshlrev_b32_e32 v1, v9, v1
	v_sub_u32_e32 v7, 30, v7
	v_and_b32_e32 v1, 3, v1
	v_cmp_eq_u32_e32 vcc, 0, v5
	v_cndmask_b32_e32 v5, v5, v7, vcc
	v_cndmask_b32_e32 v1, v3, v1, vcc
	v_mov_b32_e32 v3, 0x37800000
	v_lshlrev_b32_e32 v1, 21, v1
	v_and_b32_e32 v0, 0x80000000, v0
	v_lshl_add_u32 v3, v5, 23, v3
	v_or3_b32 v0, v0, v3, v1
	v_cvt_f64_f32_e32 v[0:1], v0
.LBB55_1200:
	s_or_b64 exec, exec, s[4:5]
	s_mov_b64 s[2:3], 0
	s_branch .LBB55_1206
.LBB55_1201:
                                        ; implicit-def: $vgpr0_vgpr1
	s_mov_b64 s[4:5], 0
	s_branch .LBB55_1212
.LBB55_1202:
	s_or_saveexec_b64 s[12:13], s[12:13]
	v_pk_mov_b32 v[0:1], s[6:7], s[6:7] op_sel:[0,1]
	s_xor_b64 exec, exec, s[12:13]
	s_cbranch_execz .LBB55_1186
.LBB55_1203:
	v_cmp_ne_u16_e32 vcc, 0, v3
	s_andn2_b64 s[2:3], s[2:3], exec
	s_and_b64 s[6:7], vcc, exec
	v_pk_mov_b32 v[0:1], 0, 0
	s_or_b64 s[2:3], s[2:3], s[6:7]
	s_or_b64 exec, exec, s[12:13]
	s_and_saveexec_b64 s[6:7], s[2:3]
	s_cbranch_execnz .LBB55_1187
	s_branch .LBB55_1188
.LBB55_1204:
	s_mov_b64 s[2:3], -1
                                        ; implicit-def: $vgpr0_vgpr1
	s_branch .LBB55_1209
.LBB55_1205:
	s_mov_b64 s[2:3], -1
                                        ; implicit-def: $vgpr0_vgpr1
.LBB55_1206:
	s_and_b64 vcc, exec, s[2:3]
	s_cbranch_vccz .LBB55_1208
; %bb.1207:
	global_load_ubyte v0, v[16:17], off
	s_mov_b32 s2, 0x7f800000
	s_waitcnt vmcnt(0)
	v_lshlrev_b32_e32 v0, 24, v0
	v_and_b32_e32 v1, 0x7f000000, v0
	v_ffbh_u32_e32 v3, v1
	v_min_u32_e32 v3, 32, v3
	v_sub_u32_e64 v3, v3, 4 clamp
	v_lshlrev_b32_e32 v7, v3, v1
	v_lshlrev_b32_e32 v3, 23, v3
	v_lshrrev_b32_e32 v7, 4, v7
	v_add_u32_e32 v5, 0x1000000, v1
	v_sub_u32_e32 v3, v7, v3
	v_ashrrev_i32_e32 v5, 8, v5
	v_add_u32_e32 v3, 0x3c000000, v3
	v_and_or_b32 v3, v5, s2, v3
	v_cmp_ne_u32_e32 vcc, 0, v1
	v_cndmask_b32_e32 v1, 0, v3, vcc
	s_brev_b32 s2, 1
	v_and_or_b32 v0, v0, s2, v1
	v_cvt_f64_f32_e32 v[0:1], v0
.LBB55_1208:
	s_mov_b64 s[2:3], 0
.LBB55_1209:
	s_andn2_b64 vcc, exec, s[2:3]
	s_cbranch_vccnz .LBB55_1211
; %bb.1210:
	global_load_ubyte v0, v[16:17], off
	s_movk_i32 s2, 0x7f00
	s_brev_b32 s3, 16
	s_waitcnt vmcnt(0)
	v_lshlrev_b16_e32 v1, 8, v0
	v_lshlrev_b32_e32 v0, 25, v0
	v_lshrrev_b32_e32 v3, 4, v0
	v_and_or_b32 v5, v1, s2, 0.5
	v_or_b32_e32 v3, 0x70000000, v3
	v_add_f32_e32 v5, -0.5, v5
	v_mul_f32_e32 v3, 0x7800000, v3
	v_cmp_gt_u32_e32 vcc, s3, v0
	v_bfe_i32 v1, v1, 0, 16
	v_cndmask_b32_e32 v0, v3, v5, vcc
	s_brev_b32 s2, 1
	v_and_or_b32 v0, v1, s2, v0
	v_cvt_f64_f32_e32 v[0:1], v0
.LBB55_1211:
	s_mov_b64 s[6:7], -1
	s_mov_b64 s[4:5], 0
	s_cbranch_execnz .LBB55_1222
.LBB55_1212:
	v_mov_b32_e32 v0, 14
	v_cmp_gt_i16_sdwa s[2:3], s18, v0 src0_sel:BYTE_0 src1_sel:DWORD
	s_and_b64 vcc, exec, s[2:3]
	s_cbranch_vccz .LBB55_1215
; %bb.1213:
	v_mov_b32_e32 v0, 15
	v_cmp_eq_u16_sdwa s[0:1], s18, v0 src0_sel:BYTE_0 src1_sel:DWORD
	s_and_b64 vcc, exec, s[0:1]
	s_cbranch_vccz .LBB55_1218
; %bb.1214:
	global_load_ushort v0, v[16:17], off
	s_mov_b64 s[0:1], 0
	s_mov_b64 s[6:7], -1
	s_waitcnt vmcnt(0)
	v_lshlrev_b32_e32 v0, 16, v0
	v_cvt_f64_f32_e32 v[0:1], v0
	s_branch .LBB55_1219
.LBB55_1215:
	s_mov_b64 s[2:3], -1
                                        ; implicit-def: $vgpr0_vgpr1
	s_branch .LBB55_1220
.LBB55_1216:
	s_or_saveexec_b64 s[6:7], s[6:7]
	v_pk_mov_b32 v[0:1], s[4:5], s[4:5] op_sel:[0,1]
	s_xor_b64 exec, exec, s[6:7]
	s_cbranch_execz .LBB55_1198
.LBB55_1217:
	v_cmp_ne_u16_e32 vcc, 0, v3
	s_andn2_b64 s[2:3], s[2:3], exec
	s_and_b64 s[4:5], vcc, exec
	v_pk_mov_b32 v[0:1], 0, 0
	s_or_b64 s[2:3], s[2:3], s[4:5]
	s_or_b64 exec, exec, s[6:7]
	s_and_saveexec_b64 s[4:5], s[2:3]
	s_cbranch_execnz .LBB55_1199
	s_branch .LBB55_1200
.LBB55_1218:
	s_mov_b64 s[0:1], -1
                                        ; implicit-def: $vgpr0_vgpr1
.LBB55_1219:
	s_mov_b64 s[2:3], 0
.LBB55_1220:
	s_and_b64 vcc, exec, s[2:3]
	s_cbranch_vccz .LBB55_1222
; %bb.1221:
	v_mov_b32_e32 v0, 11
	v_cmp_ne_u16_sdwa s[0:1], s18, v0 src0_sel:BYTE_0 src1_sel:DWORD
	s_mov_b64 s[4:5], -1
                                        ; implicit-def: $vgpr0_vgpr1
.LBB55_1222:
	s_and_b64 vcc, exec, s[0:1]
	s_mov_b64 s[2:3], s[28:29]
	s_cbranch_vccnz .LBB55_1283
; %bb.1223:
	s_andn2_b64 vcc, exec, s[4:5]
	s_cbranch_vccnz .LBB55_1225
.LBB55_1224:
	global_load_ubyte v0, v[16:17], off
	v_mov_b32_e32 v1, 0x3ff00000
	s_mov_b64 s[6:7], -1
	s_waitcnt vmcnt(0)
	v_cmp_ne_u16_e32 vcc, 0, v0
	v_cndmask_b32_e32 v1, 0, v1, vcc
.LBB55_1225:
	s_branch .LBB55_1155
.LBB55_1226:
	v_mov_b32_e32 v0, 5
	v_cmp_lt_i16_sdwa s[0:1], s18, v0 src0_sel:BYTE_0 src1_sel:DWORD
	s_and_b64 vcc, exec, s[0:1]
	s_cbranch_vccnz .LBB55_1231
; %bb.1227:
	v_mov_b32_e32 v0, 8
	v_cmp_lt_i16_sdwa s[0:1], s18, v0 src0_sel:BYTE_0 src1_sel:DWORD
	s_and_b64 vcc, exec, s[0:1]
	s_cbranch_vccnz .LBB55_1232
; %bb.1228:
	;; [unrolled: 5-line block ×3, first 2 shown]
	v_cmp_gt_i16_sdwa s[0:1], s18, v0 src0_sel:BYTE_0 src1_sel:DWORD
	s_and_b64 vcc, exec, s[0:1]
	s_cbranch_vccz .LBB55_1234
; %bb.1230:
	global_load_dwordx2 v[0:1], v[16:17], off
	s_mov_b64 s[0:1], 0
	s_branch .LBB55_1235
.LBB55_1231:
                                        ; implicit-def: $vgpr0_vgpr1
	s_branch .LBB55_1252
.LBB55_1232:
                                        ; implicit-def: $vgpr0_vgpr1
	s_branch .LBB55_1241
.LBB55_1233:
	s_mov_b64 s[0:1], -1
                                        ; implicit-def: $vgpr0_vgpr1
	s_branch .LBB55_1238
.LBB55_1234:
	s_mov_b64 s[0:1], -1
                                        ; implicit-def: $vgpr0_vgpr1
.LBB55_1235:
	s_andn2_b64 vcc, exec, s[0:1]
	s_cbranch_vccnz .LBB55_1237
; %bb.1236:
	global_load_dword v0, v[16:17], off
	s_waitcnt vmcnt(0)
	v_cvt_f64_f32_e32 v[0:1], v0
.LBB55_1237:
	s_mov_b64 s[0:1], 0
.LBB55_1238:
	s_andn2_b64 vcc, exec, s[0:1]
	s_cbranch_vccnz .LBB55_1240
; %bb.1239:
	global_load_dword v0, v[16:17], off
	s_waitcnt vmcnt(0)
	v_cvt_f32_f16_e32 v0, v0
	v_cvt_f64_f32_e32 v[0:1], v0
.LBB55_1240:
	s_cbranch_execnz .LBB55_1251
.LBB55_1241:
	s_waitcnt vmcnt(0)
	v_mov_b32_e32 v0, 6
	v_cmp_lt_i16_sdwa s[0:1], s18, v0 src0_sel:BYTE_0 src1_sel:DWORD
	s_and_b64 vcc, exec, s[0:1]
	s_cbranch_vccnz .LBB55_1244
; %bb.1242:
	v_cmp_gt_i16_sdwa s[0:1], s18, v0 src0_sel:BYTE_0 src1_sel:DWORD
	s_and_b64 vcc, exec, s[0:1]
	s_cbranch_vccz .LBB55_1245
; %bb.1243:
	global_load_dwordx2 v[0:1], v[16:17], off
	s_mov_b64 s[0:1], 0
	s_branch .LBB55_1246
.LBB55_1244:
	s_mov_b64 s[0:1], -1
                                        ; implicit-def: $vgpr0_vgpr1
	s_branch .LBB55_1249
.LBB55_1245:
	s_mov_b64 s[0:1], -1
                                        ; implicit-def: $vgpr0_vgpr1
.LBB55_1246:
	s_andn2_b64 vcc, exec, s[0:1]
	s_cbranch_vccnz .LBB55_1248
; %bb.1247:
	global_load_dword v0, v[16:17], off
	s_waitcnt vmcnt(0)
	v_cvt_f64_f32_e32 v[0:1], v0
.LBB55_1248:
	s_mov_b64 s[0:1], 0
.LBB55_1249:
	s_andn2_b64 vcc, exec, s[0:1]
	s_cbranch_vccnz .LBB55_1251
; %bb.1250:
	global_load_ushort v0, v[16:17], off
	s_waitcnt vmcnt(0)
	v_cvt_f32_f16_e32 v0, v0
	v_cvt_f64_f32_e32 v[0:1], v0
.LBB55_1251:
	s_cbranch_execnz .LBB55_1270
.LBB55_1252:
	s_waitcnt vmcnt(0)
	v_mov_b32_e32 v0, 2
	v_cmp_lt_i16_sdwa s[0:1], s18, v0 src0_sel:BYTE_0 src1_sel:DWORD
	s_and_b64 vcc, exec, s[0:1]
	s_cbranch_vccnz .LBB55_1256
; %bb.1253:
	v_mov_b32_e32 v0, 3
	v_cmp_lt_i16_sdwa s[0:1], s18, v0 src0_sel:BYTE_0 src1_sel:DWORD
	s_and_b64 vcc, exec, s[0:1]
	s_cbranch_vccnz .LBB55_1257
; %bb.1254:
	v_cmp_gt_i16_sdwa s[0:1], s18, v0 src0_sel:BYTE_0 src1_sel:DWORD
	s_and_b64 vcc, exec, s[0:1]
	s_cbranch_vccz .LBB55_1258
; %bb.1255:
	global_load_dwordx2 v[0:1], v[16:17], off
	s_mov_b64 s[0:1], 0
	s_waitcnt vmcnt(0)
	v_cvt_f64_i32_e32 v[18:19], v1
	v_cvt_f64_u32_e32 v[0:1], v0
	v_ldexp_f64 v[18:19], v[18:19], 32
	v_add_f64 v[0:1], v[18:19], v[0:1]
	s_branch .LBB55_1259
.LBB55_1256:
                                        ; implicit-def: $vgpr0_vgpr1
	s_branch .LBB55_1265
.LBB55_1257:
	s_mov_b64 s[0:1], -1
                                        ; implicit-def: $vgpr0_vgpr1
	s_branch .LBB55_1262
.LBB55_1258:
	s_mov_b64 s[0:1], -1
                                        ; implicit-def: $vgpr0_vgpr1
.LBB55_1259:
	s_andn2_b64 vcc, exec, s[0:1]
	s_cbranch_vccnz .LBB55_1261
; %bb.1260:
	global_load_dword v0, v[16:17], off
	s_waitcnt vmcnt(0)
	v_cvt_f64_i32_e32 v[0:1], v0
.LBB55_1261:
	s_mov_b64 s[0:1], 0
.LBB55_1262:
	s_andn2_b64 vcc, exec, s[0:1]
	s_cbranch_vccnz .LBB55_1264
; %bb.1263:
	global_load_sshort v0, v[16:17], off
	s_waitcnt vmcnt(0)
	v_cvt_f64_i32_e32 v[0:1], v0
.LBB55_1264:
	s_cbranch_execnz .LBB55_1270
.LBB55_1265:
	v_mov_b32_e32 v0, 0
	v_cmp_gt_i16_sdwa s[0:1], s18, v0 src0_sel:BYTE_0 src1_sel:DWORD
	s_and_b64 vcc, exec, s[0:1]
	s_cbranch_vccz .LBB55_1267
; %bb.1266:
	global_load_sbyte v0, v[16:17], off
	s_mov_b64 s[0:1], 0
	s_waitcnt vmcnt(0)
	v_cvt_f64_i32_e32 v[0:1], v0
	s_branch .LBB55_1268
.LBB55_1267:
	s_mov_b64 s[0:1], -1
                                        ; implicit-def: $vgpr0_vgpr1
.LBB55_1268:
	s_andn2_b64 vcc, exec, s[0:1]
	s_cbranch_vccnz .LBB55_1270
; %bb.1269:
	global_load_ubyte v0, v[16:17], off
	s_waitcnt vmcnt(0)
	v_cvt_f64_u32_e32 v[0:1], v0
.LBB55_1270:
.LBB55_1271:
	s_waitcnt vmcnt(0)
	v_mov_b32_e32 v0, s11
	v_add_co_u32_e32 v16, vcc, s10, v10
	v_addc_co_u32_e32 v17, vcc, 0, v0, vcc
	v_mov_b32_e32 v0, 11
	v_cmp_lt_i16_sdwa s[0:1], s18, v0 src0_sel:BYTE_0 src1_sel:DWORD
	s_and_b64 vcc, exec, s[0:1]
	s_cbranch_vccnz .LBB55_1278
; %bb.1272:
	v_mov_b32_e32 v0, 25
	v_cmp_gt_i16_sdwa s[0:1], s18, v0 src0_sel:BYTE_0 src1_sel:DWORD
	s_mov_b64 s[4:5], 0
	s_and_b64 vcc, exec, s[0:1]
	s_cbranch_vccz .LBB55_1280
; %bb.1273:
	v_mov_b32_e32 v0, 28
	v_cmp_gt_i16_sdwa s[0:1], s18, v0 src0_sel:BYTE_0 src1_sel:DWORD
	s_and_b64 vcc, exec, s[0:1]
	s_cbranch_vccz .LBB55_1281
; %bb.1274:
	v_mov_b32_e32 v0, 43
	v_cmp_gt_i16_sdwa s[0:1], s18, v0 src0_sel:BYTE_0 src1_sel:DWORD
	s_and_b64 vcc, exec, s[0:1]
	s_cbranch_vccz .LBB55_1282
; %bb.1275:
	v_mov_b32_e32 v0, 45
	v_cmp_gt_i16_sdwa s[0:1], s18, v0 src0_sel:BYTE_0 src1_sel:DWORD
	s_and_b64 vcc, exec, s[0:1]
	s_cbranch_vccz .LBB55_1284
; %bb.1276:
	v_mov_b32_e32 v0, 46
	v_cmp_eq_u16_sdwa s[0:1], s18, v0 src0_sel:BYTE_0 src1_sel:DWORD
	s_mov_b64 s[12:13], 0
	s_and_b64 vcc, exec, s[0:1]
	s_cbranch_vccz .LBB55_1287
; %bb.1277:
	global_load_dword v0, v[16:17], off
	s_mov_b64 s[0:1], 0
	s_mov_b64 s[6:7], -1
	s_waitcnt vmcnt(0)
	v_lshlrev_b32_e32 v0, 16, v0
	v_cvt_f64_f32_e32 v[10:11], v0
	s_branch .LBB55_1288
.LBB55_1278:
	s_mov_b64 s[6:7], 0
                                        ; implicit-def: $vgpr10_vgpr11
	s_cbranch_execnz .LBB55_1353
.LBB55_1279:
	s_andn2_b64 vcc, exec, s[6:7]
	s_cbranch_vccnz .LBB55_2044
	s_branch .LBB55_1400
.LBB55_1280:
	s_mov_b64 s[6:7], 0
	s_mov_b64 s[0:1], 0
                                        ; implicit-def: $vgpr10_vgpr11
	s_cbranch_execnz .LBB55_1317
	s_branch .LBB55_1349
.LBB55_1281:
	s_mov_b64 s[12:13], -1
	s_mov_b64 s[6:7], 0
	s_mov_b64 s[0:1], 0
                                        ; implicit-def: $vgpr10_vgpr11
	s_branch .LBB55_1298
.LBB55_1282:
	s_mov_b64 s[12:13], -1
	s_mov_b64 s[6:7], 0
	s_mov_b64 s[0:1], 0
                                        ; implicit-def: $vgpr10_vgpr11
	s_branch .LBB55_1293
.LBB55_1283:
	s_or_b64 s[2:3], s[28:29], exec
	s_trap 2
                                        ; implicit-def: $vgpr0_vgpr1
	s_cbranch_execz .LBB55_1224
	s_branch .LBB55_1225
.LBB55_1284:
	s_mov_b64 s[12:13], -1
	s_mov_b64 s[6:7], 0
	s_mov_b64 s[0:1], 0
                                        ; implicit-def: $vgpr10_vgpr11
	s_branch .LBB55_1288
.LBB55_1285:
	s_or_saveexec_b64 s[16:17], s[16:17]
                                        ; implicit-def: $sgpr18
	s_xor_b64 exec, exec, s[16:17]
	s_cbranch_execz .LBB55_1011
.LBB55_1286:
	s_mov_b32 s18, 0x42800000
	v_add_f32_e64 v3, |v2|, s18
	v_and_b32_e32 v3, 0xff, v3
	v_cmp_ne_u32_e32 vcc, 0, v3
	s_andn2_b64 s[14:15], s[14:15], exec
	s_and_b64 s[20:21], vcc, exec
	s_mov_b32 s18, 0
	s_or_b64 s[14:15], s[14:15], s[20:21]
	s_or_b64 exec, exec, s[16:17]
	v_mov_b32_e32 v7, s18
	s_and_saveexec_b64 s[16:17], s[14:15]
	s_cbranch_execnz .LBB55_1012
	s_branch .LBB55_1013
.LBB55_1287:
	s_mov_b64 s[0:1], -1
                                        ; implicit-def: $vgpr10_vgpr11
	s_mov_b64 s[6:7], 0
.LBB55_1288:
	s_and_b64 vcc, exec, s[12:13]
	s_cbranch_vccz .LBB55_1292
; %bb.1289:
	v_mov_b32_e32 v0, 44
	v_cmp_eq_u16_sdwa s[0:1], s18, v0 src0_sel:BYTE_0 src1_sel:DWORD
	s_and_b64 vcc, exec, s[0:1]
	s_cbranch_vccz .LBB55_1291
; %bb.1290:
	global_load_ubyte v0, v[16:17], off
	s_movk_i32 s6, 0xff
	v_mov_b32_e32 v3, 0x7ff80000
	v_bfrev_b32_e32 v5, 28
	s_mov_b64 s[0:1], 0
	s_waitcnt vmcnt(0)
	v_lshlrev_b32_e32 v7, 23, v0
	v_cvt_f64_f32_e32 v[10:11], v7
	v_cmp_ne_u32_e32 vcc, s6, v0
	v_cndmask_b32_e32 v3, v3, v11, vcc
	v_cmp_ne_u32_e32 vcc, 0, v0
	v_cndmask_b32_e32 v11, v5, v3, vcc
	s_mov_b64 s[6:7], -1
	s_branch .LBB55_1292
.LBB55_1291:
	s_mov_b64 s[0:1], -1
                                        ; implicit-def: $vgpr10_vgpr11
.LBB55_1292:
	s_mov_b64 s[12:13], 0
.LBB55_1293:
	s_and_b64 vcc, exec, s[12:13]
	s_cbranch_vccz .LBB55_1297
; %bb.1294:
	v_mov_b32_e32 v0, 29
	v_cmp_eq_u16_sdwa s[0:1], s18, v0 src0_sel:BYTE_0 src1_sel:DWORD
	s_and_b64 vcc, exec, s[0:1]
	s_cbranch_vccz .LBB55_1296
; %bb.1295:
	global_load_dwordx2 v[10:11], v[16:17], off
	s_mov_b64 s[0:1], 0
	s_mov_b64 s[6:7], -1
	s_mov_b64 s[12:13], 0
	s_waitcnt vmcnt(0)
	v_cvt_f64_u32_e32 v[18:19], v11
	v_cvt_f64_u32_e32 v[10:11], v10
	v_ldexp_f64 v[18:19], v[18:19], 32
	v_add_f64 v[10:11], v[18:19], v[10:11]
	s_branch .LBB55_1298
.LBB55_1296:
	s_mov_b64 s[0:1], -1
                                        ; implicit-def: $vgpr10_vgpr11
.LBB55_1297:
	s_mov_b64 s[12:13], 0
.LBB55_1298:
	s_and_b64 vcc, exec, s[12:13]
	s_cbranch_vccz .LBB55_1316
; %bb.1299:
	v_mov_b32_e32 v0, 27
	v_cmp_lt_i16_sdwa s[6:7], s18, v0 src0_sel:BYTE_0 src1_sel:DWORD
	s_and_b64 vcc, exec, s[6:7]
	s_cbranch_vccnz .LBB55_1302
; %bb.1300:
	v_cmp_gt_i16_sdwa s[6:7], s18, v0 src0_sel:BYTE_0 src1_sel:DWORD
	s_and_b64 vcc, exec, s[6:7]
	s_cbranch_vccz .LBB55_1303
; %bb.1301:
	global_load_dword v0, v[16:17], off
	s_mov_b64 s[6:7], 0
	s_waitcnt vmcnt(0)
	v_cvt_f64_u32_e32 v[10:11], v0
	s_branch .LBB55_1304
.LBB55_1302:
	s_mov_b64 s[6:7], -1
                                        ; implicit-def: $vgpr10_vgpr11
	s_branch .LBB55_1307
.LBB55_1303:
	s_mov_b64 s[6:7], -1
                                        ; implicit-def: $vgpr10_vgpr11
.LBB55_1304:
	s_andn2_b64 vcc, exec, s[6:7]
	s_cbranch_vccnz .LBB55_1306
; %bb.1305:
	global_load_ushort v0, v[16:17], off
	s_waitcnt vmcnt(0)
	v_cvt_f64_u32_e32 v[10:11], v0
.LBB55_1306:
	s_mov_b64 s[6:7], 0
.LBB55_1307:
	s_andn2_b64 vcc, exec, s[6:7]
	s_cbranch_vccnz .LBB55_1315
; %bb.1308:
	global_load_ubyte v0, v[16:17], off
	s_movk_i32 s6, 0x7f
                                        ; implicit-def: $sgpr12_sgpr13
	s_waitcnt vmcnt(0)
	v_cmp_lt_i16_e32 vcc, s6, v0
	s_mov_b64 s[6:7], 0
	s_and_saveexec_b64 s[14:15], vcc
	s_xor_b64 s[14:15], exec, s[14:15]
	s_cbranch_execz .LBB55_1328
; %bb.1309:
	s_movk_i32 s6, 0x80
	v_cmp_eq_u16_e32 vcc, s6, v0
	s_mov_b64 s[16:17], -1
                                        ; implicit-def: $sgpr12_sgpr13
	s_and_saveexec_b64 s[6:7], vcc
; %bb.1310:
	s_mov_b32 s13, 0x7ff80000
	s_brev_b32 s12, 4
	s_xor_b64 s[16:17], exec, -1
; %bb.1311:
	s_or_b64 exec, exec, s[6:7]
	s_and_b64 s[6:7], s[16:17], exec
	s_or_saveexec_b64 s[14:15], s[14:15]
	v_pk_mov_b32 v[10:11], s[12:13], s[12:13] op_sel:[0,1]
	s_xor_b64 exec, exec, s[14:15]
	s_cbranch_execnz .LBB55_1329
.LBB55_1312:
	s_or_b64 exec, exec, s[14:15]
	s_and_saveexec_b64 s[12:13], s[6:7]
	s_cbranch_execz .LBB55_1314
.LBB55_1313:
	v_lshlrev_b32_e32 v3, 24, v0
	v_and_b32_e32 v0, 0xffff, v0
	v_and_b32_e32 v5, 7, v0
	v_ffbh_u32_e32 v9, v5
	v_min_u32_e32 v9, 32, v9
	v_subrev_u32_e32 v10, 28, v9
	v_bfe_u32 v7, v0, 3, 4
	v_lshlrev_b32_e32 v0, v10, v0
	v_sub_u32_e32 v9, 29, v9
	v_and_b32_e32 v0, 7, v0
	v_cmp_eq_u32_e32 vcc, 0, v7
	v_cndmask_b32_e32 v7, v7, v9, vcc
	v_cndmask_b32_e32 v0, v5, v0, vcc
	v_mov_b32_e32 v5, 0x3b800000
	v_lshlrev_b32_e32 v0, 20, v0
	v_and_b32_e32 v3, 0x80000000, v3
	v_lshl_add_u32 v5, v7, 23, v5
	v_or3_b32 v0, v3, v5, v0
	v_cvt_f64_f32_e32 v[10:11], v0
.LBB55_1314:
	s_or_b64 exec, exec, s[12:13]
.LBB55_1315:
	s_mov_b64 s[6:7], -1
.LBB55_1316:
	s_branch .LBB55_1349
.LBB55_1317:
	v_mov_b32_e32 v0, 22
	v_cmp_gt_i16_sdwa s[4:5], s18, v0 src0_sel:BYTE_0 src1_sel:DWORD
	s_and_b64 vcc, exec, s[4:5]
	s_cbranch_vccz .LBB55_1327
; %bb.1318:
	v_mov_b32_e32 v0, 24
	v_cmp_lt_i16_sdwa s[4:5], s18, v0 src0_sel:BYTE_0 src1_sel:DWORD
	s_and_b64 vcc, exec, s[4:5]
	s_cbranch_vccnz .LBB55_1330
; %bb.1319:
	v_cmp_gt_i16_sdwa s[4:5], s18, v0 src0_sel:BYTE_0 src1_sel:DWORD
	s_and_b64 vcc, exec, s[4:5]
	s_cbranch_vccz .LBB55_1331
; %bb.1320:
	global_load_ubyte v0, v[16:17], off
	s_movk_i32 s4, 0x7f
                                        ; implicit-def: $sgpr6_sgpr7
	s_waitcnt vmcnt(0)
	v_cmp_lt_i16_e32 vcc, s4, v0
	s_mov_b64 s[4:5], 0
	s_and_saveexec_b64 s[12:13], vcc
	s_xor_b64 s[12:13], exec, s[12:13]
	s_cbranch_execz .LBB55_1343
; %bb.1321:
	s_movk_i32 s4, 0x80
	v_cmp_eq_u16_e32 vcc, s4, v0
	s_mov_b64 s[14:15], -1
                                        ; implicit-def: $sgpr6_sgpr7
	s_and_saveexec_b64 s[4:5], vcc
; %bb.1322:
	s_mov_b32 s7, 0x7ff80000
	s_brev_b32 s6, 4
	s_xor_b64 s[14:15], exec, -1
; %bb.1323:
	s_or_b64 exec, exec, s[4:5]
	s_and_b64 s[4:5], s[14:15], exec
	s_or_saveexec_b64 s[12:13], s[12:13]
	v_pk_mov_b32 v[10:11], s[6:7], s[6:7] op_sel:[0,1]
	s_xor_b64 exec, exec, s[12:13]
	s_cbranch_execnz .LBB55_1344
.LBB55_1324:
	s_or_b64 exec, exec, s[12:13]
	s_and_saveexec_b64 s[6:7], s[4:5]
	s_cbranch_execz .LBB55_1326
.LBB55_1325:
	v_lshlrev_b32_e32 v3, 24, v0
	v_and_b32_e32 v0, 0xffff, v0
	v_and_b32_e32 v5, 3, v0
	v_ffbh_u32_e32 v9, v5
	v_min_u32_e32 v9, 32, v9
	v_subrev_u32_e32 v10, 29, v9
	v_bfe_u32 v7, v0, 2, 5
	v_lshlrev_b32_e32 v0, v10, v0
	v_sub_u32_e32 v9, 30, v9
	v_and_b32_e32 v0, 3, v0
	v_cmp_eq_u32_e32 vcc, 0, v7
	v_cndmask_b32_e32 v7, v7, v9, vcc
	v_cndmask_b32_e32 v0, v5, v0, vcc
	v_mov_b32_e32 v5, 0x37800000
	v_lshlrev_b32_e32 v0, 21, v0
	v_and_b32_e32 v3, 0x80000000, v3
	v_lshl_add_u32 v5, v7, 23, v5
	v_or3_b32 v0, v3, v5, v0
	v_cvt_f64_f32_e32 v[10:11], v0
.LBB55_1326:
	s_or_b64 exec, exec, s[6:7]
	s_mov_b64 s[4:5], 0
	s_branch .LBB55_1332
.LBB55_1327:
	s_mov_b64 s[4:5], -1
                                        ; implicit-def: $vgpr10_vgpr11
	s_branch .LBB55_1338
.LBB55_1328:
	s_or_saveexec_b64 s[14:15], s[14:15]
	v_pk_mov_b32 v[10:11], s[12:13], s[12:13] op_sel:[0,1]
	s_xor_b64 exec, exec, s[14:15]
	s_cbranch_execz .LBB55_1312
.LBB55_1329:
	v_cmp_ne_u16_e32 vcc, 0, v0
	s_andn2_b64 s[6:7], s[6:7], exec
	s_and_b64 s[12:13], vcc, exec
	v_pk_mov_b32 v[10:11], 0, 0
	s_or_b64 s[6:7], s[6:7], s[12:13]
	s_or_b64 exec, exec, s[14:15]
	s_and_saveexec_b64 s[12:13], s[6:7]
	s_cbranch_execnz .LBB55_1313
	s_branch .LBB55_1314
.LBB55_1330:
	s_mov_b64 s[4:5], -1
                                        ; implicit-def: $vgpr10_vgpr11
	s_branch .LBB55_1335
.LBB55_1331:
	s_mov_b64 s[4:5], -1
                                        ; implicit-def: $vgpr10_vgpr11
.LBB55_1332:
	s_and_b64 vcc, exec, s[4:5]
	s_cbranch_vccz .LBB55_1334
; %bb.1333:
	global_load_ubyte v0, v[16:17], off
	s_mov_b32 s4, 0x7f800000
	s_waitcnt vmcnt(0)
	v_lshlrev_b32_e32 v0, 24, v0
	v_and_b32_e32 v3, 0x7f000000, v0
	v_ffbh_u32_e32 v5, v3
	v_min_u32_e32 v5, 32, v5
	v_sub_u32_e64 v5, v5, 4 clamp
	v_lshlrev_b32_e32 v9, v5, v3
	v_lshlrev_b32_e32 v5, 23, v5
	v_lshrrev_b32_e32 v9, 4, v9
	v_add_u32_e32 v7, 0x1000000, v3
	v_sub_u32_e32 v5, v9, v5
	v_ashrrev_i32_e32 v7, 8, v7
	v_add_u32_e32 v5, 0x3c000000, v5
	v_and_or_b32 v5, v7, s4, v5
	v_cmp_ne_u32_e32 vcc, 0, v3
	v_cndmask_b32_e32 v3, 0, v5, vcc
	s_brev_b32 s4, 1
	v_and_or_b32 v0, v0, s4, v3
	v_cvt_f64_f32_e32 v[10:11], v0
.LBB55_1334:
	s_mov_b64 s[4:5], 0
.LBB55_1335:
	s_andn2_b64 vcc, exec, s[4:5]
	s_cbranch_vccnz .LBB55_1337
; %bb.1336:
	global_load_ubyte v0, v[16:17], off
	s_movk_i32 s4, 0x7f00
	s_brev_b32 s5, 16
	s_waitcnt vmcnt(0)
	v_lshlrev_b16_e32 v3, 8, v0
	v_lshlrev_b32_e32 v0, 25, v0
	v_lshrrev_b32_e32 v5, 4, v0
	v_and_or_b32 v7, v3, s4, 0.5
	v_or_b32_e32 v5, 0x70000000, v5
	v_add_f32_e32 v7, -0.5, v7
	v_mul_f32_e32 v5, 0x7800000, v5
	v_cmp_gt_u32_e32 vcc, s5, v0
	v_bfe_i32 v3, v3, 0, 16
	v_cndmask_b32_e32 v0, v5, v7, vcc
	s_brev_b32 s4, 1
	v_and_or_b32 v0, v3, s4, v0
	v_cvt_f64_f32_e32 v[10:11], v0
.LBB55_1337:
	s_mov_b64 s[4:5], 0
	s_mov_b64 s[6:7], -1
.LBB55_1338:
	s_andn2_b64 vcc, exec, s[4:5]
	s_mov_b64 s[4:5], 0
	s_cbranch_vccnz .LBB55_1349
; %bb.1339:
	v_mov_b32_e32 v0, 14
	v_cmp_gt_i16_sdwa s[4:5], s18, v0 src0_sel:BYTE_0 src1_sel:DWORD
	s_and_b64 vcc, exec, s[4:5]
	s_cbranch_vccz .LBB55_1342
; %bb.1340:
	v_mov_b32_e32 v0, 15
	v_cmp_eq_u16_sdwa s[0:1], s18, v0 src0_sel:BYTE_0 src1_sel:DWORD
	s_and_b64 vcc, exec, s[0:1]
	s_cbranch_vccz .LBB55_1345
; %bb.1341:
	global_load_ushort v0, v[16:17], off
	s_mov_b64 s[0:1], 0
	s_mov_b64 s[6:7], -1
	s_waitcnt vmcnt(0)
	v_lshlrev_b32_e32 v0, 16, v0
	v_cvt_f64_f32_e32 v[10:11], v0
	s_branch .LBB55_1346
.LBB55_1342:
	s_mov_b64 s[12:13], -1
                                        ; implicit-def: $vgpr10_vgpr11
	s_branch .LBB55_1347
.LBB55_1343:
	s_or_saveexec_b64 s[12:13], s[12:13]
	v_pk_mov_b32 v[10:11], s[6:7], s[6:7] op_sel:[0,1]
	s_xor_b64 exec, exec, s[12:13]
	s_cbranch_execz .LBB55_1324
.LBB55_1344:
	v_cmp_ne_u16_e32 vcc, 0, v0
	s_andn2_b64 s[4:5], s[4:5], exec
	s_and_b64 s[6:7], vcc, exec
	v_pk_mov_b32 v[10:11], 0, 0
	s_or_b64 s[4:5], s[4:5], s[6:7]
	s_or_b64 exec, exec, s[12:13]
	s_and_saveexec_b64 s[6:7], s[4:5]
	s_cbranch_execnz .LBB55_1325
	s_branch .LBB55_1326
.LBB55_1345:
	s_mov_b64 s[0:1], -1
                                        ; implicit-def: $vgpr10_vgpr11
.LBB55_1346:
	s_mov_b64 s[12:13], 0
.LBB55_1347:
	s_mov_b64 s[4:5], 0
	s_and_b64 vcc, exec, s[12:13]
	s_cbranch_vccz .LBB55_1349
; %bb.1348:
	v_mov_b32_e32 v0, 11
	v_cmp_ne_u16_sdwa s[0:1], s18, v0 src0_sel:BYTE_0 src1_sel:DWORD
	s_mov_b64 s[4:5], -1
                                        ; implicit-def: $vgpr10_vgpr11
.LBB55_1349:
	s_and_b64 vcc, exec, s[0:1]
	s_cbranch_vccnz .LBB55_1412
; %bb.1350:
	s_andn2_b64 vcc, exec, s[4:5]
	s_cbranch_vccnz .LBB55_1352
.LBB55_1351:
	global_load_ubyte v0, v[16:17], off
	v_mov_b32_e32 v3, 0x3ff00000
	s_mov_b64 s[6:7], -1
	s_waitcnt vmcnt(0)
	v_cmp_ne_u16_e32 vcc, 0, v0
	v_cndmask_b32_e32 v11, 0, v3, vcc
.LBB55_1352:
	s_branch .LBB55_1279
.LBB55_1353:
	v_mov_b32_e32 v0, 5
	v_cmp_lt_i16_sdwa s[0:1], s18, v0 src0_sel:BYTE_0 src1_sel:DWORD
	s_and_b64 vcc, exec, s[0:1]
	s_cbranch_vccnz .LBB55_1358
; %bb.1354:
	v_mov_b32_e32 v0, 8
	v_cmp_lt_i16_sdwa s[0:1], s18, v0 src0_sel:BYTE_0 src1_sel:DWORD
	s_and_b64 vcc, exec, s[0:1]
	s_cbranch_vccnz .LBB55_1359
; %bb.1355:
	;; [unrolled: 5-line block ×3, first 2 shown]
	v_cmp_gt_i16_sdwa s[0:1], s18, v0 src0_sel:BYTE_0 src1_sel:DWORD
	s_and_b64 vcc, exec, s[0:1]
	s_cbranch_vccz .LBB55_1361
; %bb.1357:
	global_load_dwordx2 v[10:11], v[16:17], off
	s_mov_b64 s[0:1], 0
	s_branch .LBB55_1362
.LBB55_1358:
                                        ; implicit-def: $vgpr10_vgpr11
	s_branch .LBB55_1380
.LBB55_1359:
	s_mov_b64 s[0:1], -1
                                        ; implicit-def: $vgpr10_vgpr11
	s_branch .LBB55_1368
.LBB55_1360:
	s_mov_b64 s[0:1], -1
                                        ; implicit-def: $vgpr10_vgpr11
	s_branch .LBB55_1365
.LBB55_1361:
	s_mov_b64 s[0:1], -1
                                        ; implicit-def: $vgpr10_vgpr11
.LBB55_1362:
	s_andn2_b64 vcc, exec, s[0:1]
	s_cbranch_vccnz .LBB55_1364
; %bb.1363:
	global_load_dword v0, v[16:17], off
	s_waitcnt vmcnt(0)
	v_cvt_f64_f32_e32 v[10:11], v0
.LBB55_1364:
	s_mov_b64 s[0:1], 0
.LBB55_1365:
	s_andn2_b64 vcc, exec, s[0:1]
	s_cbranch_vccnz .LBB55_1367
; %bb.1366:
	global_load_dword v0, v[16:17], off
	s_waitcnt vmcnt(0)
	v_cvt_f32_f16_e32 v0, v0
	v_cvt_f64_f32_e32 v[10:11], v0
.LBB55_1367:
	s_mov_b64 s[0:1], 0
.LBB55_1368:
	s_andn2_b64 vcc, exec, s[0:1]
	s_cbranch_vccnz .LBB55_1379
; %bb.1369:
	v_mov_b32_e32 v0, 6
	v_cmp_lt_i16_sdwa s[0:1], s18, v0 src0_sel:BYTE_0 src1_sel:DWORD
	s_and_b64 vcc, exec, s[0:1]
	s_cbranch_vccnz .LBB55_1372
; %bb.1370:
	v_cmp_gt_i16_sdwa s[0:1], s18, v0 src0_sel:BYTE_0 src1_sel:DWORD
	s_and_b64 vcc, exec, s[0:1]
	s_cbranch_vccz .LBB55_1373
; %bb.1371:
	global_load_dwordx2 v[10:11], v[16:17], off
	s_mov_b64 s[0:1], 0
	s_branch .LBB55_1374
.LBB55_1372:
	s_mov_b64 s[0:1], -1
                                        ; implicit-def: $vgpr10_vgpr11
	s_branch .LBB55_1377
.LBB55_1373:
	s_mov_b64 s[0:1], -1
                                        ; implicit-def: $vgpr10_vgpr11
.LBB55_1374:
	s_andn2_b64 vcc, exec, s[0:1]
	s_cbranch_vccnz .LBB55_1376
; %bb.1375:
	global_load_dword v0, v[16:17], off
	s_waitcnt vmcnt(0)
	v_cvt_f64_f32_e32 v[10:11], v0
.LBB55_1376:
	s_mov_b64 s[0:1], 0
.LBB55_1377:
	s_andn2_b64 vcc, exec, s[0:1]
	s_cbranch_vccnz .LBB55_1379
; %bb.1378:
	global_load_ushort v0, v[16:17], off
	s_waitcnt vmcnt(0)
	v_cvt_f32_f16_e32 v0, v0
	v_cvt_f64_f32_e32 v[10:11], v0
.LBB55_1379:
	s_cbranch_execnz .LBB55_1399
.LBB55_1380:
	v_mov_b32_e32 v0, 2
	v_cmp_lt_i16_sdwa s[0:1], s18, v0 src0_sel:BYTE_0 src1_sel:DWORD
	s_and_b64 vcc, exec, s[0:1]
	s_cbranch_vccnz .LBB55_1384
; %bb.1381:
	v_mov_b32_e32 v0, 3
	v_cmp_lt_i16_sdwa s[0:1], s18, v0 src0_sel:BYTE_0 src1_sel:DWORD
	s_and_b64 vcc, exec, s[0:1]
	s_cbranch_vccnz .LBB55_1385
; %bb.1382:
	v_cmp_gt_i16_sdwa s[0:1], s18, v0 src0_sel:BYTE_0 src1_sel:DWORD
	s_and_b64 vcc, exec, s[0:1]
	s_cbranch_vccz .LBB55_1386
; %bb.1383:
	global_load_dwordx2 v[10:11], v[16:17], off
	s_mov_b64 s[0:1], 0
	s_waitcnt vmcnt(0)
	v_cvt_f64_i32_e32 v[18:19], v11
	v_cvt_f64_u32_e32 v[10:11], v10
	v_ldexp_f64 v[18:19], v[18:19], 32
	v_add_f64 v[10:11], v[18:19], v[10:11]
	s_branch .LBB55_1387
.LBB55_1384:
	s_mov_b64 s[0:1], -1
                                        ; implicit-def: $vgpr10_vgpr11
	s_branch .LBB55_1393
.LBB55_1385:
	s_mov_b64 s[0:1], -1
                                        ; implicit-def: $vgpr10_vgpr11
	s_branch .LBB55_1390
.LBB55_1386:
	s_mov_b64 s[0:1], -1
                                        ; implicit-def: $vgpr10_vgpr11
.LBB55_1387:
	s_andn2_b64 vcc, exec, s[0:1]
	s_cbranch_vccnz .LBB55_1389
; %bb.1388:
	global_load_dword v0, v[16:17], off
	s_waitcnt vmcnt(0)
	v_cvt_f64_i32_e32 v[10:11], v0
.LBB55_1389:
	s_mov_b64 s[0:1], 0
.LBB55_1390:
	s_andn2_b64 vcc, exec, s[0:1]
	s_cbranch_vccnz .LBB55_1392
; %bb.1391:
	global_load_sshort v0, v[16:17], off
	s_waitcnt vmcnt(0)
	v_cvt_f64_i32_e32 v[10:11], v0
.LBB55_1392:
	s_mov_b64 s[0:1], 0
.LBB55_1393:
	s_andn2_b64 vcc, exec, s[0:1]
	s_cbranch_vccnz .LBB55_1399
; %bb.1394:
	v_mov_b32_e32 v0, 0
	v_cmp_gt_i16_sdwa s[0:1], s18, v0 src0_sel:BYTE_0 src1_sel:DWORD
	s_and_b64 vcc, exec, s[0:1]
	s_cbranch_vccz .LBB55_1396
; %bb.1395:
	global_load_sbyte v0, v[16:17], off
	s_mov_b64 s[0:1], 0
	s_waitcnt vmcnt(0)
	v_cvt_f64_i32_e32 v[10:11], v0
	s_branch .LBB55_1397
.LBB55_1396:
	s_mov_b64 s[0:1], -1
                                        ; implicit-def: $vgpr10_vgpr11
.LBB55_1397:
	s_andn2_b64 vcc, exec, s[0:1]
	s_cbranch_vccnz .LBB55_1399
; %bb.1398:
	global_load_ubyte v0, v[16:17], off
	s_waitcnt vmcnt(0)
	v_cvt_f64_u32_e32 v[10:11], v0
.LBB55_1399:
.LBB55_1400:
	v_mov_b32_e32 v0, s11
	v_add_co_u32_e32 v16, vcc, s10, v12
	v_addc_co_u32_e32 v17, vcc, 0, v0, vcc
	v_mov_b32_e32 v0, 11
	v_cmp_lt_i16_sdwa s[0:1], s18, v0 src0_sel:BYTE_0 src1_sel:DWORD
	s_and_b64 vcc, exec, s[0:1]
	s_cbranch_vccnz .LBB55_1407
; %bb.1401:
	v_mov_b32_e32 v0, 25
	v_cmp_gt_i16_sdwa s[0:1], s18, v0 src0_sel:BYTE_0 src1_sel:DWORD
	s_mov_b64 s[4:5], 0
	s_and_b64 vcc, exec, s[0:1]
	s_cbranch_vccz .LBB55_1409
; %bb.1402:
	v_mov_b32_e32 v0, 28
	v_cmp_gt_i16_sdwa s[0:1], s18, v0 src0_sel:BYTE_0 src1_sel:DWORD
	s_and_b64 vcc, exec, s[0:1]
	s_cbranch_vccz .LBB55_1410
; %bb.1403:
	v_mov_b32_e32 v0, 43
	v_cmp_gt_i16_sdwa s[0:1], s18, v0 src0_sel:BYTE_0 src1_sel:DWORD
	;; [unrolled: 5-line block ×3, first 2 shown]
	s_and_b64 vcc, exec, s[0:1]
	s_cbranch_vccz .LBB55_1413
; %bb.1405:
	v_mov_b32_e32 v0, 46
	v_cmp_eq_u16_sdwa s[0:1], s18, v0 src0_sel:BYTE_0 src1_sel:DWORD
	s_mov_b64 s[12:13], 0
	s_and_b64 vcc, exec, s[0:1]
	s_cbranch_vccz .LBB55_1414
; %bb.1406:
	global_load_dword v0, v[16:17], off
	s_mov_b64 s[0:1], 0
	s_mov_b64 s[6:7], -1
	s_waitcnt vmcnt(0)
	v_lshlrev_b32_e32 v0, 16, v0
	v_cvt_f64_f32_e32 v[12:13], v0
	s_branch .LBB55_1415
.LBB55_1407:
	s_mov_b64 s[6:7], 0
                                        ; implicit-def: $vgpr12_vgpr13
	s_cbranch_execnz .LBB55_1481
.LBB55_1408:
	s_andn2_b64 vcc, exec, s[6:7]
	s_cbranch_vccnz .LBB55_2044
	s_branch .LBB55_1529
.LBB55_1409:
	s_mov_b64 s[12:13], -1
	s_mov_b64 s[6:7], 0
	s_mov_b64 s[0:1], 0
                                        ; implicit-def: $vgpr12_vgpr13
	s_branch .LBB55_1444
.LBB55_1410:
	s_mov_b64 s[12:13], -1
	s_mov_b64 s[6:7], 0
	s_mov_b64 s[0:1], 0
                                        ; implicit-def: $vgpr12_vgpr13
	s_branch .LBB55_1425
.LBB55_1411:
	s_mov_b64 s[12:13], -1
	s_mov_b64 s[6:7], 0
	s_mov_b64 s[0:1], 0
                                        ; implicit-def: $vgpr12_vgpr13
	s_branch .LBB55_1420
.LBB55_1412:
	s_trap 2
	s_or_b64 s[2:3], s[2:3], exec
                                        ; implicit-def: $vgpr10_vgpr11
	s_cbranch_execz .LBB55_1351
	s_branch .LBB55_1352
.LBB55_1413:
	s_mov_b64 s[12:13], -1
	s_mov_b64 s[6:7], 0
	s_mov_b64 s[0:1], 0
                                        ; implicit-def: $vgpr12_vgpr13
	s_branch .LBB55_1415
.LBB55_1414:
	s_mov_b64 s[0:1], -1
                                        ; implicit-def: $vgpr12_vgpr13
	s_mov_b64 s[6:7], 0
.LBB55_1415:
	s_and_b64 vcc, exec, s[12:13]
	s_cbranch_vccz .LBB55_1419
; %bb.1416:
	v_mov_b32_e32 v0, 44
	v_cmp_eq_u16_sdwa s[0:1], s18, v0 src0_sel:BYTE_0 src1_sel:DWORD
	s_and_b64 vcc, exec, s[0:1]
	s_cbranch_vccz .LBB55_1418
; %bb.1417:
	global_load_ubyte v0, v[16:17], off
	s_movk_i32 s6, 0xff
	v_mov_b32_e32 v3, 0x7ff80000
	v_bfrev_b32_e32 v5, 28
	s_mov_b64 s[0:1], 0
	s_waitcnt vmcnt(0)
	v_lshlrev_b32_e32 v7, 23, v0
	v_cvt_f64_f32_e32 v[12:13], v7
	v_cmp_ne_u32_e32 vcc, s6, v0
	v_cndmask_b32_e32 v3, v3, v13, vcc
	v_cmp_ne_u32_e32 vcc, 0, v0
	v_cndmask_b32_e32 v13, v5, v3, vcc
	s_mov_b64 s[6:7], -1
	s_branch .LBB55_1419
.LBB55_1418:
	s_mov_b64 s[0:1], -1
                                        ; implicit-def: $vgpr12_vgpr13
.LBB55_1419:
	s_mov_b64 s[12:13], 0
.LBB55_1420:
	s_and_b64 vcc, exec, s[12:13]
	s_cbranch_vccz .LBB55_1424
; %bb.1421:
	v_mov_b32_e32 v0, 29
	v_cmp_eq_u16_sdwa s[0:1], s18, v0 src0_sel:BYTE_0 src1_sel:DWORD
	s_and_b64 vcc, exec, s[0:1]
	s_cbranch_vccz .LBB55_1423
; %bb.1422:
	global_load_dwordx2 v[12:13], v[16:17], off
	s_mov_b64 s[0:1], 0
	s_mov_b64 s[6:7], -1
	s_mov_b64 s[12:13], 0
	s_waitcnt vmcnt(0)
	v_cvt_f64_u32_e32 v[18:19], v13
	v_cvt_f64_u32_e32 v[12:13], v12
	v_ldexp_f64 v[18:19], v[18:19], 32
	v_add_f64 v[12:13], v[18:19], v[12:13]
	s_branch .LBB55_1425
.LBB55_1423:
	s_mov_b64 s[0:1], -1
                                        ; implicit-def: $vgpr12_vgpr13
.LBB55_1424:
	s_mov_b64 s[12:13], 0
.LBB55_1425:
	s_and_b64 vcc, exec, s[12:13]
	s_cbranch_vccz .LBB55_1443
; %bb.1426:
	v_mov_b32_e32 v0, 27
	v_cmp_lt_i16_sdwa s[6:7], s18, v0 src0_sel:BYTE_0 src1_sel:DWORD
	s_and_b64 vcc, exec, s[6:7]
	s_cbranch_vccnz .LBB55_1429
; %bb.1427:
	v_cmp_gt_i16_sdwa s[6:7], s18, v0 src0_sel:BYTE_0 src1_sel:DWORD
	s_and_b64 vcc, exec, s[6:7]
	s_cbranch_vccz .LBB55_1430
; %bb.1428:
	global_load_dword v0, v[16:17], off
	s_mov_b64 s[6:7], 0
	s_waitcnt vmcnt(0)
	v_cvt_f64_u32_e32 v[12:13], v0
	s_branch .LBB55_1431
.LBB55_1429:
	s_mov_b64 s[6:7], -1
                                        ; implicit-def: $vgpr12_vgpr13
	s_branch .LBB55_1434
.LBB55_1430:
	s_mov_b64 s[6:7], -1
                                        ; implicit-def: $vgpr12_vgpr13
.LBB55_1431:
	s_andn2_b64 vcc, exec, s[6:7]
	s_cbranch_vccnz .LBB55_1433
; %bb.1432:
	global_load_ushort v0, v[16:17], off
	s_waitcnt vmcnt(0)
	v_cvt_f64_u32_e32 v[12:13], v0
.LBB55_1433:
	s_mov_b64 s[6:7], 0
.LBB55_1434:
	s_andn2_b64 vcc, exec, s[6:7]
	s_cbranch_vccnz .LBB55_1442
; %bb.1435:
	global_load_ubyte v0, v[16:17], off
	s_movk_i32 s6, 0x7f
                                        ; implicit-def: $sgpr12_sgpr13
	s_waitcnt vmcnt(0)
	v_cmp_lt_i16_e32 vcc, s6, v0
	s_mov_b64 s[6:7], 0
	s_and_saveexec_b64 s[14:15], vcc
	s_xor_b64 s[14:15], exec, s[14:15]
	s_cbranch_execz .LBB55_1456
; %bb.1436:
	s_movk_i32 s6, 0x80
	v_cmp_eq_u16_e32 vcc, s6, v0
	s_mov_b64 s[16:17], -1
                                        ; implicit-def: $sgpr12_sgpr13
	s_and_saveexec_b64 s[6:7], vcc
; %bb.1437:
	s_mov_b32 s13, 0x7ff80000
	s_brev_b32 s12, 4
	s_xor_b64 s[16:17], exec, -1
; %bb.1438:
	s_or_b64 exec, exec, s[6:7]
	s_and_b64 s[6:7], s[16:17], exec
	s_or_saveexec_b64 s[14:15], s[14:15]
	v_pk_mov_b32 v[12:13], s[12:13], s[12:13] op_sel:[0,1]
	s_xor_b64 exec, exec, s[14:15]
	s_cbranch_execnz .LBB55_1457
.LBB55_1439:
	s_or_b64 exec, exec, s[14:15]
	s_and_saveexec_b64 s[12:13], s[6:7]
	s_cbranch_execz .LBB55_1441
.LBB55_1440:
	v_lshlrev_b32_e32 v3, 24, v0
	v_and_b32_e32 v0, 0xffff, v0
	v_and_b32_e32 v5, 7, v0
	v_ffbh_u32_e32 v9, v5
	v_min_u32_e32 v9, 32, v9
	v_subrev_u32_e32 v10, 28, v9
	v_bfe_u32 v7, v0, 3, 4
	v_lshlrev_b32_e32 v0, v10, v0
	v_sub_u32_e32 v9, 29, v9
	v_and_b32_e32 v0, 7, v0
	v_cmp_eq_u32_e32 vcc, 0, v7
	v_cndmask_b32_e32 v7, v7, v9, vcc
	v_cndmask_b32_e32 v0, v5, v0, vcc
	v_mov_b32_e32 v5, 0x3b800000
	v_lshlrev_b32_e32 v0, 20, v0
	v_and_b32_e32 v3, 0x80000000, v3
	v_lshl_add_u32 v5, v7, 23, v5
	v_or3_b32 v0, v3, v5, v0
	v_cvt_f64_f32_e32 v[12:13], v0
.LBB55_1441:
	s_or_b64 exec, exec, s[12:13]
.LBB55_1442:
	s_mov_b64 s[6:7], -1
.LBB55_1443:
	s_mov_b64 s[12:13], 0
.LBB55_1444:
	s_and_b64 vcc, exec, s[12:13]
	s_cbranch_vccz .LBB55_1477
; %bb.1445:
	v_mov_b32_e32 v0, 22
	v_cmp_gt_i16_sdwa s[4:5], s18, v0 src0_sel:BYTE_0 src1_sel:DWORD
	s_and_b64 vcc, exec, s[4:5]
	s_cbranch_vccz .LBB55_1455
; %bb.1446:
	v_mov_b32_e32 v0, 24
	v_cmp_lt_i16_sdwa s[4:5], s18, v0 src0_sel:BYTE_0 src1_sel:DWORD
	s_and_b64 vcc, exec, s[4:5]
	s_cbranch_vccnz .LBB55_1458
; %bb.1447:
	v_cmp_gt_i16_sdwa s[4:5], s18, v0 src0_sel:BYTE_0 src1_sel:DWORD
	s_and_b64 vcc, exec, s[4:5]
	s_cbranch_vccz .LBB55_1459
; %bb.1448:
	global_load_ubyte v0, v[16:17], off
	s_movk_i32 s4, 0x7f
                                        ; implicit-def: $sgpr6_sgpr7
	s_waitcnt vmcnt(0)
	v_cmp_lt_i16_e32 vcc, s4, v0
	s_mov_b64 s[4:5], 0
	s_and_saveexec_b64 s[12:13], vcc
	s_xor_b64 s[12:13], exec, s[12:13]
	s_cbranch_execz .LBB55_1471
; %bb.1449:
	s_movk_i32 s4, 0x80
	v_cmp_eq_u16_e32 vcc, s4, v0
	s_mov_b64 s[14:15], -1
                                        ; implicit-def: $sgpr6_sgpr7
	s_and_saveexec_b64 s[4:5], vcc
; %bb.1450:
	s_mov_b32 s7, 0x7ff80000
	s_brev_b32 s6, 4
	s_xor_b64 s[14:15], exec, -1
; %bb.1451:
	s_or_b64 exec, exec, s[4:5]
	s_and_b64 s[4:5], s[14:15], exec
	s_or_saveexec_b64 s[12:13], s[12:13]
	v_pk_mov_b32 v[12:13], s[6:7], s[6:7] op_sel:[0,1]
	s_xor_b64 exec, exec, s[12:13]
	s_cbranch_execnz .LBB55_1472
.LBB55_1452:
	s_or_b64 exec, exec, s[12:13]
	s_and_saveexec_b64 s[6:7], s[4:5]
	s_cbranch_execz .LBB55_1454
.LBB55_1453:
	v_lshlrev_b32_e32 v3, 24, v0
	v_and_b32_e32 v0, 0xffff, v0
	v_and_b32_e32 v5, 3, v0
	v_ffbh_u32_e32 v9, v5
	v_min_u32_e32 v9, 32, v9
	v_subrev_u32_e32 v10, 29, v9
	v_bfe_u32 v7, v0, 2, 5
	v_lshlrev_b32_e32 v0, v10, v0
	v_sub_u32_e32 v9, 30, v9
	v_and_b32_e32 v0, 3, v0
	v_cmp_eq_u32_e32 vcc, 0, v7
	v_cndmask_b32_e32 v7, v7, v9, vcc
	v_cndmask_b32_e32 v0, v5, v0, vcc
	v_mov_b32_e32 v5, 0x37800000
	v_lshlrev_b32_e32 v0, 21, v0
	v_and_b32_e32 v3, 0x80000000, v3
	v_lshl_add_u32 v5, v7, 23, v5
	v_or3_b32 v0, v3, v5, v0
	v_cvt_f64_f32_e32 v[12:13], v0
.LBB55_1454:
	s_or_b64 exec, exec, s[6:7]
	s_mov_b64 s[4:5], 0
	s_branch .LBB55_1460
.LBB55_1455:
	s_mov_b64 s[4:5], -1
                                        ; implicit-def: $vgpr12_vgpr13
	s_branch .LBB55_1466
.LBB55_1456:
	s_or_saveexec_b64 s[14:15], s[14:15]
	v_pk_mov_b32 v[12:13], s[12:13], s[12:13] op_sel:[0,1]
	s_xor_b64 exec, exec, s[14:15]
	s_cbranch_execz .LBB55_1439
.LBB55_1457:
	v_cmp_ne_u16_e32 vcc, 0, v0
	s_andn2_b64 s[6:7], s[6:7], exec
	s_and_b64 s[12:13], vcc, exec
	v_pk_mov_b32 v[12:13], 0, 0
	s_or_b64 s[6:7], s[6:7], s[12:13]
	s_or_b64 exec, exec, s[14:15]
	s_and_saveexec_b64 s[12:13], s[6:7]
	s_cbranch_execnz .LBB55_1440
	s_branch .LBB55_1441
.LBB55_1458:
	s_mov_b64 s[4:5], -1
                                        ; implicit-def: $vgpr12_vgpr13
	s_branch .LBB55_1463
.LBB55_1459:
	s_mov_b64 s[4:5], -1
                                        ; implicit-def: $vgpr12_vgpr13
.LBB55_1460:
	s_and_b64 vcc, exec, s[4:5]
	s_cbranch_vccz .LBB55_1462
; %bb.1461:
	global_load_ubyte v0, v[16:17], off
	s_mov_b32 s4, 0x7f800000
	s_waitcnt vmcnt(0)
	v_lshlrev_b32_e32 v0, 24, v0
	v_and_b32_e32 v3, 0x7f000000, v0
	v_ffbh_u32_e32 v5, v3
	v_min_u32_e32 v5, 32, v5
	v_sub_u32_e64 v5, v5, 4 clamp
	v_lshlrev_b32_e32 v9, v5, v3
	v_lshlrev_b32_e32 v5, 23, v5
	v_lshrrev_b32_e32 v9, 4, v9
	v_add_u32_e32 v7, 0x1000000, v3
	v_sub_u32_e32 v5, v9, v5
	v_ashrrev_i32_e32 v7, 8, v7
	v_add_u32_e32 v5, 0x3c000000, v5
	v_and_or_b32 v5, v7, s4, v5
	v_cmp_ne_u32_e32 vcc, 0, v3
	v_cndmask_b32_e32 v3, 0, v5, vcc
	s_brev_b32 s4, 1
	v_and_or_b32 v0, v0, s4, v3
	v_cvt_f64_f32_e32 v[12:13], v0
.LBB55_1462:
	s_mov_b64 s[4:5], 0
.LBB55_1463:
	s_andn2_b64 vcc, exec, s[4:5]
	s_cbranch_vccnz .LBB55_1465
; %bb.1464:
	global_load_ubyte v0, v[16:17], off
	s_movk_i32 s4, 0x7f00
	s_brev_b32 s5, 16
	s_waitcnt vmcnt(0)
	v_lshlrev_b16_e32 v3, 8, v0
	v_lshlrev_b32_e32 v0, 25, v0
	v_lshrrev_b32_e32 v5, 4, v0
	v_and_or_b32 v7, v3, s4, 0.5
	v_or_b32_e32 v5, 0x70000000, v5
	v_add_f32_e32 v7, -0.5, v7
	v_mul_f32_e32 v5, 0x7800000, v5
	v_cmp_gt_u32_e32 vcc, s5, v0
	v_bfe_i32 v3, v3, 0, 16
	v_cndmask_b32_e32 v0, v5, v7, vcc
	s_brev_b32 s4, 1
	v_and_or_b32 v0, v3, s4, v0
	v_cvt_f64_f32_e32 v[12:13], v0
.LBB55_1465:
	s_mov_b64 s[4:5], 0
	s_mov_b64 s[6:7], -1
.LBB55_1466:
	s_andn2_b64 vcc, exec, s[4:5]
	s_mov_b64 s[4:5], 0
	s_cbranch_vccnz .LBB55_1477
; %bb.1467:
	v_mov_b32_e32 v0, 14
	v_cmp_gt_i16_sdwa s[4:5], s18, v0 src0_sel:BYTE_0 src1_sel:DWORD
	s_and_b64 vcc, exec, s[4:5]
	s_cbranch_vccz .LBB55_1470
; %bb.1468:
	v_mov_b32_e32 v0, 15
	v_cmp_eq_u16_sdwa s[0:1], s18, v0 src0_sel:BYTE_0 src1_sel:DWORD
	s_and_b64 vcc, exec, s[0:1]
	s_cbranch_vccz .LBB55_1473
; %bb.1469:
	global_load_ushort v0, v[16:17], off
	s_mov_b64 s[0:1], 0
	s_mov_b64 s[6:7], -1
	s_waitcnt vmcnt(0)
	v_lshlrev_b32_e32 v0, 16, v0
	v_cvt_f64_f32_e32 v[12:13], v0
	s_branch .LBB55_1474
.LBB55_1470:
	s_mov_b64 s[12:13], -1
                                        ; implicit-def: $vgpr12_vgpr13
	s_branch .LBB55_1475
.LBB55_1471:
	s_or_saveexec_b64 s[12:13], s[12:13]
	v_pk_mov_b32 v[12:13], s[6:7], s[6:7] op_sel:[0,1]
	s_xor_b64 exec, exec, s[12:13]
	s_cbranch_execz .LBB55_1452
.LBB55_1472:
	v_cmp_ne_u16_e32 vcc, 0, v0
	s_andn2_b64 s[4:5], s[4:5], exec
	s_and_b64 s[6:7], vcc, exec
	v_pk_mov_b32 v[12:13], 0, 0
	s_or_b64 s[4:5], s[4:5], s[6:7]
	s_or_b64 exec, exec, s[12:13]
	s_and_saveexec_b64 s[6:7], s[4:5]
	s_cbranch_execnz .LBB55_1453
	s_branch .LBB55_1454
.LBB55_1473:
	s_mov_b64 s[0:1], -1
                                        ; implicit-def: $vgpr12_vgpr13
.LBB55_1474:
	s_mov_b64 s[12:13], 0
.LBB55_1475:
	s_mov_b64 s[4:5], 0
	s_and_b64 vcc, exec, s[12:13]
	s_cbranch_vccz .LBB55_1477
; %bb.1476:
	v_mov_b32_e32 v0, 11
	v_cmp_ne_u16_sdwa s[0:1], s18, v0 src0_sel:BYTE_0 src1_sel:DWORD
	s_mov_b64 s[4:5], -1
                                        ; implicit-def: $vgpr12_vgpr13
.LBB55_1477:
	s_and_b64 vcc, exec, s[0:1]
	s_cbranch_vccnz .LBB55_1540
; %bb.1478:
	s_andn2_b64 vcc, exec, s[4:5]
	s_cbranch_vccnz .LBB55_1480
.LBB55_1479:
	global_load_ubyte v0, v[16:17], off
	v_mov_b32_e32 v3, 0x3ff00000
	s_mov_b64 s[6:7], -1
	s_waitcnt vmcnt(0)
	v_cmp_ne_u16_e32 vcc, 0, v0
	v_cndmask_b32_e32 v13, 0, v3, vcc
.LBB55_1480:
	s_branch .LBB55_1408
.LBB55_1481:
	v_mov_b32_e32 v0, 5
	v_cmp_lt_i16_sdwa s[0:1], s18, v0 src0_sel:BYTE_0 src1_sel:DWORD
	s_and_b64 vcc, exec, s[0:1]
	s_cbranch_vccnz .LBB55_1486
; %bb.1482:
	v_mov_b32_e32 v0, 8
	v_cmp_lt_i16_sdwa s[0:1], s18, v0 src0_sel:BYTE_0 src1_sel:DWORD
	s_and_b64 vcc, exec, s[0:1]
	s_cbranch_vccnz .LBB55_1487
; %bb.1483:
	;; [unrolled: 5-line block ×3, first 2 shown]
	v_cmp_gt_i16_sdwa s[0:1], s18, v0 src0_sel:BYTE_0 src1_sel:DWORD
	s_and_b64 vcc, exec, s[0:1]
	s_cbranch_vccz .LBB55_1489
; %bb.1485:
	global_load_dwordx2 v[12:13], v[16:17], off
	s_mov_b64 s[0:1], 0
	s_branch .LBB55_1490
.LBB55_1486:
	s_mov_b64 s[0:1], -1
                                        ; implicit-def: $vgpr12_vgpr13
	s_branch .LBB55_1508
.LBB55_1487:
	s_mov_b64 s[0:1], -1
                                        ; implicit-def: $vgpr12_vgpr13
	s_branch .LBB55_1496
.LBB55_1488:
	s_mov_b64 s[0:1], -1
                                        ; implicit-def: $vgpr12_vgpr13
	s_branch .LBB55_1493
.LBB55_1489:
	s_mov_b64 s[0:1], -1
                                        ; implicit-def: $vgpr12_vgpr13
.LBB55_1490:
	s_andn2_b64 vcc, exec, s[0:1]
	s_cbranch_vccnz .LBB55_1492
; %bb.1491:
	global_load_dword v0, v[16:17], off
	s_waitcnt vmcnt(0)
	v_cvt_f64_f32_e32 v[12:13], v0
.LBB55_1492:
	s_mov_b64 s[0:1], 0
.LBB55_1493:
	s_andn2_b64 vcc, exec, s[0:1]
	s_cbranch_vccnz .LBB55_1495
; %bb.1494:
	global_load_dword v0, v[16:17], off
	s_waitcnt vmcnt(0)
	v_cvt_f32_f16_e32 v0, v0
	v_cvt_f64_f32_e32 v[12:13], v0
.LBB55_1495:
	s_mov_b64 s[0:1], 0
.LBB55_1496:
	s_andn2_b64 vcc, exec, s[0:1]
	s_cbranch_vccnz .LBB55_1507
; %bb.1497:
	v_mov_b32_e32 v0, 6
	v_cmp_lt_i16_sdwa s[0:1], s18, v0 src0_sel:BYTE_0 src1_sel:DWORD
	s_and_b64 vcc, exec, s[0:1]
	s_cbranch_vccnz .LBB55_1500
; %bb.1498:
	v_cmp_gt_i16_sdwa s[0:1], s18, v0 src0_sel:BYTE_0 src1_sel:DWORD
	s_and_b64 vcc, exec, s[0:1]
	s_cbranch_vccz .LBB55_1501
; %bb.1499:
	global_load_dwordx2 v[12:13], v[16:17], off
	s_mov_b64 s[0:1], 0
	s_branch .LBB55_1502
.LBB55_1500:
	s_mov_b64 s[0:1], -1
                                        ; implicit-def: $vgpr12_vgpr13
	s_branch .LBB55_1505
.LBB55_1501:
	s_mov_b64 s[0:1], -1
                                        ; implicit-def: $vgpr12_vgpr13
.LBB55_1502:
	s_andn2_b64 vcc, exec, s[0:1]
	s_cbranch_vccnz .LBB55_1504
; %bb.1503:
	global_load_dword v0, v[16:17], off
	s_waitcnt vmcnt(0)
	v_cvt_f64_f32_e32 v[12:13], v0
.LBB55_1504:
	s_mov_b64 s[0:1], 0
.LBB55_1505:
	s_andn2_b64 vcc, exec, s[0:1]
	s_cbranch_vccnz .LBB55_1507
; %bb.1506:
	global_load_ushort v0, v[16:17], off
	s_waitcnt vmcnt(0)
	v_cvt_f32_f16_e32 v0, v0
	v_cvt_f64_f32_e32 v[12:13], v0
.LBB55_1507:
	s_mov_b64 s[0:1], 0
.LBB55_1508:
	s_andn2_b64 vcc, exec, s[0:1]
	s_cbranch_vccnz .LBB55_1528
; %bb.1509:
	v_mov_b32_e32 v0, 2
	v_cmp_lt_i16_sdwa s[0:1], s18, v0 src0_sel:BYTE_0 src1_sel:DWORD
	s_and_b64 vcc, exec, s[0:1]
	s_cbranch_vccnz .LBB55_1513
; %bb.1510:
	v_mov_b32_e32 v0, 3
	v_cmp_lt_i16_sdwa s[0:1], s18, v0 src0_sel:BYTE_0 src1_sel:DWORD
	s_and_b64 vcc, exec, s[0:1]
	s_cbranch_vccnz .LBB55_1514
; %bb.1511:
	v_cmp_gt_i16_sdwa s[0:1], s18, v0 src0_sel:BYTE_0 src1_sel:DWORD
	s_and_b64 vcc, exec, s[0:1]
	s_cbranch_vccz .LBB55_1515
; %bb.1512:
	global_load_dwordx2 v[12:13], v[16:17], off
	s_mov_b64 s[0:1], 0
	s_waitcnt vmcnt(0)
	v_cvt_f64_i32_e32 v[18:19], v13
	v_cvt_f64_u32_e32 v[12:13], v12
	v_ldexp_f64 v[18:19], v[18:19], 32
	v_add_f64 v[12:13], v[18:19], v[12:13]
	s_branch .LBB55_1516
.LBB55_1513:
	s_mov_b64 s[0:1], -1
                                        ; implicit-def: $vgpr12_vgpr13
	s_branch .LBB55_1522
.LBB55_1514:
	s_mov_b64 s[0:1], -1
                                        ; implicit-def: $vgpr12_vgpr13
	s_branch .LBB55_1519
.LBB55_1515:
	s_mov_b64 s[0:1], -1
                                        ; implicit-def: $vgpr12_vgpr13
.LBB55_1516:
	s_andn2_b64 vcc, exec, s[0:1]
	s_cbranch_vccnz .LBB55_1518
; %bb.1517:
	global_load_dword v0, v[16:17], off
	s_waitcnt vmcnt(0)
	v_cvt_f64_i32_e32 v[12:13], v0
.LBB55_1518:
	s_mov_b64 s[0:1], 0
.LBB55_1519:
	s_andn2_b64 vcc, exec, s[0:1]
	s_cbranch_vccnz .LBB55_1521
; %bb.1520:
	global_load_sshort v0, v[16:17], off
	s_waitcnt vmcnt(0)
	v_cvt_f64_i32_e32 v[12:13], v0
.LBB55_1521:
	s_mov_b64 s[0:1], 0
.LBB55_1522:
	s_andn2_b64 vcc, exec, s[0:1]
	s_cbranch_vccnz .LBB55_1528
; %bb.1523:
	v_mov_b32_e32 v0, 0
	v_cmp_gt_i16_sdwa s[0:1], s18, v0 src0_sel:BYTE_0 src1_sel:DWORD
	s_and_b64 vcc, exec, s[0:1]
	s_cbranch_vccz .LBB55_1525
; %bb.1524:
	global_load_sbyte v0, v[16:17], off
	s_mov_b64 s[0:1], 0
	s_waitcnt vmcnt(0)
	v_cvt_f64_i32_e32 v[12:13], v0
	s_branch .LBB55_1526
.LBB55_1525:
	s_mov_b64 s[0:1], -1
                                        ; implicit-def: $vgpr12_vgpr13
.LBB55_1526:
	s_andn2_b64 vcc, exec, s[0:1]
	s_cbranch_vccnz .LBB55_1528
; %bb.1527:
	global_load_ubyte v0, v[16:17], off
	s_waitcnt vmcnt(0)
	v_cvt_f64_u32_e32 v[12:13], v0
.LBB55_1528:
.LBB55_1529:
	v_mov_b32_e32 v0, s11
	v_add_co_u32_e32 v16, vcc, s10, v14
	v_addc_co_u32_e32 v17, vcc, 0, v0, vcc
	v_mov_b32_e32 v0, 11
	v_cmp_lt_i16_sdwa s[0:1], s18, v0 src0_sel:BYTE_0 src1_sel:DWORD
	s_and_b64 vcc, exec, s[0:1]
	s_cbranch_vccnz .LBB55_1536
; %bb.1530:
	v_mov_b32_e32 v0, 25
	v_cmp_gt_i16_sdwa s[0:1], s18, v0 src0_sel:BYTE_0 src1_sel:DWORD
	s_mov_b64 s[4:5], 0
	s_and_b64 vcc, exec, s[0:1]
	s_cbranch_vccz .LBB55_1537
; %bb.1531:
	v_mov_b32_e32 v0, 28
	v_cmp_gt_i16_sdwa s[0:1], s18, v0 src0_sel:BYTE_0 src1_sel:DWORD
	s_and_b64 vcc, exec, s[0:1]
	s_cbranch_vccz .LBB55_1538
; %bb.1532:
	v_mov_b32_e32 v0, 43
	v_cmp_gt_i16_sdwa s[0:1], s18, v0 src0_sel:BYTE_0 src1_sel:DWORD
	;; [unrolled: 5-line block ×3, first 2 shown]
	s_and_b64 vcc, exec, s[0:1]
	s_cbranch_vccz .LBB55_1541
; %bb.1534:
	v_mov_b32_e32 v0, 46
	v_cmp_eq_u16_sdwa s[0:1], s18, v0 src0_sel:BYTE_0 src1_sel:DWORD
	s_mov_b64 s[10:11], 0
	s_and_b64 vcc, exec, s[0:1]
	s_cbranch_vccz .LBB55_1542
; %bb.1535:
	global_load_dword v0, v[16:17], off
	s_mov_b64 s[0:1], 0
	s_mov_b64 s[6:7], -1
	s_waitcnt vmcnt(0)
	v_lshlrev_b32_e32 v0, 16, v0
	v_cvt_f64_f32_e32 v[14:15], v0
	s_branch .LBB55_1543
.LBB55_1536:
	s_mov_b64 s[0:1], -1
	s_mov_b64 s[6:7], 0
                                        ; implicit-def: $vgpr14_vgpr15
	s_branch .LBB55_1609
.LBB55_1537:
	s_mov_b64 s[10:11], -1
	s_mov_b64 s[6:7], 0
	s_mov_b64 s[0:1], 0
                                        ; implicit-def: $vgpr14_vgpr15
	s_branch .LBB55_1572
.LBB55_1538:
	s_mov_b64 s[10:11], -1
	s_mov_b64 s[6:7], 0
	s_mov_b64 s[0:1], 0
                                        ; implicit-def: $vgpr14_vgpr15
	s_branch .LBB55_1553
.LBB55_1539:
	s_mov_b64 s[10:11], -1
	s_mov_b64 s[6:7], 0
	s_mov_b64 s[0:1], 0
                                        ; implicit-def: $vgpr14_vgpr15
	s_branch .LBB55_1548
.LBB55_1540:
	s_trap 2
	s_or_b64 s[2:3], s[2:3], exec
                                        ; implicit-def: $vgpr12_vgpr13
	s_cbranch_execz .LBB55_1479
	s_branch .LBB55_1480
.LBB55_1541:
	s_mov_b64 s[10:11], -1
	s_mov_b64 s[6:7], 0
	s_mov_b64 s[0:1], 0
                                        ; implicit-def: $vgpr14_vgpr15
	s_branch .LBB55_1543
.LBB55_1542:
	s_mov_b64 s[0:1], -1
                                        ; implicit-def: $vgpr14_vgpr15
	s_mov_b64 s[6:7], 0
.LBB55_1543:
	s_and_b64 vcc, exec, s[10:11]
	s_cbranch_vccz .LBB55_1547
; %bb.1544:
	v_mov_b32_e32 v0, 44
	v_cmp_eq_u16_sdwa s[0:1], s18, v0 src0_sel:BYTE_0 src1_sel:DWORD
	s_and_b64 vcc, exec, s[0:1]
	s_cbranch_vccz .LBB55_1546
; %bb.1545:
	global_load_ubyte v0, v[16:17], off
	s_movk_i32 s6, 0xff
	v_mov_b32_e32 v3, 0x7ff80000
	v_bfrev_b32_e32 v5, 28
	s_mov_b64 s[0:1], 0
	s_waitcnt vmcnt(0)
	v_lshlrev_b32_e32 v7, 23, v0
	v_cvt_f64_f32_e32 v[14:15], v7
	v_cmp_ne_u32_e32 vcc, s6, v0
	v_cndmask_b32_e32 v3, v3, v15, vcc
	v_cmp_ne_u32_e32 vcc, 0, v0
	v_cndmask_b32_e32 v15, v5, v3, vcc
	s_mov_b64 s[6:7], -1
	s_branch .LBB55_1547
.LBB55_1546:
	s_mov_b64 s[0:1], -1
                                        ; implicit-def: $vgpr14_vgpr15
.LBB55_1547:
	s_mov_b64 s[10:11], 0
.LBB55_1548:
	s_and_b64 vcc, exec, s[10:11]
	s_cbranch_vccz .LBB55_1552
; %bb.1549:
	v_mov_b32_e32 v0, 29
	v_cmp_eq_u16_sdwa s[0:1], s18, v0 src0_sel:BYTE_0 src1_sel:DWORD
	s_and_b64 vcc, exec, s[0:1]
	s_cbranch_vccz .LBB55_1551
; %bb.1550:
	global_load_dwordx2 v[14:15], v[16:17], off
	s_mov_b64 s[0:1], 0
	s_mov_b64 s[6:7], -1
	s_mov_b64 s[10:11], 0
	s_waitcnt vmcnt(0)
	v_cvt_f64_u32_e32 v[18:19], v15
	v_cvt_f64_u32_e32 v[14:15], v14
	v_ldexp_f64 v[18:19], v[18:19], 32
	v_add_f64 v[14:15], v[18:19], v[14:15]
	s_branch .LBB55_1553
.LBB55_1551:
	s_mov_b64 s[0:1], -1
                                        ; implicit-def: $vgpr14_vgpr15
.LBB55_1552:
	s_mov_b64 s[10:11], 0
.LBB55_1553:
	s_and_b64 vcc, exec, s[10:11]
	s_cbranch_vccz .LBB55_1571
; %bb.1554:
	v_mov_b32_e32 v0, 27
	v_cmp_lt_i16_sdwa s[6:7], s18, v0 src0_sel:BYTE_0 src1_sel:DWORD
	s_and_b64 vcc, exec, s[6:7]
	s_cbranch_vccnz .LBB55_1557
; %bb.1555:
	v_cmp_gt_i16_sdwa s[6:7], s18, v0 src0_sel:BYTE_0 src1_sel:DWORD
	s_and_b64 vcc, exec, s[6:7]
	s_cbranch_vccz .LBB55_1558
; %bb.1556:
	global_load_dword v0, v[16:17], off
	s_mov_b64 s[6:7], 0
	s_waitcnt vmcnt(0)
	v_cvt_f64_u32_e32 v[14:15], v0
	s_branch .LBB55_1559
.LBB55_1557:
	s_mov_b64 s[6:7], -1
                                        ; implicit-def: $vgpr14_vgpr15
	s_branch .LBB55_1562
.LBB55_1558:
	s_mov_b64 s[6:7], -1
                                        ; implicit-def: $vgpr14_vgpr15
.LBB55_1559:
	s_andn2_b64 vcc, exec, s[6:7]
	s_cbranch_vccnz .LBB55_1561
; %bb.1560:
	global_load_ushort v0, v[16:17], off
	s_waitcnt vmcnt(0)
	v_cvt_f64_u32_e32 v[14:15], v0
.LBB55_1561:
	s_mov_b64 s[6:7], 0
.LBB55_1562:
	s_andn2_b64 vcc, exec, s[6:7]
	s_cbranch_vccnz .LBB55_1570
; %bb.1563:
	global_load_ubyte v0, v[16:17], off
	s_movk_i32 s6, 0x7f
                                        ; implicit-def: $sgpr10_sgpr11
	s_waitcnt vmcnt(0)
	v_cmp_lt_i16_e32 vcc, s6, v0
	s_mov_b64 s[6:7], 0
	s_and_saveexec_b64 s[12:13], vcc
	s_xor_b64 s[12:13], exec, s[12:13]
	s_cbranch_execz .LBB55_1584
; %bb.1564:
	s_movk_i32 s6, 0x80
	v_cmp_eq_u16_e32 vcc, s6, v0
	s_mov_b64 s[14:15], -1
                                        ; implicit-def: $sgpr10_sgpr11
	s_and_saveexec_b64 s[6:7], vcc
; %bb.1565:
	s_mov_b32 s11, 0x7ff80000
	s_brev_b32 s10, 4
	s_xor_b64 s[14:15], exec, -1
; %bb.1566:
	s_or_b64 exec, exec, s[6:7]
	s_and_b64 s[6:7], s[14:15], exec
	s_or_saveexec_b64 s[12:13], s[12:13]
	v_pk_mov_b32 v[14:15], s[10:11], s[10:11] op_sel:[0,1]
	s_xor_b64 exec, exec, s[12:13]
	s_cbranch_execnz .LBB55_1585
.LBB55_1567:
	s_or_b64 exec, exec, s[12:13]
	s_and_saveexec_b64 s[10:11], s[6:7]
	s_cbranch_execz .LBB55_1569
.LBB55_1568:
	v_lshlrev_b32_e32 v3, 24, v0
	v_and_b32_e32 v0, 0xffff, v0
	v_and_b32_e32 v5, 7, v0
	v_ffbh_u32_e32 v9, v5
	v_min_u32_e32 v9, 32, v9
	v_subrev_u32_e32 v10, 28, v9
	v_bfe_u32 v7, v0, 3, 4
	v_lshlrev_b32_e32 v0, v10, v0
	v_sub_u32_e32 v9, 29, v9
	v_and_b32_e32 v0, 7, v0
	v_cmp_eq_u32_e32 vcc, 0, v7
	v_cndmask_b32_e32 v7, v7, v9, vcc
	v_cndmask_b32_e32 v0, v5, v0, vcc
	v_mov_b32_e32 v5, 0x3b800000
	v_lshlrev_b32_e32 v0, 20, v0
	v_and_b32_e32 v3, 0x80000000, v3
	v_lshl_add_u32 v5, v7, 23, v5
	v_or3_b32 v0, v3, v5, v0
	v_cvt_f64_f32_e32 v[14:15], v0
.LBB55_1569:
	s_or_b64 exec, exec, s[10:11]
.LBB55_1570:
	s_mov_b64 s[6:7], -1
.LBB55_1571:
	s_mov_b64 s[10:11], 0
.LBB55_1572:
	s_and_b64 vcc, exec, s[10:11]
	s_cbranch_vccz .LBB55_1605
; %bb.1573:
	v_mov_b32_e32 v0, 22
	v_cmp_gt_i16_sdwa s[4:5], s18, v0 src0_sel:BYTE_0 src1_sel:DWORD
	s_and_b64 vcc, exec, s[4:5]
	s_cbranch_vccz .LBB55_1583
; %bb.1574:
	v_mov_b32_e32 v0, 24
	v_cmp_lt_i16_sdwa s[4:5], s18, v0 src0_sel:BYTE_0 src1_sel:DWORD
	s_and_b64 vcc, exec, s[4:5]
	s_cbranch_vccnz .LBB55_1586
; %bb.1575:
	v_cmp_gt_i16_sdwa s[4:5], s18, v0 src0_sel:BYTE_0 src1_sel:DWORD
	s_and_b64 vcc, exec, s[4:5]
	s_cbranch_vccz .LBB55_1587
; %bb.1576:
	global_load_ubyte v0, v[16:17], off
	s_movk_i32 s4, 0x7f
                                        ; implicit-def: $sgpr6_sgpr7
	s_waitcnt vmcnt(0)
	v_cmp_lt_i16_e32 vcc, s4, v0
	s_mov_b64 s[4:5], 0
	s_and_saveexec_b64 s[10:11], vcc
	s_xor_b64 s[10:11], exec, s[10:11]
	s_cbranch_execz .LBB55_1599
; %bb.1577:
	s_movk_i32 s4, 0x80
	v_cmp_eq_u16_e32 vcc, s4, v0
	s_mov_b64 s[12:13], -1
                                        ; implicit-def: $sgpr6_sgpr7
	s_and_saveexec_b64 s[4:5], vcc
; %bb.1578:
	s_mov_b32 s7, 0x7ff80000
	s_brev_b32 s6, 4
	s_xor_b64 s[12:13], exec, -1
; %bb.1579:
	s_or_b64 exec, exec, s[4:5]
	s_and_b64 s[4:5], s[12:13], exec
	s_or_saveexec_b64 s[10:11], s[10:11]
	v_pk_mov_b32 v[14:15], s[6:7], s[6:7] op_sel:[0,1]
	s_xor_b64 exec, exec, s[10:11]
	s_cbranch_execnz .LBB55_1600
.LBB55_1580:
	s_or_b64 exec, exec, s[10:11]
	s_and_saveexec_b64 s[6:7], s[4:5]
	s_cbranch_execz .LBB55_1582
.LBB55_1581:
	v_lshlrev_b32_e32 v3, 24, v0
	v_and_b32_e32 v0, 0xffff, v0
	v_and_b32_e32 v5, 3, v0
	v_ffbh_u32_e32 v9, v5
	v_min_u32_e32 v9, 32, v9
	v_subrev_u32_e32 v10, 29, v9
	v_bfe_u32 v7, v0, 2, 5
	v_lshlrev_b32_e32 v0, v10, v0
	v_sub_u32_e32 v9, 30, v9
	v_and_b32_e32 v0, 3, v0
	v_cmp_eq_u32_e32 vcc, 0, v7
	v_cndmask_b32_e32 v7, v7, v9, vcc
	v_cndmask_b32_e32 v0, v5, v0, vcc
	v_mov_b32_e32 v5, 0x37800000
	v_lshlrev_b32_e32 v0, 21, v0
	v_and_b32_e32 v3, 0x80000000, v3
	v_lshl_add_u32 v5, v7, 23, v5
	v_or3_b32 v0, v3, v5, v0
	v_cvt_f64_f32_e32 v[14:15], v0
.LBB55_1582:
	s_or_b64 exec, exec, s[6:7]
	s_mov_b64 s[4:5], 0
	s_branch .LBB55_1588
.LBB55_1583:
	s_mov_b64 s[4:5], -1
                                        ; implicit-def: $vgpr14_vgpr15
	s_branch .LBB55_1594
.LBB55_1584:
	s_or_saveexec_b64 s[12:13], s[12:13]
	v_pk_mov_b32 v[14:15], s[10:11], s[10:11] op_sel:[0,1]
	s_xor_b64 exec, exec, s[12:13]
	s_cbranch_execz .LBB55_1567
.LBB55_1585:
	v_cmp_ne_u16_e32 vcc, 0, v0
	s_andn2_b64 s[6:7], s[6:7], exec
	s_and_b64 s[10:11], vcc, exec
	v_pk_mov_b32 v[14:15], 0, 0
	s_or_b64 s[6:7], s[6:7], s[10:11]
	s_or_b64 exec, exec, s[12:13]
	s_and_saveexec_b64 s[10:11], s[6:7]
	s_cbranch_execnz .LBB55_1568
	s_branch .LBB55_1569
.LBB55_1586:
	s_mov_b64 s[4:5], -1
                                        ; implicit-def: $vgpr14_vgpr15
	s_branch .LBB55_1591
.LBB55_1587:
	s_mov_b64 s[4:5], -1
                                        ; implicit-def: $vgpr14_vgpr15
.LBB55_1588:
	s_and_b64 vcc, exec, s[4:5]
	s_cbranch_vccz .LBB55_1590
; %bb.1589:
	global_load_ubyte v0, v[16:17], off
	s_mov_b32 s4, 0x7f800000
	s_waitcnt vmcnt(0)
	v_lshlrev_b32_e32 v0, 24, v0
	v_and_b32_e32 v3, 0x7f000000, v0
	v_ffbh_u32_e32 v5, v3
	v_min_u32_e32 v5, 32, v5
	v_sub_u32_e64 v5, v5, 4 clamp
	v_lshlrev_b32_e32 v9, v5, v3
	v_lshlrev_b32_e32 v5, 23, v5
	v_lshrrev_b32_e32 v9, 4, v9
	v_add_u32_e32 v7, 0x1000000, v3
	v_sub_u32_e32 v5, v9, v5
	v_ashrrev_i32_e32 v7, 8, v7
	v_add_u32_e32 v5, 0x3c000000, v5
	v_and_or_b32 v5, v7, s4, v5
	v_cmp_ne_u32_e32 vcc, 0, v3
	v_cndmask_b32_e32 v3, 0, v5, vcc
	s_brev_b32 s4, 1
	v_and_or_b32 v0, v0, s4, v3
	v_cvt_f64_f32_e32 v[14:15], v0
.LBB55_1590:
	s_mov_b64 s[4:5], 0
.LBB55_1591:
	s_andn2_b64 vcc, exec, s[4:5]
	s_cbranch_vccnz .LBB55_1593
; %bb.1592:
	global_load_ubyte v0, v[16:17], off
	s_movk_i32 s4, 0x7f00
	s_brev_b32 s5, 16
	s_waitcnt vmcnt(0)
	v_lshlrev_b16_e32 v3, 8, v0
	v_lshlrev_b32_e32 v0, 25, v0
	v_lshrrev_b32_e32 v5, 4, v0
	v_and_or_b32 v7, v3, s4, 0.5
	v_or_b32_e32 v5, 0x70000000, v5
	v_add_f32_e32 v7, -0.5, v7
	v_mul_f32_e32 v5, 0x7800000, v5
	v_cmp_gt_u32_e32 vcc, s5, v0
	v_bfe_i32 v3, v3, 0, 16
	v_cndmask_b32_e32 v0, v5, v7, vcc
	s_brev_b32 s4, 1
	v_and_or_b32 v0, v3, s4, v0
	v_cvt_f64_f32_e32 v[14:15], v0
.LBB55_1593:
	s_mov_b64 s[4:5], 0
	s_mov_b64 s[6:7], -1
.LBB55_1594:
	s_andn2_b64 vcc, exec, s[4:5]
	s_mov_b64 s[4:5], 0
	s_cbranch_vccnz .LBB55_1605
; %bb.1595:
	v_mov_b32_e32 v0, 14
	v_cmp_gt_i16_sdwa s[4:5], s18, v0 src0_sel:BYTE_0 src1_sel:DWORD
	s_and_b64 vcc, exec, s[4:5]
	s_cbranch_vccz .LBB55_1598
; %bb.1596:
	v_mov_b32_e32 v0, 15
	v_cmp_eq_u16_sdwa s[0:1], s18, v0 src0_sel:BYTE_0 src1_sel:DWORD
	s_and_b64 vcc, exec, s[0:1]
	s_cbranch_vccz .LBB55_1601
; %bb.1597:
	global_load_ushort v0, v[16:17], off
	s_mov_b64 s[0:1], 0
	s_mov_b64 s[6:7], -1
	s_waitcnt vmcnt(0)
	v_lshlrev_b32_e32 v0, 16, v0
	v_cvt_f64_f32_e32 v[14:15], v0
	s_branch .LBB55_1602
.LBB55_1598:
	s_mov_b64 s[10:11], -1
                                        ; implicit-def: $vgpr14_vgpr15
	s_branch .LBB55_1603
.LBB55_1599:
	s_or_saveexec_b64 s[10:11], s[10:11]
	v_pk_mov_b32 v[14:15], s[6:7], s[6:7] op_sel:[0,1]
	s_xor_b64 exec, exec, s[10:11]
	s_cbranch_execz .LBB55_1580
.LBB55_1600:
	v_cmp_ne_u16_e32 vcc, 0, v0
	s_andn2_b64 s[4:5], s[4:5], exec
	s_and_b64 s[6:7], vcc, exec
	v_pk_mov_b32 v[14:15], 0, 0
	s_or_b64 s[4:5], s[4:5], s[6:7]
	s_or_b64 exec, exec, s[10:11]
	s_and_saveexec_b64 s[6:7], s[4:5]
	s_cbranch_execnz .LBB55_1581
	s_branch .LBB55_1582
.LBB55_1601:
	s_mov_b64 s[0:1], -1
                                        ; implicit-def: $vgpr14_vgpr15
.LBB55_1602:
	s_mov_b64 s[10:11], 0
.LBB55_1603:
	s_mov_b64 s[4:5], 0
	s_and_b64 vcc, exec, s[10:11]
	s_cbranch_vccz .LBB55_1605
; %bb.1604:
	v_mov_b32_e32 v0, 11
	v_cmp_ne_u16_sdwa s[0:1], s18, v0 src0_sel:BYTE_0 src1_sel:DWORD
	s_mov_b64 s[4:5], -1
                                        ; implicit-def: $vgpr14_vgpr15
.LBB55_1605:
	s_and_b64 vcc, exec, s[0:1]
	s_cbranch_vccnz .LBB55_1669
; %bb.1606:
	s_andn2_b64 vcc, exec, s[4:5]
	s_cbranch_vccnz .LBB55_1608
.LBB55_1607:
	global_load_ubyte v0, v[16:17], off
	v_mov_b32_e32 v3, 0x3ff00000
	s_mov_b64 s[6:7], -1
	s_waitcnt vmcnt(0)
	v_cmp_ne_u16_e32 vcc, 0, v0
	v_cndmask_b32_e32 v15, 0, v3, vcc
.LBB55_1608:
	s_mov_b64 s[0:1], 0
.LBB55_1609:
	s_and_b64 vcc, exec, s[0:1]
	s_cbranch_vccz .LBB55_1658
; %bb.1610:
	v_mov_b32_e32 v0, 5
	v_cmp_lt_i16_sdwa s[0:1], s18, v0 src0_sel:BYTE_0 src1_sel:DWORD
	s_and_b64 vcc, exec, s[0:1]
	s_cbranch_vccnz .LBB55_1615
; %bb.1611:
	v_mov_b32_e32 v0, 8
	v_cmp_lt_i16_sdwa s[0:1], s18, v0 src0_sel:BYTE_0 src1_sel:DWORD
	s_and_b64 vcc, exec, s[0:1]
	s_cbranch_vccnz .LBB55_1616
	;; [unrolled: 5-line block ×3, first 2 shown]
; %bb.1613:
	v_cmp_gt_i16_sdwa s[0:1], s18, v0 src0_sel:BYTE_0 src1_sel:DWORD
	s_and_b64 vcc, exec, s[0:1]
	s_cbranch_vccz .LBB55_1618
; %bb.1614:
	global_load_dwordx2 v[14:15], v[16:17], off
	s_mov_b64 s[0:1], 0
	s_branch .LBB55_1619
.LBB55_1615:
	s_mov_b64 s[0:1], -1
                                        ; implicit-def: $vgpr14_vgpr15
	s_branch .LBB55_1637
.LBB55_1616:
	s_mov_b64 s[0:1], -1
                                        ; implicit-def: $vgpr14_vgpr15
	s_branch .LBB55_1625
.LBB55_1617:
	s_mov_b64 s[0:1], -1
                                        ; implicit-def: $vgpr14_vgpr15
	s_branch .LBB55_1622
.LBB55_1618:
	s_mov_b64 s[0:1], -1
                                        ; implicit-def: $vgpr14_vgpr15
.LBB55_1619:
	s_andn2_b64 vcc, exec, s[0:1]
	s_cbranch_vccnz .LBB55_1621
; %bb.1620:
	global_load_dword v0, v[16:17], off
	s_waitcnt vmcnt(0)
	v_cvt_f64_f32_e32 v[14:15], v0
.LBB55_1621:
	s_mov_b64 s[0:1], 0
.LBB55_1622:
	s_andn2_b64 vcc, exec, s[0:1]
	s_cbranch_vccnz .LBB55_1624
; %bb.1623:
	global_load_dword v0, v[16:17], off
	s_waitcnt vmcnt(0)
	v_cvt_f32_f16_e32 v0, v0
	v_cvt_f64_f32_e32 v[14:15], v0
.LBB55_1624:
	s_mov_b64 s[0:1], 0
.LBB55_1625:
	s_andn2_b64 vcc, exec, s[0:1]
	s_cbranch_vccnz .LBB55_1636
; %bb.1626:
	v_mov_b32_e32 v0, 6
	v_cmp_lt_i16_sdwa s[0:1], s18, v0 src0_sel:BYTE_0 src1_sel:DWORD
	s_and_b64 vcc, exec, s[0:1]
	s_cbranch_vccnz .LBB55_1629
; %bb.1627:
	v_cmp_gt_i16_sdwa s[0:1], s18, v0 src0_sel:BYTE_0 src1_sel:DWORD
	s_and_b64 vcc, exec, s[0:1]
	s_cbranch_vccz .LBB55_1630
; %bb.1628:
	global_load_dwordx2 v[14:15], v[16:17], off
	s_mov_b64 s[0:1], 0
	s_branch .LBB55_1631
.LBB55_1629:
	s_mov_b64 s[0:1], -1
                                        ; implicit-def: $vgpr14_vgpr15
	s_branch .LBB55_1634
.LBB55_1630:
	s_mov_b64 s[0:1], -1
                                        ; implicit-def: $vgpr14_vgpr15
.LBB55_1631:
	s_andn2_b64 vcc, exec, s[0:1]
	s_cbranch_vccnz .LBB55_1633
; %bb.1632:
	global_load_dword v0, v[16:17], off
	s_waitcnt vmcnt(0)
	v_cvt_f64_f32_e32 v[14:15], v0
.LBB55_1633:
	s_mov_b64 s[0:1], 0
.LBB55_1634:
	s_andn2_b64 vcc, exec, s[0:1]
	s_cbranch_vccnz .LBB55_1636
; %bb.1635:
	global_load_ushort v0, v[16:17], off
	s_waitcnt vmcnt(0)
	v_cvt_f32_f16_e32 v0, v0
	v_cvt_f64_f32_e32 v[14:15], v0
.LBB55_1636:
	s_mov_b64 s[0:1], 0
.LBB55_1637:
	s_andn2_b64 vcc, exec, s[0:1]
	s_cbranch_vccnz .LBB55_1657
; %bb.1638:
	v_mov_b32_e32 v0, 2
	v_cmp_lt_i16_sdwa s[0:1], s18, v0 src0_sel:BYTE_0 src1_sel:DWORD
	s_and_b64 vcc, exec, s[0:1]
	s_cbranch_vccnz .LBB55_1642
; %bb.1639:
	v_mov_b32_e32 v0, 3
	v_cmp_lt_i16_sdwa s[0:1], s18, v0 src0_sel:BYTE_0 src1_sel:DWORD
	s_and_b64 vcc, exec, s[0:1]
	s_cbranch_vccnz .LBB55_1643
; %bb.1640:
	v_cmp_gt_i16_sdwa s[0:1], s18, v0 src0_sel:BYTE_0 src1_sel:DWORD
	s_and_b64 vcc, exec, s[0:1]
	s_cbranch_vccz .LBB55_1644
; %bb.1641:
	global_load_dwordx2 v[14:15], v[16:17], off
	s_mov_b64 s[0:1], 0
	s_waitcnt vmcnt(0)
	v_cvt_f64_i32_e32 v[18:19], v15
	v_cvt_f64_u32_e32 v[14:15], v14
	v_ldexp_f64 v[18:19], v[18:19], 32
	v_add_f64 v[14:15], v[18:19], v[14:15]
	s_branch .LBB55_1645
.LBB55_1642:
	s_mov_b64 s[0:1], -1
                                        ; implicit-def: $vgpr14_vgpr15
	s_branch .LBB55_1651
.LBB55_1643:
	s_mov_b64 s[0:1], -1
                                        ; implicit-def: $vgpr14_vgpr15
	s_branch .LBB55_1648
.LBB55_1644:
	s_mov_b64 s[0:1], -1
                                        ; implicit-def: $vgpr14_vgpr15
.LBB55_1645:
	s_andn2_b64 vcc, exec, s[0:1]
	s_cbranch_vccnz .LBB55_1647
; %bb.1646:
	global_load_dword v0, v[16:17], off
	s_waitcnt vmcnt(0)
	v_cvt_f64_i32_e32 v[14:15], v0
.LBB55_1647:
	s_mov_b64 s[0:1], 0
.LBB55_1648:
	s_andn2_b64 vcc, exec, s[0:1]
	s_cbranch_vccnz .LBB55_1650
; %bb.1649:
	global_load_sshort v0, v[16:17], off
	s_waitcnt vmcnt(0)
	v_cvt_f64_i32_e32 v[14:15], v0
.LBB55_1650:
	s_mov_b64 s[0:1], 0
.LBB55_1651:
	s_andn2_b64 vcc, exec, s[0:1]
	s_cbranch_vccnz .LBB55_1657
; %bb.1652:
	v_mov_b32_e32 v0, 0
	v_cmp_gt_i16_sdwa s[0:1], s18, v0 src0_sel:BYTE_0 src1_sel:DWORD
	s_and_b64 vcc, exec, s[0:1]
	s_cbranch_vccz .LBB55_1654
; %bb.1653:
	global_load_sbyte v0, v[16:17], off
	s_mov_b64 s[0:1], 0
	s_waitcnt vmcnt(0)
	v_cvt_f64_i32_e32 v[14:15], v0
	s_branch .LBB55_1655
.LBB55_1654:
	s_mov_b64 s[0:1], -1
                                        ; implicit-def: $vgpr14_vgpr15
.LBB55_1655:
	s_andn2_b64 vcc, exec, s[0:1]
	s_cbranch_vccnz .LBB55_1657
; %bb.1656:
	global_load_ubyte v0, v[16:17], off
	s_waitcnt vmcnt(0)
	v_cvt_f64_u32_e32 v[14:15], v0
.LBB55_1657:
	s_mov_b64 s[6:7], -1
.LBB55_1658:
	s_andn2_b64 vcc, exec, s[6:7]
	s_cbranch_vccnz .LBB55_2044
; %bb.1659:
	s_load_dword s0, s[34:35], 0x168
	s_load_dwordx2 s[4:5], s[34:35], 0x160
	s_brev_b32 s1, -2
	v_add_co_u32_e32 v16, vcc, s8, v2
	s_waitcnt lgkmcnt(0)
	s_and_b32 s18, s0, 0xff
	v_mov_b32_e32 v3, s5
	v_bfi_b32 v1, s1, v3, v1
	v_mov_b32_e32 v3, s9
	v_addc_co_u32_e32 v17, vcc, 0, v3, vcc
	v_cmp_lt_i16_e64 s[6:7], s18, 11
	v_mov_b32_e32 v0, s4
	s_and_b64 vcc, exec, s[6:7]
	s_cbranch_vccnz .LBB55_1666
; %bb.1660:
	v_cmp_gt_i16_e64 s[0:1], s18, 25
	s_mov_b64 s[14:15], -1
	s_mov_b64 s[10:11], 0
	s_and_b64 vcc, exec, s[0:1]
	s_mov_b64 s[12:13], 0
	s_mov_b64 s[0:1], 0
	s_cbranch_vccz .LBB55_1698
; %bb.1661:
	v_cmp_gt_i16_e64 s[0:1], s18, 28
	s_and_b64 vcc, exec, s[0:1]
	s_cbranch_vccz .LBB55_1667
; %bb.1662:
	v_cmp_gt_i16_e64 s[0:1], s18, 43
	s_and_b64 vcc, exec, s[0:1]
	s_cbranch_vccz .LBB55_1668
; %bb.1663:
	v_cmp_gt_i16_e64 s[0:1], s18, 45
	s_and_b64 vcc, exec, s[0:1]
	s_cbranch_vccz .LBB55_1670
; %bb.1664:
	v_cmp_eq_u16_e64 s[12:13], s18, 46
	s_mov_b64 s[0:1], -1
	s_mov_b64 s[14:15], 0
	s_and_b64 vcc, exec, s[12:13]
	s_mov_b64 s[12:13], 0
	s_cbranch_vccz .LBB55_1671
; %bb.1665:
	v_cvt_f32_f64_e32 v2, v[0:1]
	v_bfe_u32 v3, v2, 16, 1
	s_movk_i32 s0, 0x7fff
	v_add3_u32 v3, v2, v3, s0
	v_lshrrev_b32_e32 v3, 16, v3
	v_mov_b32_e32 v5, 0x7fc0
	v_cmp_o_f32_e32 vcc, v2, v2
	v_cndmask_b32_e32 v2, v5, v3, vcc
	global_store_dword v[16:17], v2, off
	s_mov_b64 s[0:1], 0
	s_mov_b64 s[12:13], -1
	s_branch .LBB55_1671
.LBB55_1666:
	s_mov_b64 s[0:1], -1
	s_mov_b64 s[12:13], 0
	s_branch .LBB55_1742
.LBB55_1667:
	s_mov_b64 s[0:1], 0
	s_branch .LBB55_1681
.LBB55_1668:
	s_mov_b64 s[0:1], 0
	s_branch .LBB55_1677
.LBB55_1669:
	s_trap 2
	s_or_b64 s[2:3], s[2:3], exec
                                        ; implicit-def: $vgpr14_vgpr15
	s_cbranch_execz .LBB55_1607
	s_branch .LBB55_1608
.LBB55_1670:
	s_mov_b64 s[0:1], 0
.LBB55_1671:
	s_and_b64 vcc, exec, s[14:15]
	s_cbranch_vccz .LBB55_1676
; %bb.1672:
	v_cmp_eq_u16_e64 s[14:15], s18, 44
	s_mov_b64 s[0:1], -1
	s_and_b64 vcc, exec, s[14:15]
	s_cbranch_vccz .LBB55_1676
; %bb.1673:
	v_cvt_f32_f64_e32 v2, v[0:1]
	v_bfe_u32 v3, v2, 23, 8
	s_movk_i32 s0, 0xff
	v_cmp_ne_u32_e32 vcc, s0, v3
	v_mov_b32_e32 v5, 0xff
	s_and_saveexec_b64 s[12:13], vcc
; %bb.1674:
	s_mov_b32 s0, 0x3fffff
	v_lshrrev_b32_e32 v5, 23, v2
	v_and_b32_e32 v7, 0x400000, v2
	v_and_or_b32 v2, v2, s0, v3
	v_cmp_ne_u32_e32 vcc, 0, v7
	v_cmp_ne_u32_e64 s[0:1], 0, v2
	s_and_b64 s[0:1], vcc, s[0:1]
	v_cndmask_b32_e64 v2, 0, 1, s[0:1]
	v_add_u32_e32 v5, v5, v2
; %bb.1675:
	s_or_b64 exec, exec, s[12:13]
	s_mov_b64 s[0:1], 0
	s_mov_b64 s[12:13], -1
	global_store_byte v[16:17], v5, off
.LBB55_1676:
	s_mov_b64 s[14:15], 0
.LBB55_1677:
	s_and_b64 vcc, exec, s[14:15]
	s_cbranch_vccz .LBB55_1680
; %bb.1678:
	v_cmp_eq_u16_e64 s[14:15], s18, 29
	s_mov_b64 s[0:1], -1
	s_and_b64 vcc, exec, s[14:15]
	s_cbranch_vccz .LBB55_1680
; %bb.1679:
	v_trunc_f64_e32 v[2:3], v[0:1]
	s_movk_i32 s0, 0xffe0
	v_ldexp_f64 v[18:19], v[2:3], s0
	v_floor_f64_e32 v[18:19], v[18:19]
	v_fmac_f64_e32 v[2:3], 0xc1f00000, v[18:19]
	v_cvt_u32_f64_e32 v21, v[18:19]
	v_cvt_u32_f64_e32 v20, v[2:3]
	global_store_dwordx2 v[16:17], v[20:21], off
	s_mov_b64 s[0:1], 0
	s_mov_b64 s[12:13], -1
.LBB55_1680:
	s_mov_b64 s[14:15], 0
.LBB55_1681:
	s_and_b64 vcc, exec, s[14:15]
	s_cbranch_vccz .LBB55_1697
; %bb.1682:
	v_cmp_lt_i16_e64 s[14:15], s18, 27
	s_mov_b64 s[12:13], -1
	s_and_b64 vcc, exec, s[14:15]
	s_cbranch_vccnz .LBB55_1688
; %bb.1683:
	v_cmp_gt_i16_e64 s[14:15], s18, 27
	s_and_b64 vcc, exec, s[14:15]
	v_cvt_u32_f64_e32 v2, v[0:1]
	s_cbranch_vccz .LBB55_1685
; %bb.1684:
	s_mov_b64 s[12:13], 0
	global_store_dword v[16:17], v2, off
.LBB55_1685:
	s_andn2_b64 vcc, exec, s[12:13]
	s_cbranch_vccnz .LBB55_1687
; %bb.1686:
	global_store_short v[16:17], v2, off
.LBB55_1687:
	s_mov_b64 s[12:13], 0
.LBB55_1688:
	s_andn2_b64 vcc, exec, s[12:13]
	s_cbranch_vccnz .LBB55_1696
; %bb.1689:
	v_cvt_f32_f64_e32 v2, v[0:1]
	v_and_b32_e32 v3, 0x7fffffff, v2
	s_mov_b32 s12, 0x43800000
	v_cmp_gt_u32_e32 vcc, s12, v3
	v_mov_b32_e32 v5, 0x80
	s_and_saveexec_b64 s[12:13], vcc
	s_cbranch_execz .LBB55_1695
; %bb.1690:
	s_mov_b32 s14, 0x3bffffff
	v_cmp_lt_u32_e32 vcc, s14, v3
	s_mov_b64 s[14:15], 0
                                        ; implicit-def: $vgpr3
	s_and_saveexec_b64 s[16:17], vcc
	s_xor_b64 s[16:17], exec, s[16:17]
	s_cbranch_execz .LBB55_1791
; %bb.1691:
	v_bfe_u32 v3, v2, 20, 1
	s_mov_b32 s19, 0x487ffff
	v_add3_u32 v3, v2, v3, s19
	s_mov_b64 s[14:15], exec
	v_lshrrev_b32_e32 v3, 20, v3
	s_or_saveexec_b64 s[16:17], s[16:17]
                                        ; implicit-def: $sgpr19
	s_xor_b64 exec, exec, s[16:17]
	s_cbranch_execnz .LBB55_1792
.LBB55_1692:
	s_or_b64 exec, exec, s[16:17]
	v_mov_b32_e32 v5, s19
	s_and_saveexec_b64 s[16:17], s[14:15]
.LBB55_1693:
	v_lshrrev_b32_e32 v2, 24, v2
	s_movk_i32 s14, 0x80
	v_and_or_b32 v5, v2, s14, v3
.LBB55_1694:
	s_or_b64 exec, exec, s[16:17]
.LBB55_1695:
	s_or_b64 exec, exec, s[12:13]
	global_store_byte v[16:17], v5, off
.LBB55_1696:
	s_mov_b64 s[12:13], -1
.LBB55_1697:
	s_mov_b64 s[14:15], 0
.LBB55_1698:
	s_and_b64 vcc, exec, s[14:15]
	s_cbranch_vccz .LBB55_1738
; %bb.1699:
	v_cmp_gt_i16_e64 s[14:15], s18, 22
	s_mov_b64 s[10:11], -1
	s_and_b64 vcc, exec, s[14:15]
	s_cbranch_vccz .LBB55_1731
; %bb.1700:
	v_cmp_lt_i16_e64 s[12:13], s18, 24
	s_and_b64 vcc, exec, s[12:13]
	s_cbranch_vccnz .LBB55_1720
; %bb.1701:
	v_cmp_gt_i16_e64 s[12:13], s18, 24
	s_and_b64 vcc, exec, s[12:13]
	s_cbranch_vccz .LBB55_1709
; %bb.1702:
	v_cvt_f32_f64_e32 v2, v[0:1]
	v_and_b32_e32 v3, 0x7fffffff, v2
	s_mov_b32 s10, 0x47800000
	v_cmp_gt_u32_e32 vcc, s10, v3
	v_mov_b32_e32 v5, 0x80
	s_and_saveexec_b64 s[10:11], vcc
	s_cbranch_execz .LBB55_1708
; %bb.1703:
	s_mov_b32 s12, 0x37ffffff
	v_cmp_lt_u32_e32 vcc, s12, v3
	s_mov_b64 s[12:13], 0
                                        ; implicit-def: $vgpr3
	s_and_saveexec_b64 s[14:15], vcc
	s_xor_b64 s[14:15], exec, s[14:15]
	s_cbranch_execz .LBB55_1795
; %bb.1704:
	v_bfe_u32 v3, v2, 21, 1
	s_mov_b32 s16, 0x88fffff
	v_add3_u32 v3, v2, v3, s16
	s_mov_b64 s[12:13], exec
	v_lshrrev_b32_e32 v3, 21, v3
	s_or_saveexec_b64 s[14:15], s[14:15]
                                        ; implicit-def: $sgpr16
	s_xor_b64 exec, exec, s[14:15]
	s_cbranch_execnz .LBB55_1796
.LBB55_1705:
	s_or_b64 exec, exec, s[14:15]
	v_mov_b32_e32 v5, s16
	s_and_saveexec_b64 s[14:15], s[12:13]
.LBB55_1706:
	v_lshrrev_b32_e32 v2, 24, v2
	s_movk_i32 s12, 0x80
	v_and_or_b32 v5, v2, s12, v3
.LBB55_1707:
	s_or_b64 exec, exec, s[14:15]
.LBB55_1708:
	s_or_b64 exec, exec, s[10:11]
	s_mov_b64 s[10:11], 0
	global_store_byte v[16:17], v5, off
.LBB55_1709:
	s_and_b64 vcc, exec, s[10:11]
	s_cbranch_vccz .LBB55_1719
; %bb.1710:
	v_cvt_f32_f64_e32 v2, v[0:1]
	v_and_b32_e32 v5, 0x7fffffff, v2
	s_mov_b32 s10, 0x43f00000
	v_cmp_gt_u32_e32 vcc, s10, v5
                                        ; implicit-def: $vgpr3
	s_and_saveexec_b64 s[10:11], vcc
	s_xor_b64 s[10:11], exec, s[10:11]
	s_cbranch_execz .LBB55_1716
; %bb.1711:
	s_mov_b32 s12, 0x3c7fffff
	v_cmp_lt_u32_e32 vcc, s12, v5
                                        ; implicit-def: $vgpr3
	s_and_saveexec_b64 s[12:13], vcc
	s_xor_b64 s[12:13], exec, s[12:13]
; %bb.1712:
	v_bfe_u32 v3, v2, 20, 1
	s_mov_b32 s14, 0x407ffff
	v_add3_u32 v3, v2, v3, s14
	v_lshrrev_b32_e32 v5, 20, v3
	v_and_b32_e32 v3, 0xff00000, v3
	s_mov_b32 s14, 0x7f00000
	v_mov_b32_e32 v7, 0x7e
	v_cmp_ne_u32_e32 vcc, s14, v3
	v_cndmask_b32_e32 v3, v7, v5, vcc
; %bb.1713:
	s_andn2_saveexec_b64 s[12:13], s[12:13]
; %bb.1714:
	s_mov_b32 s14, 0x46800000
	v_add_f32_e64 v3, |v2|, s14
; %bb.1715:
	s_or_b64 exec, exec, s[12:13]
                                        ; implicit-def: $vgpr5
.LBB55_1716:
	s_andn2_saveexec_b64 s[10:11], s[10:11]
; %bb.1717:
	s_mov_b32 s12, 0x7f800000
	v_mov_b32_e32 v3, 0x7e
	v_mov_b32_e32 v7, 0x7f
	v_cmp_lt_u32_e32 vcc, s12, v5
	v_cndmask_b32_e32 v3, v3, v7, vcc
; %bb.1718:
	s_or_b64 exec, exec, s[10:11]
	v_lshrrev_b32_e32 v2, 24, v2
	s_movk_i32 s10, 0x80
	v_and_or_b32 v2, v2, s10, v3
	global_store_byte v[16:17], v2, off
.LBB55_1719:
	s_mov_b64 s[10:11], 0
.LBB55_1720:
	s_andn2_b64 vcc, exec, s[10:11]
	s_cbranch_vccnz .LBB55_1730
; %bb.1721:
	v_cvt_f32_f64_e32 v2, v[0:1]
	v_and_b32_e32 v5, 0x7fffffff, v2
	s_mov_b32 s10, 0x47800000
	v_cmp_gt_u32_e32 vcc, s10, v5
                                        ; implicit-def: $vgpr3
	s_and_saveexec_b64 s[10:11], vcc
	s_xor_b64 s[10:11], exec, s[10:11]
	s_cbranch_execz .LBB55_1727
; %bb.1722:
	s_mov_b32 s12, 0x387fffff
	v_cmp_lt_u32_e32 vcc, s12, v5
                                        ; implicit-def: $vgpr3
	s_and_saveexec_b64 s[12:13], vcc
	s_xor_b64 s[12:13], exec, s[12:13]
; %bb.1723:
	v_bfe_u32 v3, v2, 21, 1
	s_mov_b32 s14, 0x80fffff
	v_add3_u32 v3, v2, v3, s14
	v_lshrrev_b32_e32 v3, 21, v3
; %bb.1724:
	s_andn2_saveexec_b64 s[12:13], s[12:13]
; %bb.1725:
	s_mov_b32 s14, 0x43000000
	v_add_f32_e64 v3, |v2|, s14
; %bb.1726:
	s_or_b64 exec, exec, s[12:13]
                                        ; implicit-def: $vgpr5
.LBB55_1727:
	s_andn2_saveexec_b64 s[10:11], s[10:11]
; %bb.1728:
	s_mov_b32 s12, 0x7f800000
	v_mov_b32_e32 v3, 0x7c
	v_mov_b32_e32 v7, 0x7f
	v_cmp_lt_u32_e32 vcc, s12, v5
	v_cndmask_b32_e32 v3, v3, v7, vcc
; %bb.1729:
	s_or_b64 exec, exec, s[10:11]
	v_lshrrev_b32_e32 v2, 24, v2
	s_movk_i32 s10, 0x80
	v_and_or_b32 v2, v2, s10, v3
	global_store_byte v[16:17], v2, off
.LBB55_1730:
	s_mov_b64 s[10:11], 0
	s_mov_b64 s[12:13], -1
.LBB55_1731:
	s_andn2_b64 vcc, exec, s[10:11]
	s_mov_b64 s[10:11], 0
	s_cbranch_vccnz .LBB55_1738
; %bb.1732:
	v_cmp_gt_i16_e64 s[10:11], s18, 14
	s_mov_b64 s[14:15], -1
	s_and_b64 vcc, exec, s[10:11]
	s_cbranch_vccz .LBB55_1736
; %bb.1733:
	v_cmp_eq_u16_e64 s[10:11], s18, 15
	s_mov_b64 s[0:1], -1
	s_and_b64 vcc, exec, s[10:11]
	s_cbranch_vccz .LBB55_1735
; %bb.1734:
	v_cvt_f32_f64_e32 v2, v[0:1]
	v_bfe_u32 v3, v2, 16, 1
	s_movk_i32 s0, 0x7fff
	v_add3_u32 v3, v2, v3, s0
	v_lshrrev_b32_e32 v3, 16, v3
	v_mov_b32_e32 v5, 0x7fc0
	v_cmp_o_f32_e32 vcc, v2, v2
	v_cndmask_b32_e32 v2, v5, v3, vcc
	global_store_short v[16:17], v2, off
	s_mov_b64 s[0:1], 0
	s_mov_b64 s[12:13], -1
.LBB55_1735:
	s_mov_b64 s[14:15], 0
.LBB55_1736:
	s_mov_b64 s[10:11], 0
	s_and_b64 vcc, exec, s[14:15]
	s_cbranch_vccz .LBB55_1738
; %bb.1737:
	v_cmp_ne_u16_e64 s[0:1], s18, 11
	s_mov_b64 s[10:11], -1
.LBB55_1738:
	s_and_b64 vcc, exec, s[0:1]
	s_cbranch_vccnz .LBB55_1794
; %bb.1739:
	s_andn2_b64 vcc, exec, s[10:11]
	s_cbranch_vccnz .LBB55_1741
.LBB55_1740:
	v_cmp_neq_f64_e32 vcc, 0, v[0:1]
	v_cndmask_b32_e64 v2, 0, 1, vcc
	s_mov_b64 s[12:13], -1
	global_store_byte v[16:17], v2, off
.LBB55_1741:
	s_mov_b64 s[0:1], 0
.LBB55_1742:
	s_and_b64 vcc, exec, s[0:1]
	s_cbranch_vccz .LBB55_1781
; %bb.1743:
	v_cmp_lt_i16_e64 s[10:11], s18, 5
	s_mov_b64 s[0:1], -1
	s_and_b64 vcc, exec, s[10:11]
	s_cbranch_vccnz .LBB55_1764
; %bb.1744:
	v_cmp_lt_i16_e64 s[10:11], s18, 8
	s_and_b64 vcc, exec, s[10:11]
	s_cbranch_vccnz .LBB55_1754
; %bb.1745:
	v_cmp_lt_i16_e64 s[10:11], s18, 9
	s_and_b64 vcc, exec, s[10:11]
	s_cbranch_vccnz .LBB55_1751
; %bb.1746:
	v_cmp_gt_i16_e64 s[10:11], s18, 9
	s_and_b64 vcc, exec, s[10:11]
	s_cbranch_vccz .LBB55_1748
; %bb.1747:
	v_mov_b32_e32 v2, 0
	v_mov_b32_e32 v3, v2
	global_store_dwordx4 v[16:17], v[0:3], off
	s_mov_b64 s[0:1], 0
.LBB55_1748:
	s_andn2_b64 vcc, exec, s[0:1]
	s_cbranch_vccnz .LBB55_1750
; %bb.1749:
	v_cvt_f32_f64_e32 v2, v[0:1]
	v_mov_b32_e32 v3, 0
	global_store_dwordx2 v[16:17], v[2:3], off
.LBB55_1750:
	s_mov_b64 s[0:1], 0
.LBB55_1751:
	s_andn2_b64 vcc, exec, s[0:1]
	s_cbranch_vccnz .LBB55_1753
; %bb.1752:
	v_cvt_f32_f64_e32 v2, v[0:1]
	v_cvt_f16_f32_e32 v2, v2
	global_store_dword v[16:17], v2, off
.LBB55_1753:
	s_mov_b64 s[0:1], 0
.LBB55_1754:
	s_andn2_b64 vcc, exec, s[0:1]
	s_cbranch_vccnz .LBB55_1763
; %bb.1755:
	v_cmp_lt_i16_e64 s[10:11], s18, 6
	s_mov_b64 s[0:1], -1
	s_and_b64 vcc, exec, s[10:11]
	s_cbranch_vccnz .LBB55_1761
; %bb.1756:
	v_cmp_gt_i16_e64 s[10:11], s18, 6
	s_and_b64 vcc, exec, s[10:11]
	s_cbranch_vccz .LBB55_1758
; %bb.1757:
	global_store_dwordx2 v[16:17], v[0:1], off
	s_mov_b64 s[0:1], 0
.LBB55_1758:
	s_andn2_b64 vcc, exec, s[0:1]
	s_cbranch_vccnz .LBB55_1760
; %bb.1759:
	v_cvt_f32_f64_e32 v2, v[0:1]
	global_store_dword v[16:17], v2, off
.LBB55_1760:
	s_mov_b64 s[0:1], 0
.LBB55_1761:
	s_andn2_b64 vcc, exec, s[0:1]
	s_cbranch_vccnz .LBB55_1763
; %bb.1762:
	v_cvt_f32_f64_e32 v2, v[0:1]
	v_cvt_f16_f32_e32 v2, v2
	global_store_short v[16:17], v2, off
.LBB55_1763:
	s_mov_b64 s[0:1], 0
.LBB55_1764:
	s_andn2_b64 vcc, exec, s[0:1]
	s_cbranch_vccnz .LBB55_1780
; %bb.1765:
	v_cmp_lt_i16_e64 s[10:11], s18, 2
	s_mov_b64 s[0:1], -1
	s_and_b64 vcc, exec, s[10:11]
	s_cbranch_vccnz .LBB55_1775
; %bb.1766:
	v_cmp_lt_i16_e64 s[10:11], s18, 3
	s_and_b64 vcc, exec, s[10:11]
	s_cbranch_vccnz .LBB55_1772
; %bb.1767:
	v_cmp_gt_i16_e64 s[10:11], s18, 3
	s_and_b64 vcc, exec, s[10:11]
	s_cbranch_vccz .LBB55_1769
; %bb.1768:
	v_trunc_f64_e32 v[2:3], v[0:1]
	s_movk_i32 s0, 0xffe0
	v_ldexp_f64 v[18:19], v[2:3], s0
	v_floor_f64_e32 v[18:19], v[18:19]
	v_fmac_f64_e32 v[2:3], 0xc1f00000, v[18:19]
	v_cvt_i32_f64_e32 v21, v[18:19]
	v_cvt_u32_f64_e32 v20, v[2:3]
	global_store_dwordx2 v[16:17], v[20:21], off
	s_mov_b64 s[0:1], 0
.LBB55_1769:
	s_andn2_b64 vcc, exec, s[0:1]
	s_cbranch_vccnz .LBB55_1771
; %bb.1770:
	v_cvt_i32_f64_e32 v2, v[0:1]
	global_store_dword v[16:17], v2, off
.LBB55_1771:
	s_mov_b64 s[0:1], 0
.LBB55_1772:
	s_andn2_b64 vcc, exec, s[0:1]
	s_cbranch_vccnz .LBB55_1774
; %bb.1773:
	v_cvt_i32_f64_e32 v2, v[0:1]
	global_store_short v[16:17], v2, off
.LBB55_1774:
	s_mov_b64 s[0:1], 0
.LBB55_1775:
	s_andn2_b64 vcc, exec, s[0:1]
	s_cbranch_vccnz .LBB55_1780
; %bb.1776:
	v_cmp_gt_i16_e64 s[10:11], s18, 0
	s_mov_b64 s[0:1], -1
	s_and_b64 vcc, exec, s[10:11]
	s_cbranch_vccz .LBB55_1778
; %bb.1777:
	v_cvt_i32_f64_e32 v2, v[0:1]
	global_store_byte v[16:17], v2, off
	s_mov_b64 s[0:1], 0
.LBB55_1778:
	s_andn2_b64 vcc, exec, s[0:1]
	s_cbranch_vccnz .LBB55_1780
; %bb.1779:
	v_trunc_f64_e32 v[0:1], v[0:1]
	s_movk_i32 s0, 0xffe0
	v_ldexp_f64 v[2:3], v[0:1], s0
	v_floor_f64_e32 v[2:3], v[2:3]
	v_fmac_f64_e32 v[0:1], 0xc1f00000, v[2:3]
	v_cvt_u32_f64_e32 v0, v[0:1]
	global_store_byte v[16:17], v0, off
.LBB55_1780:
	s_mov_b64 s[12:13], -1
.LBB55_1781:
	s_andn2_b64 vcc, exec, s[12:13]
	s_cbranch_vccnz .LBB55_2044
; %bb.1782:
	v_mov_b32_e32 v2, s9
	v_add_co_u32_e32 v8, vcc, s8, v8
	s_brev_b32 s0, -2
	v_mov_b32_e32 v0, s5
	v_addc_co_u32_e32 v9, vcc, 0, v2, vcc
	s_waitcnt vmcnt(0)
	v_bfi_b32 v1, s0, v0, v11
	v_mov_b32_e32 v0, s4
	s_and_b64 vcc, exec, s[6:7]
	s_cbranch_vccnz .LBB55_1789
; %bb.1783:
	v_cmp_gt_i16_e64 s[0:1], s18, 25
	s_mov_b64 s[14:15], -1
	s_mov_b64 s[10:11], 0
	s_and_b64 vcc, exec, s[0:1]
	s_mov_b64 s[12:13], 0
	s_mov_b64 s[0:1], 0
	s_cbranch_vccz .LBB55_1825
; %bb.1784:
	v_cmp_gt_i16_e64 s[0:1], s18, 28
	s_and_b64 vcc, exec, s[0:1]
	s_cbranch_vccz .LBB55_1790
; %bb.1785:
	v_cmp_gt_i16_e64 s[0:1], s18, 43
	s_and_b64 vcc, exec, s[0:1]
	;; [unrolled: 4-line block ×3, first 2 shown]
	s_cbranch_vccz .LBB55_1797
; %bb.1787:
	v_cmp_eq_u16_e64 s[12:13], s18, 46
	s_mov_b64 s[0:1], -1
	s_mov_b64 s[14:15], 0
	s_and_b64 vcc, exec, s[12:13]
	s_mov_b64 s[12:13], 0
	s_cbranch_vccz .LBB55_1798
; %bb.1788:
	v_cvt_f32_f64_e32 v2, v[0:1]
	v_bfe_u32 v3, v2, 16, 1
	s_movk_i32 s0, 0x7fff
	v_add3_u32 v3, v2, v3, s0
	v_lshrrev_b32_e32 v3, 16, v3
	v_mov_b32_e32 v5, 0x7fc0
	v_cmp_o_f32_e32 vcc, v2, v2
	v_cndmask_b32_e32 v2, v5, v3, vcc
	global_store_dword v[8:9], v2, off
	s_mov_b64 s[0:1], 0
	s_mov_b64 s[12:13], -1
	s_branch .LBB55_1798
.LBB55_1789:
	s_mov_b64 s[0:1], -1
	s_mov_b64 s[12:13], 0
	s_branch .LBB55_1869
.LBB55_1790:
	s_mov_b64 s[0:1], 0
	s_branch .LBB55_1808
.LBB55_1791:
	s_or_saveexec_b64 s[16:17], s[16:17]
                                        ; implicit-def: $sgpr19
	s_xor_b64 exec, exec, s[16:17]
	s_cbranch_execz .LBB55_1692
.LBB55_1792:
	s_mov_b32 s19, 0x46000000
	v_add_f32_e64 v3, |v2|, s19
	v_and_b32_e32 v3, 0xff, v3
	v_cmp_ne_u32_e32 vcc, 0, v3
	s_andn2_b64 s[14:15], s[14:15], exec
	s_and_b64 s[20:21], vcc, exec
	s_mov_b32 s19, 0
	s_or_b64 s[14:15], s[14:15], s[20:21]
	s_or_b64 exec, exec, s[16:17]
	v_mov_b32_e32 v5, s19
	s_and_saveexec_b64 s[16:17], s[14:15]
	s_cbranch_execnz .LBB55_1693
	s_branch .LBB55_1694
.LBB55_1793:
	s_mov_b64 s[0:1], 0
	s_branch .LBB55_1804
.LBB55_1794:
	s_trap 2
	s_or_b64 s[2:3], s[2:3], exec
	s_cbranch_execz .LBB55_1740
	s_branch .LBB55_1741
.LBB55_1795:
	s_or_saveexec_b64 s[14:15], s[14:15]
                                        ; implicit-def: $sgpr16
	s_xor_b64 exec, exec, s[14:15]
	s_cbranch_execz .LBB55_1705
.LBB55_1796:
	s_mov_b32 s16, 0x42800000
	v_add_f32_e64 v3, |v2|, s16
	v_and_b32_e32 v3, 0xff, v3
	v_cmp_ne_u32_e32 vcc, 0, v3
	s_andn2_b64 s[12:13], s[12:13], exec
	s_and_b64 s[20:21], vcc, exec
	s_mov_b32 s16, 0
	s_or_b64 s[12:13], s[12:13], s[20:21]
	s_or_b64 exec, exec, s[14:15]
	v_mov_b32_e32 v5, s16
	s_and_saveexec_b64 s[14:15], s[12:13]
	s_cbranch_execnz .LBB55_1706
	s_branch .LBB55_1707
.LBB55_1797:
	s_mov_b64 s[0:1], 0
.LBB55_1798:
	s_and_b64 vcc, exec, s[14:15]
	s_cbranch_vccz .LBB55_1803
; %bb.1799:
	v_cmp_eq_u16_e64 s[14:15], s18, 44
	s_mov_b64 s[0:1], -1
	s_and_b64 vcc, exec, s[14:15]
	s_cbranch_vccz .LBB55_1803
; %bb.1800:
	v_cvt_f32_f64_e32 v2, v[0:1]
	v_bfe_u32 v3, v2, 23, 8
	s_movk_i32 s0, 0xff
	v_cmp_ne_u32_e32 vcc, s0, v3
	v_mov_b32_e32 v5, 0xff
	s_and_saveexec_b64 s[12:13], vcc
; %bb.1801:
	s_mov_b32 s0, 0x3fffff
	v_lshrrev_b32_e32 v5, 23, v2
	v_and_b32_e32 v7, 0x400000, v2
	v_and_or_b32 v2, v2, s0, v3
	v_cmp_ne_u32_e32 vcc, 0, v7
	v_cmp_ne_u32_e64 s[0:1], 0, v2
	s_and_b64 s[0:1], vcc, s[0:1]
	v_cndmask_b32_e64 v2, 0, 1, s[0:1]
	v_add_u32_e32 v5, v5, v2
; %bb.1802:
	s_or_b64 exec, exec, s[12:13]
	s_mov_b64 s[0:1], 0
	s_mov_b64 s[12:13], -1
	global_store_byte v[8:9], v5, off
.LBB55_1803:
	s_mov_b64 s[14:15], 0
.LBB55_1804:
	s_and_b64 vcc, exec, s[14:15]
	s_cbranch_vccz .LBB55_1807
; %bb.1805:
	v_cmp_eq_u16_e64 s[14:15], s18, 29
	s_mov_b64 s[0:1], -1
	s_and_b64 vcc, exec, s[14:15]
	s_cbranch_vccz .LBB55_1807
; %bb.1806:
	v_trunc_f64_e32 v[2:3], v[0:1]
	s_movk_i32 s0, 0xffe0
	v_ldexp_f64 v[10:11], v[2:3], s0
	v_floor_f64_e32 v[10:11], v[10:11]
	v_fmac_f64_e32 v[2:3], 0xc1f00000, v[10:11]
	v_cvt_u32_f64_e32 v17, v[10:11]
	v_cvt_u32_f64_e32 v16, v[2:3]
	global_store_dwordx2 v[8:9], v[16:17], off
	s_mov_b64 s[0:1], 0
	s_mov_b64 s[12:13], -1
.LBB55_1807:
	s_mov_b64 s[14:15], 0
.LBB55_1808:
	s_and_b64 vcc, exec, s[14:15]
	s_cbranch_vccz .LBB55_1824
; %bb.1809:
	v_cmp_lt_i16_e64 s[14:15], s18, 27
	s_mov_b64 s[12:13], -1
	s_and_b64 vcc, exec, s[14:15]
	s_cbranch_vccnz .LBB55_1815
; %bb.1810:
	v_cmp_gt_i16_e64 s[14:15], s18, 27
	s_and_b64 vcc, exec, s[14:15]
	s_cbranch_vccz .LBB55_1812
; %bb.1811:
	v_cvt_u32_f64_e32 v2, v[0:1]
	s_mov_b64 s[12:13], 0
	global_store_dword v[8:9], v2, off
.LBB55_1812:
	s_andn2_b64 vcc, exec, s[12:13]
	s_cbranch_vccnz .LBB55_1814
; %bb.1813:
	v_cvt_u32_f64_e32 v2, v[0:1]
	global_store_short v[8:9], v2, off
.LBB55_1814:
	s_mov_b64 s[12:13], 0
.LBB55_1815:
	s_andn2_b64 vcc, exec, s[12:13]
	s_cbranch_vccnz .LBB55_1823
; %bb.1816:
	v_cvt_f32_f64_e32 v2, v[0:1]
	v_and_b32_e32 v3, 0x7fffffff, v2
	s_mov_b32 s12, 0x43800000
	v_cmp_gt_u32_e32 vcc, s12, v3
	v_mov_b32_e32 v5, 0x80
	s_and_saveexec_b64 s[12:13], vcc
	s_cbranch_execz .LBB55_1822
; %bb.1817:
	s_mov_b32 s14, 0x3bffffff
	v_cmp_lt_u32_e32 vcc, s14, v3
	s_mov_b64 s[14:15], 0
                                        ; implicit-def: $vgpr3
	s_and_saveexec_b64 s[16:17], vcc
	s_xor_b64 s[16:17], exec, s[16:17]
	s_cbranch_execz .LBB55_1918
; %bb.1818:
	v_bfe_u32 v3, v2, 20, 1
	s_mov_b32 s19, 0x487ffff
	v_add3_u32 v3, v2, v3, s19
	s_mov_b64 s[14:15], exec
	v_lshrrev_b32_e32 v3, 20, v3
	s_or_saveexec_b64 s[16:17], s[16:17]
                                        ; implicit-def: $sgpr19
	s_xor_b64 exec, exec, s[16:17]
	s_cbranch_execnz .LBB55_1919
.LBB55_1819:
	s_or_b64 exec, exec, s[16:17]
	v_mov_b32_e32 v5, s19
	s_and_saveexec_b64 s[16:17], s[14:15]
.LBB55_1820:
	v_lshrrev_b32_e32 v2, 24, v2
	s_movk_i32 s14, 0x80
	v_and_or_b32 v5, v2, s14, v3
.LBB55_1821:
	s_or_b64 exec, exec, s[16:17]
.LBB55_1822:
	s_or_b64 exec, exec, s[12:13]
	global_store_byte v[8:9], v5, off
.LBB55_1823:
	s_mov_b64 s[12:13], -1
.LBB55_1824:
	s_mov_b64 s[14:15], 0
.LBB55_1825:
	s_and_b64 vcc, exec, s[14:15]
	s_cbranch_vccz .LBB55_1865
; %bb.1826:
	v_cmp_gt_i16_e64 s[14:15], s18, 22
	s_mov_b64 s[10:11], -1
	s_and_b64 vcc, exec, s[14:15]
	s_cbranch_vccz .LBB55_1858
; %bb.1827:
	v_cmp_lt_i16_e64 s[12:13], s18, 24
	s_and_b64 vcc, exec, s[12:13]
	s_cbranch_vccnz .LBB55_1847
; %bb.1828:
	v_cmp_gt_i16_e64 s[12:13], s18, 24
	s_and_b64 vcc, exec, s[12:13]
	s_cbranch_vccz .LBB55_1836
; %bb.1829:
	v_cvt_f32_f64_e32 v2, v[0:1]
	v_and_b32_e32 v3, 0x7fffffff, v2
	s_mov_b32 s10, 0x47800000
	v_cmp_gt_u32_e32 vcc, s10, v3
	v_mov_b32_e32 v5, 0x80
	s_and_saveexec_b64 s[10:11], vcc
	s_cbranch_execz .LBB55_1835
; %bb.1830:
	s_mov_b32 s12, 0x37ffffff
	v_cmp_lt_u32_e32 vcc, s12, v3
	s_mov_b64 s[12:13], 0
                                        ; implicit-def: $vgpr3
	s_and_saveexec_b64 s[14:15], vcc
	s_xor_b64 s[14:15], exec, s[14:15]
	s_cbranch_execz .LBB55_1922
; %bb.1831:
	v_bfe_u32 v3, v2, 21, 1
	s_mov_b32 s16, 0x88fffff
	v_add3_u32 v3, v2, v3, s16
	s_mov_b64 s[12:13], exec
	v_lshrrev_b32_e32 v3, 21, v3
	s_or_saveexec_b64 s[14:15], s[14:15]
                                        ; implicit-def: $sgpr16
	s_xor_b64 exec, exec, s[14:15]
	s_cbranch_execnz .LBB55_1923
.LBB55_1832:
	s_or_b64 exec, exec, s[14:15]
	v_mov_b32_e32 v5, s16
	s_and_saveexec_b64 s[14:15], s[12:13]
.LBB55_1833:
	v_lshrrev_b32_e32 v2, 24, v2
	s_movk_i32 s12, 0x80
	v_and_or_b32 v5, v2, s12, v3
.LBB55_1834:
	s_or_b64 exec, exec, s[14:15]
.LBB55_1835:
	s_or_b64 exec, exec, s[10:11]
	s_mov_b64 s[10:11], 0
	global_store_byte v[8:9], v5, off
.LBB55_1836:
	s_and_b64 vcc, exec, s[10:11]
	s_cbranch_vccz .LBB55_1846
; %bb.1837:
	v_cvt_f32_f64_e32 v2, v[0:1]
	v_and_b32_e32 v5, 0x7fffffff, v2
	s_mov_b32 s10, 0x43f00000
	v_cmp_gt_u32_e32 vcc, s10, v5
                                        ; implicit-def: $vgpr3
	s_and_saveexec_b64 s[10:11], vcc
	s_xor_b64 s[10:11], exec, s[10:11]
	s_cbranch_execz .LBB55_1843
; %bb.1838:
	s_mov_b32 s12, 0x3c7fffff
	v_cmp_lt_u32_e32 vcc, s12, v5
                                        ; implicit-def: $vgpr3
	s_and_saveexec_b64 s[12:13], vcc
	s_xor_b64 s[12:13], exec, s[12:13]
; %bb.1839:
	v_bfe_u32 v3, v2, 20, 1
	s_mov_b32 s14, 0x407ffff
	v_add3_u32 v3, v2, v3, s14
	v_lshrrev_b32_e32 v5, 20, v3
	v_and_b32_e32 v3, 0xff00000, v3
	s_mov_b32 s14, 0x7f00000
	v_mov_b32_e32 v7, 0x7e
	v_cmp_ne_u32_e32 vcc, s14, v3
	v_cndmask_b32_e32 v3, v7, v5, vcc
; %bb.1840:
	s_andn2_saveexec_b64 s[12:13], s[12:13]
; %bb.1841:
	s_mov_b32 s14, 0x46800000
	v_add_f32_e64 v3, |v2|, s14
; %bb.1842:
	s_or_b64 exec, exec, s[12:13]
                                        ; implicit-def: $vgpr5
.LBB55_1843:
	s_andn2_saveexec_b64 s[10:11], s[10:11]
; %bb.1844:
	s_mov_b32 s12, 0x7f800000
	v_mov_b32_e32 v3, 0x7e
	v_mov_b32_e32 v7, 0x7f
	v_cmp_lt_u32_e32 vcc, s12, v5
	v_cndmask_b32_e32 v3, v3, v7, vcc
; %bb.1845:
	s_or_b64 exec, exec, s[10:11]
	v_lshrrev_b32_e32 v2, 24, v2
	s_movk_i32 s10, 0x80
	v_and_or_b32 v2, v2, s10, v3
	global_store_byte v[8:9], v2, off
.LBB55_1846:
	s_mov_b64 s[10:11], 0
.LBB55_1847:
	s_andn2_b64 vcc, exec, s[10:11]
	s_cbranch_vccnz .LBB55_1857
; %bb.1848:
	v_cvt_f32_f64_e32 v2, v[0:1]
	v_and_b32_e32 v5, 0x7fffffff, v2
	s_mov_b32 s10, 0x47800000
	v_cmp_gt_u32_e32 vcc, s10, v5
                                        ; implicit-def: $vgpr3
	s_and_saveexec_b64 s[10:11], vcc
	s_xor_b64 s[10:11], exec, s[10:11]
	s_cbranch_execz .LBB55_1854
; %bb.1849:
	s_mov_b32 s12, 0x387fffff
	v_cmp_lt_u32_e32 vcc, s12, v5
                                        ; implicit-def: $vgpr3
	s_and_saveexec_b64 s[12:13], vcc
	s_xor_b64 s[12:13], exec, s[12:13]
; %bb.1850:
	v_bfe_u32 v3, v2, 21, 1
	s_mov_b32 s14, 0x80fffff
	v_add3_u32 v3, v2, v3, s14
	v_lshrrev_b32_e32 v3, 21, v3
; %bb.1851:
	s_andn2_saveexec_b64 s[12:13], s[12:13]
; %bb.1852:
	s_mov_b32 s14, 0x43000000
	v_add_f32_e64 v3, |v2|, s14
; %bb.1853:
	s_or_b64 exec, exec, s[12:13]
                                        ; implicit-def: $vgpr5
.LBB55_1854:
	s_andn2_saveexec_b64 s[10:11], s[10:11]
; %bb.1855:
	s_mov_b32 s12, 0x7f800000
	v_mov_b32_e32 v3, 0x7c
	v_mov_b32_e32 v7, 0x7f
	v_cmp_lt_u32_e32 vcc, s12, v5
	v_cndmask_b32_e32 v3, v3, v7, vcc
; %bb.1856:
	s_or_b64 exec, exec, s[10:11]
	v_lshrrev_b32_e32 v2, 24, v2
	s_movk_i32 s10, 0x80
	v_and_or_b32 v2, v2, s10, v3
	global_store_byte v[8:9], v2, off
.LBB55_1857:
	s_mov_b64 s[10:11], 0
	s_mov_b64 s[12:13], -1
.LBB55_1858:
	s_andn2_b64 vcc, exec, s[10:11]
	s_mov_b64 s[10:11], 0
	s_cbranch_vccnz .LBB55_1865
; %bb.1859:
	v_cmp_gt_i16_e64 s[10:11], s18, 14
	s_mov_b64 s[14:15], -1
	s_and_b64 vcc, exec, s[10:11]
	s_cbranch_vccz .LBB55_1863
; %bb.1860:
	v_cmp_eq_u16_e64 s[10:11], s18, 15
	s_mov_b64 s[0:1], -1
	s_and_b64 vcc, exec, s[10:11]
	s_cbranch_vccz .LBB55_1862
; %bb.1861:
	v_cvt_f32_f64_e32 v2, v[0:1]
	v_bfe_u32 v3, v2, 16, 1
	s_movk_i32 s0, 0x7fff
	v_add3_u32 v3, v2, v3, s0
	v_lshrrev_b32_e32 v3, 16, v3
	v_mov_b32_e32 v5, 0x7fc0
	v_cmp_o_f32_e32 vcc, v2, v2
	v_cndmask_b32_e32 v2, v5, v3, vcc
	global_store_short v[8:9], v2, off
	s_mov_b64 s[0:1], 0
	s_mov_b64 s[12:13], -1
.LBB55_1862:
	s_mov_b64 s[14:15], 0
.LBB55_1863:
	s_mov_b64 s[10:11], 0
	s_and_b64 vcc, exec, s[14:15]
	s_cbranch_vccz .LBB55_1865
; %bb.1864:
	v_cmp_ne_u16_e64 s[0:1], s18, 11
	s_mov_b64 s[10:11], -1
.LBB55_1865:
	s_and_b64 vcc, exec, s[0:1]
	s_cbranch_vccnz .LBB55_1921
; %bb.1866:
	s_andn2_b64 vcc, exec, s[10:11]
	s_cbranch_vccnz .LBB55_1868
.LBB55_1867:
	v_cmp_neq_f64_e32 vcc, 0, v[0:1]
	v_cndmask_b32_e64 v2, 0, 1, vcc
	s_mov_b64 s[12:13], -1
	global_store_byte v[8:9], v2, off
.LBB55_1868:
	s_mov_b64 s[0:1], 0
.LBB55_1869:
	s_and_b64 vcc, exec, s[0:1]
	s_cbranch_vccz .LBB55_1908
; %bb.1870:
	v_cmp_lt_i16_e64 s[10:11], s18, 5
	s_mov_b64 s[0:1], -1
	s_and_b64 vcc, exec, s[10:11]
	s_cbranch_vccnz .LBB55_1891
; %bb.1871:
	v_cmp_lt_i16_e64 s[10:11], s18, 8
	s_and_b64 vcc, exec, s[10:11]
	s_cbranch_vccnz .LBB55_1881
; %bb.1872:
	v_cmp_lt_i16_e64 s[10:11], s18, 9
	s_and_b64 vcc, exec, s[10:11]
	s_cbranch_vccnz .LBB55_1878
; %bb.1873:
	v_cmp_gt_i16_e64 s[10:11], s18, 9
	s_and_b64 vcc, exec, s[10:11]
	s_cbranch_vccz .LBB55_1875
; %bb.1874:
	v_mov_b32_e32 v2, 0
	v_mov_b32_e32 v3, v2
	global_store_dwordx4 v[8:9], v[0:3], off
	s_mov_b64 s[0:1], 0
.LBB55_1875:
	s_andn2_b64 vcc, exec, s[0:1]
	s_cbranch_vccnz .LBB55_1877
; %bb.1876:
	v_cvt_f32_f64_e32 v2, v[0:1]
	v_mov_b32_e32 v3, 0
	global_store_dwordx2 v[8:9], v[2:3], off
.LBB55_1877:
	s_mov_b64 s[0:1], 0
.LBB55_1878:
	s_andn2_b64 vcc, exec, s[0:1]
	s_cbranch_vccnz .LBB55_1880
; %bb.1879:
	v_cvt_f32_f64_e32 v2, v[0:1]
	v_cvt_f16_f32_e32 v2, v2
	global_store_dword v[8:9], v2, off
.LBB55_1880:
	s_mov_b64 s[0:1], 0
.LBB55_1881:
	s_andn2_b64 vcc, exec, s[0:1]
	s_cbranch_vccnz .LBB55_1890
; %bb.1882:
	v_cmp_lt_i16_e64 s[10:11], s18, 6
	s_mov_b64 s[0:1], -1
	s_and_b64 vcc, exec, s[10:11]
	s_cbranch_vccnz .LBB55_1888
; %bb.1883:
	v_cmp_gt_i16_e64 s[10:11], s18, 6
	s_and_b64 vcc, exec, s[10:11]
	s_cbranch_vccz .LBB55_1885
; %bb.1884:
	global_store_dwordx2 v[8:9], v[0:1], off
	s_mov_b64 s[0:1], 0
.LBB55_1885:
	s_andn2_b64 vcc, exec, s[0:1]
	s_cbranch_vccnz .LBB55_1887
; %bb.1886:
	v_cvt_f32_f64_e32 v2, v[0:1]
	global_store_dword v[8:9], v2, off
.LBB55_1887:
	s_mov_b64 s[0:1], 0
.LBB55_1888:
	s_andn2_b64 vcc, exec, s[0:1]
	s_cbranch_vccnz .LBB55_1890
; %bb.1889:
	v_cvt_f32_f64_e32 v2, v[0:1]
	v_cvt_f16_f32_e32 v2, v2
	global_store_short v[8:9], v2, off
.LBB55_1890:
	s_mov_b64 s[0:1], 0
.LBB55_1891:
	s_andn2_b64 vcc, exec, s[0:1]
	s_cbranch_vccnz .LBB55_1907
; %bb.1892:
	v_cmp_lt_i16_e64 s[10:11], s18, 2
	s_mov_b64 s[0:1], -1
	s_and_b64 vcc, exec, s[10:11]
	s_cbranch_vccnz .LBB55_1902
; %bb.1893:
	v_cmp_lt_i16_e64 s[10:11], s18, 3
	s_and_b64 vcc, exec, s[10:11]
	s_cbranch_vccnz .LBB55_1899
; %bb.1894:
	v_cmp_gt_i16_e64 s[10:11], s18, 3
	s_and_b64 vcc, exec, s[10:11]
	s_cbranch_vccz .LBB55_1896
; %bb.1895:
	v_trunc_f64_e32 v[2:3], v[0:1]
	s_movk_i32 s0, 0xffe0
	v_ldexp_f64 v[10:11], v[2:3], s0
	v_floor_f64_e32 v[10:11], v[10:11]
	v_fmac_f64_e32 v[2:3], 0xc1f00000, v[10:11]
	v_cvt_i32_f64_e32 v17, v[10:11]
	v_cvt_u32_f64_e32 v16, v[2:3]
	global_store_dwordx2 v[8:9], v[16:17], off
	s_mov_b64 s[0:1], 0
.LBB55_1896:
	s_andn2_b64 vcc, exec, s[0:1]
	s_cbranch_vccnz .LBB55_1898
; %bb.1897:
	v_cvt_i32_f64_e32 v2, v[0:1]
	global_store_dword v[8:9], v2, off
.LBB55_1898:
	s_mov_b64 s[0:1], 0
.LBB55_1899:
	s_andn2_b64 vcc, exec, s[0:1]
	s_cbranch_vccnz .LBB55_1901
; %bb.1900:
	v_cvt_i32_f64_e32 v2, v[0:1]
	global_store_short v[8:9], v2, off
.LBB55_1901:
	s_mov_b64 s[0:1], 0
.LBB55_1902:
	s_andn2_b64 vcc, exec, s[0:1]
	s_cbranch_vccnz .LBB55_1907
; %bb.1903:
	v_cmp_gt_i16_e64 s[10:11], s18, 0
	s_mov_b64 s[0:1], -1
	s_and_b64 vcc, exec, s[10:11]
	s_cbranch_vccz .LBB55_1905
; %bb.1904:
	v_cvt_i32_f64_e32 v2, v[0:1]
	global_store_byte v[8:9], v2, off
	s_mov_b64 s[0:1], 0
.LBB55_1905:
	s_andn2_b64 vcc, exec, s[0:1]
	s_cbranch_vccnz .LBB55_1907
; %bb.1906:
	v_trunc_f64_e32 v[0:1], v[0:1]
	s_movk_i32 s0, 0xffe0
	v_ldexp_f64 v[2:3], v[0:1], s0
	v_floor_f64_e32 v[2:3], v[2:3]
	v_fmac_f64_e32 v[0:1], 0xc1f00000, v[2:3]
	v_cvt_u32_f64_e32 v0, v[0:1]
	global_store_byte v[8:9], v0, off
.LBB55_1907:
	s_mov_b64 s[12:13], -1
.LBB55_1908:
	s_andn2_b64 vcc, exec, s[12:13]
	s_cbranch_vccnz .LBB55_2044
; %bb.1909:
	v_mov_b32_e32 v2, s9
	v_add_co_u32_e32 v6, vcc, s8, v6
	s_brev_b32 s0, -2
	v_mov_b32_e32 v0, s5
	v_addc_co_u32_e32 v7, vcc, 0, v2, vcc
	v_bfi_b32 v1, s0, v0, v13
	v_mov_b32_e32 v0, s4
	s_and_b64 vcc, exec, s[6:7]
	s_cbranch_vccnz .LBB55_1916
; %bb.1910:
	v_cmp_gt_i16_e64 s[0:1], s18, 25
	s_mov_b64 s[14:15], -1
	s_mov_b64 s[10:11], 0
	s_and_b64 vcc, exec, s[0:1]
	s_mov_b64 s[12:13], 0
	s_mov_b64 s[0:1], 0
	s_cbranch_vccz .LBB55_1952
; %bb.1911:
	v_cmp_gt_i16_e64 s[0:1], s18, 28
	s_and_b64 vcc, exec, s[0:1]
	s_cbranch_vccz .LBB55_1917
; %bb.1912:
	v_cmp_gt_i16_e64 s[0:1], s18, 43
	s_and_b64 vcc, exec, s[0:1]
	;; [unrolled: 4-line block ×3, first 2 shown]
	s_cbranch_vccz .LBB55_1924
; %bb.1914:
	v_cmp_eq_u16_e64 s[12:13], s18, 46
	s_mov_b64 s[0:1], -1
	s_mov_b64 s[14:15], 0
	s_and_b64 vcc, exec, s[12:13]
	s_mov_b64 s[12:13], 0
	s_cbranch_vccz .LBB55_1925
; %bb.1915:
	v_cvt_f32_f64_e32 v2, v[0:1]
	v_bfe_u32 v3, v2, 16, 1
	s_movk_i32 s0, 0x7fff
	v_add3_u32 v3, v2, v3, s0
	v_lshrrev_b32_e32 v3, 16, v3
	v_mov_b32_e32 v5, 0x7fc0
	v_cmp_o_f32_e32 vcc, v2, v2
	v_cndmask_b32_e32 v2, v5, v3, vcc
	global_store_dword v[6:7], v2, off
	s_mov_b64 s[0:1], 0
	s_mov_b64 s[12:13], -1
	s_branch .LBB55_1925
.LBB55_1916:
	s_mov_b64 s[0:1], -1
	s_mov_b64 s[12:13], 0
	s_branch .LBB55_1996
.LBB55_1917:
	s_mov_b64 s[0:1], 0
	s_branch .LBB55_1935
.LBB55_1918:
	s_or_saveexec_b64 s[16:17], s[16:17]
                                        ; implicit-def: $sgpr19
	s_xor_b64 exec, exec, s[16:17]
	s_cbranch_execz .LBB55_1819
.LBB55_1919:
	s_mov_b32 s19, 0x46000000
	v_add_f32_e64 v3, |v2|, s19
	v_and_b32_e32 v3, 0xff, v3
	v_cmp_ne_u32_e32 vcc, 0, v3
	s_andn2_b64 s[14:15], s[14:15], exec
	s_and_b64 s[20:21], vcc, exec
	s_mov_b32 s19, 0
	s_or_b64 s[14:15], s[14:15], s[20:21]
	s_or_b64 exec, exec, s[16:17]
	v_mov_b32_e32 v5, s19
	s_and_saveexec_b64 s[16:17], s[14:15]
	s_cbranch_execnz .LBB55_1820
	s_branch .LBB55_1821
.LBB55_1920:
	s_mov_b64 s[0:1], 0
	s_branch .LBB55_1931
.LBB55_1921:
	s_trap 2
	s_or_b64 s[2:3], s[2:3], exec
	s_cbranch_execz .LBB55_1867
	s_branch .LBB55_1868
.LBB55_1922:
	s_or_saveexec_b64 s[14:15], s[14:15]
                                        ; implicit-def: $sgpr16
	s_xor_b64 exec, exec, s[14:15]
	s_cbranch_execz .LBB55_1832
.LBB55_1923:
	s_mov_b32 s16, 0x42800000
	v_add_f32_e64 v3, |v2|, s16
	v_and_b32_e32 v3, 0xff, v3
	v_cmp_ne_u32_e32 vcc, 0, v3
	s_andn2_b64 s[12:13], s[12:13], exec
	s_and_b64 s[20:21], vcc, exec
	s_mov_b32 s16, 0
	s_or_b64 s[12:13], s[12:13], s[20:21]
	s_or_b64 exec, exec, s[14:15]
	v_mov_b32_e32 v5, s16
	s_and_saveexec_b64 s[14:15], s[12:13]
	s_cbranch_execnz .LBB55_1833
	s_branch .LBB55_1834
.LBB55_1924:
	s_mov_b64 s[0:1], 0
.LBB55_1925:
	s_and_b64 vcc, exec, s[14:15]
	s_cbranch_vccz .LBB55_1930
; %bb.1926:
	v_cmp_eq_u16_e64 s[14:15], s18, 44
	s_mov_b64 s[0:1], -1
	s_and_b64 vcc, exec, s[14:15]
	s_cbranch_vccz .LBB55_1930
; %bb.1927:
	v_cvt_f32_f64_e32 v2, v[0:1]
	v_bfe_u32 v3, v2, 23, 8
	s_movk_i32 s0, 0xff
	v_cmp_ne_u32_e32 vcc, s0, v3
	v_mov_b32_e32 v5, 0xff
	s_and_saveexec_b64 s[12:13], vcc
; %bb.1928:
	s_mov_b32 s0, 0x3fffff
	v_lshrrev_b32_e32 v5, 23, v2
	v_and_b32_e32 v8, 0x400000, v2
	v_and_or_b32 v2, v2, s0, v3
	v_cmp_ne_u32_e32 vcc, 0, v8
	v_cmp_ne_u32_e64 s[0:1], 0, v2
	s_and_b64 s[0:1], vcc, s[0:1]
	v_cndmask_b32_e64 v2, 0, 1, s[0:1]
	v_add_u32_e32 v5, v5, v2
; %bb.1929:
	s_or_b64 exec, exec, s[12:13]
	s_mov_b64 s[0:1], 0
	s_mov_b64 s[12:13], -1
	global_store_byte v[6:7], v5, off
.LBB55_1930:
	s_mov_b64 s[14:15], 0
.LBB55_1931:
	s_and_b64 vcc, exec, s[14:15]
	s_cbranch_vccz .LBB55_1934
; %bb.1932:
	v_cmp_eq_u16_e64 s[14:15], s18, 29
	s_mov_b64 s[0:1], -1
	s_and_b64 vcc, exec, s[14:15]
	s_cbranch_vccz .LBB55_1934
; %bb.1933:
	v_trunc_f64_e32 v[2:3], v[0:1]
	s_movk_i32 s0, 0xffe0
	v_ldexp_f64 v[8:9], v[2:3], s0
	v_floor_f64_e32 v[8:9], v[8:9]
	v_fmac_f64_e32 v[2:3], 0xc1f00000, v[8:9]
	v_cvt_u32_f64_e32 v11, v[8:9]
	v_cvt_u32_f64_e32 v10, v[2:3]
	global_store_dwordx2 v[6:7], v[10:11], off
	s_mov_b64 s[0:1], 0
	s_mov_b64 s[12:13], -1
.LBB55_1934:
	s_mov_b64 s[14:15], 0
.LBB55_1935:
	s_and_b64 vcc, exec, s[14:15]
	s_cbranch_vccz .LBB55_1951
; %bb.1936:
	v_cmp_lt_i16_e64 s[14:15], s18, 27
	s_mov_b64 s[12:13], -1
	s_and_b64 vcc, exec, s[14:15]
	s_cbranch_vccnz .LBB55_1942
; %bb.1937:
	v_cmp_gt_i16_e64 s[14:15], s18, 27
	s_and_b64 vcc, exec, s[14:15]
	v_cvt_u32_f64_e32 v2, v[0:1]
	s_cbranch_vccz .LBB55_1939
; %bb.1938:
	s_mov_b64 s[12:13], 0
	global_store_dword v[6:7], v2, off
.LBB55_1939:
	s_andn2_b64 vcc, exec, s[12:13]
	s_cbranch_vccnz .LBB55_1941
; %bb.1940:
	global_store_short v[6:7], v2, off
.LBB55_1941:
	s_mov_b64 s[12:13], 0
.LBB55_1942:
	s_andn2_b64 vcc, exec, s[12:13]
	s_cbranch_vccnz .LBB55_1950
; %bb.1943:
	v_cvt_f32_f64_e32 v2, v[0:1]
	v_and_b32_e32 v3, 0x7fffffff, v2
	s_mov_b32 s12, 0x43800000
	v_cmp_gt_u32_e32 vcc, s12, v3
	v_mov_b32_e32 v5, 0x80
	s_and_saveexec_b64 s[12:13], vcc
	s_cbranch_execz .LBB55_1949
; %bb.1944:
	s_mov_b32 s14, 0x3bffffff
	v_cmp_lt_u32_e32 vcc, s14, v3
	s_mov_b64 s[14:15], 0
                                        ; implicit-def: $vgpr3
	s_and_saveexec_b64 s[16:17], vcc
	s_xor_b64 s[16:17], exec, s[16:17]
	s_cbranch_execz .LBB55_2091
; %bb.1945:
	v_bfe_u32 v3, v2, 20, 1
	s_mov_b32 s19, 0x487ffff
	v_add3_u32 v3, v2, v3, s19
	s_mov_b64 s[14:15], exec
	v_lshrrev_b32_e32 v3, 20, v3
	s_or_saveexec_b64 s[16:17], s[16:17]
                                        ; implicit-def: $sgpr19
	s_xor_b64 exec, exec, s[16:17]
	s_cbranch_execnz .LBB55_2092
.LBB55_1946:
	s_or_b64 exec, exec, s[16:17]
	v_mov_b32_e32 v5, s19
	s_and_saveexec_b64 s[16:17], s[14:15]
.LBB55_1947:
	v_lshrrev_b32_e32 v2, 24, v2
	s_movk_i32 s14, 0x80
	v_and_or_b32 v5, v2, s14, v3
.LBB55_1948:
	s_or_b64 exec, exec, s[16:17]
.LBB55_1949:
	s_or_b64 exec, exec, s[12:13]
	global_store_byte v[6:7], v5, off
.LBB55_1950:
	s_mov_b64 s[12:13], -1
.LBB55_1951:
	s_mov_b64 s[14:15], 0
.LBB55_1952:
	s_and_b64 vcc, exec, s[14:15]
	s_cbranch_vccz .LBB55_1992
; %bb.1953:
	v_cmp_gt_i16_e64 s[14:15], s18, 22
	s_mov_b64 s[10:11], -1
	s_and_b64 vcc, exec, s[14:15]
	s_cbranch_vccz .LBB55_1985
; %bb.1954:
	v_cmp_lt_i16_e64 s[12:13], s18, 24
	s_and_b64 vcc, exec, s[12:13]
	s_cbranch_vccnz .LBB55_1974
; %bb.1955:
	v_cmp_gt_i16_e64 s[12:13], s18, 24
	s_and_b64 vcc, exec, s[12:13]
	s_cbranch_vccz .LBB55_1963
; %bb.1956:
	v_cvt_f32_f64_e32 v2, v[0:1]
	v_and_b32_e32 v3, 0x7fffffff, v2
	s_mov_b32 s10, 0x47800000
	v_cmp_gt_u32_e32 vcc, s10, v3
	v_mov_b32_e32 v5, 0x80
	s_and_saveexec_b64 s[10:11], vcc
	s_cbranch_execz .LBB55_1962
; %bb.1957:
	s_mov_b32 s12, 0x37ffffff
	v_cmp_lt_u32_e32 vcc, s12, v3
	s_mov_b64 s[12:13], 0
                                        ; implicit-def: $vgpr3
	s_and_saveexec_b64 s[14:15], vcc
	s_xor_b64 s[14:15], exec, s[14:15]
	s_cbranch_execz .LBB55_2095
; %bb.1958:
	v_bfe_u32 v3, v2, 21, 1
	s_mov_b32 s16, 0x88fffff
	v_add3_u32 v3, v2, v3, s16
	s_mov_b64 s[12:13], exec
	v_lshrrev_b32_e32 v3, 21, v3
	s_or_saveexec_b64 s[14:15], s[14:15]
                                        ; implicit-def: $sgpr16
	s_xor_b64 exec, exec, s[14:15]
	s_cbranch_execnz .LBB55_2096
.LBB55_1959:
	s_or_b64 exec, exec, s[14:15]
	v_mov_b32_e32 v5, s16
	s_and_saveexec_b64 s[14:15], s[12:13]
.LBB55_1960:
	v_lshrrev_b32_e32 v2, 24, v2
	s_movk_i32 s12, 0x80
	v_and_or_b32 v5, v2, s12, v3
.LBB55_1961:
	s_or_b64 exec, exec, s[14:15]
.LBB55_1962:
	s_or_b64 exec, exec, s[10:11]
	s_mov_b64 s[10:11], 0
	global_store_byte v[6:7], v5, off
.LBB55_1963:
	s_and_b64 vcc, exec, s[10:11]
	s_cbranch_vccz .LBB55_1973
; %bb.1964:
	v_cvt_f32_f64_e32 v2, v[0:1]
	v_and_b32_e32 v5, 0x7fffffff, v2
	s_mov_b32 s10, 0x43f00000
	v_cmp_gt_u32_e32 vcc, s10, v5
                                        ; implicit-def: $vgpr3
	s_and_saveexec_b64 s[10:11], vcc
	s_xor_b64 s[10:11], exec, s[10:11]
	s_cbranch_execz .LBB55_1970
; %bb.1965:
	s_mov_b32 s12, 0x3c7fffff
	v_cmp_lt_u32_e32 vcc, s12, v5
                                        ; implicit-def: $vgpr3
	s_and_saveexec_b64 s[12:13], vcc
	s_xor_b64 s[12:13], exec, s[12:13]
; %bb.1966:
	v_bfe_u32 v3, v2, 20, 1
	s_mov_b32 s14, 0x407ffff
	v_add3_u32 v3, v2, v3, s14
	v_lshrrev_b32_e32 v5, 20, v3
	v_and_b32_e32 v3, 0xff00000, v3
	s_mov_b32 s14, 0x7f00000
	v_mov_b32_e32 v8, 0x7e
	v_cmp_ne_u32_e32 vcc, s14, v3
	v_cndmask_b32_e32 v3, v8, v5, vcc
; %bb.1967:
	s_andn2_saveexec_b64 s[12:13], s[12:13]
; %bb.1968:
	s_mov_b32 s14, 0x46800000
	v_add_f32_e64 v3, |v2|, s14
; %bb.1969:
	s_or_b64 exec, exec, s[12:13]
                                        ; implicit-def: $vgpr5
.LBB55_1970:
	s_andn2_saveexec_b64 s[10:11], s[10:11]
; %bb.1971:
	s_mov_b32 s12, 0x7f800000
	v_mov_b32_e32 v3, 0x7e
	v_mov_b32_e32 v8, 0x7f
	v_cmp_lt_u32_e32 vcc, s12, v5
	v_cndmask_b32_e32 v3, v3, v8, vcc
; %bb.1972:
	s_or_b64 exec, exec, s[10:11]
	v_lshrrev_b32_e32 v2, 24, v2
	s_movk_i32 s10, 0x80
	v_and_or_b32 v2, v2, s10, v3
	global_store_byte v[6:7], v2, off
.LBB55_1973:
	s_mov_b64 s[10:11], 0
.LBB55_1974:
	s_andn2_b64 vcc, exec, s[10:11]
	s_cbranch_vccnz .LBB55_1984
; %bb.1975:
	v_cvt_f32_f64_e32 v2, v[0:1]
	v_and_b32_e32 v5, 0x7fffffff, v2
	s_mov_b32 s10, 0x47800000
	v_cmp_gt_u32_e32 vcc, s10, v5
                                        ; implicit-def: $vgpr3
	s_and_saveexec_b64 s[10:11], vcc
	s_xor_b64 s[10:11], exec, s[10:11]
	s_cbranch_execz .LBB55_1981
; %bb.1976:
	s_mov_b32 s12, 0x387fffff
	v_cmp_lt_u32_e32 vcc, s12, v5
                                        ; implicit-def: $vgpr3
	s_and_saveexec_b64 s[12:13], vcc
	s_xor_b64 s[12:13], exec, s[12:13]
; %bb.1977:
	v_bfe_u32 v3, v2, 21, 1
	s_mov_b32 s14, 0x80fffff
	v_add3_u32 v3, v2, v3, s14
	v_lshrrev_b32_e32 v3, 21, v3
; %bb.1978:
	s_andn2_saveexec_b64 s[12:13], s[12:13]
; %bb.1979:
	s_mov_b32 s14, 0x43000000
	v_add_f32_e64 v3, |v2|, s14
; %bb.1980:
	s_or_b64 exec, exec, s[12:13]
                                        ; implicit-def: $vgpr5
.LBB55_1981:
	s_andn2_saveexec_b64 s[10:11], s[10:11]
; %bb.1982:
	s_mov_b32 s12, 0x7f800000
	v_mov_b32_e32 v3, 0x7c
	v_mov_b32_e32 v8, 0x7f
	v_cmp_lt_u32_e32 vcc, s12, v5
	v_cndmask_b32_e32 v3, v3, v8, vcc
; %bb.1983:
	s_or_b64 exec, exec, s[10:11]
	v_lshrrev_b32_e32 v2, 24, v2
	s_movk_i32 s10, 0x80
	v_and_or_b32 v2, v2, s10, v3
	global_store_byte v[6:7], v2, off
.LBB55_1984:
	s_mov_b64 s[10:11], 0
	s_mov_b64 s[12:13], -1
.LBB55_1985:
	s_andn2_b64 vcc, exec, s[10:11]
	s_mov_b64 s[10:11], 0
	s_cbranch_vccnz .LBB55_1992
; %bb.1986:
	v_cmp_gt_i16_e64 s[10:11], s18, 14
	s_mov_b64 s[14:15], -1
	s_and_b64 vcc, exec, s[10:11]
	s_cbranch_vccz .LBB55_1990
; %bb.1987:
	v_cmp_eq_u16_e64 s[10:11], s18, 15
	s_mov_b64 s[0:1], -1
	s_and_b64 vcc, exec, s[10:11]
	s_cbranch_vccz .LBB55_1989
; %bb.1988:
	v_cvt_f32_f64_e32 v2, v[0:1]
	v_bfe_u32 v3, v2, 16, 1
	s_movk_i32 s0, 0x7fff
	v_add3_u32 v3, v2, v3, s0
	v_lshrrev_b32_e32 v3, 16, v3
	v_mov_b32_e32 v5, 0x7fc0
	v_cmp_o_f32_e32 vcc, v2, v2
	v_cndmask_b32_e32 v2, v5, v3, vcc
	global_store_short v[6:7], v2, off
	s_mov_b64 s[0:1], 0
	s_mov_b64 s[12:13], -1
.LBB55_1989:
	s_mov_b64 s[14:15], 0
.LBB55_1990:
	s_mov_b64 s[10:11], 0
	s_and_b64 vcc, exec, s[14:15]
	s_cbranch_vccz .LBB55_1992
; %bb.1991:
	v_cmp_ne_u16_e64 s[0:1], s18, 11
	s_mov_b64 s[10:11], -1
.LBB55_1992:
	s_and_b64 vcc, exec, s[0:1]
	s_cbranch_vccnz .LBB55_2094
; %bb.1993:
	s_andn2_b64 vcc, exec, s[10:11]
	s_cbranch_vccnz .LBB55_1995
.LBB55_1994:
	v_cmp_neq_f64_e32 vcc, 0, v[0:1]
	v_cndmask_b32_e64 v2, 0, 1, vcc
	s_mov_b64 s[12:13], -1
	global_store_byte v[6:7], v2, off
.LBB55_1995:
	s_mov_b64 s[0:1], 0
.LBB55_1996:
	s_and_b64 vcc, exec, s[0:1]
	s_cbranch_vccz .LBB55_2035
; %bb.1997:
	v_cmp_lt_i16_e64 s[10:11], s18, 5
	s_mov_b64 s[0:1], -1
	s_and_b64 vcc, exec, s[10:11]
	s_cbranch_vccnz .LBB55_2018
; %bb.1998:
	v_cmp_lt_i16_e64 s[10:11], s18, 8
	s_and_b64 vcc, exec, s[10:11]
	s_cbranch_vccnz .LBB55_2008
; %bb.1999:
	v_cmp_lt_i16_e64 s[10:11], s18, 9
	s_and_b64 vcc, exec, s[10:11]
	s_cbranch_vccnz .LBB55_2005
; %bb.2000:
	v_cmp_gt_i16_e64 s[10:11], s18, 9
	s_and_b64 vcc, exec, s[10:11]
	s_cbranch_vccz .LBB55_2002
; %bb.2001:
	v_mov_b32_e32 v2, 0
	v_mov_b32_e32 v3, v2
	global_store_dwordx4 v[6:7], v[0:3], off
	s_mov_b64 s[0:1], 0
.LBB55_2002:
	s_andn2_b64 vcc, exec, s[0:1]
	s_cbranch_vccnz .LBB55_2004
; %bb.2003:
	v_cvt_f32_f64_e32 v2, v[0:1]
	v_mov_b32_e32 v3, 0
	global_store_dwordx2 v[6:7], v[2:3], off
.LBB55_2004:
	s_mov_b64 s[0:1], 0
.LBB55_2005:
	s_andn2_b64 vcc, exec, s[0:1]
	s_cbranch_vccnz .LBB55_2007
; %bb.2006:
	v_cvt_f32_f64_e32 v2, v[0:1]
	v_cvt_f16_f32_e32 v2, v2
	global_store_dword v[6:7], v2, off
.LBB55_2007:
	s_mov_b64 s[0:1], 0
.LBB55_2008:
	s_andn2_b64 vcc, exec, s[0:1]
	s_cbranch_vccnz .LBB55_2017
; %bb.2009:
	v_cmp_lt_i16_e64 s[10:11], s18, 6
	s_mov_b64 s[0:1], -1
	s_and_b64 vcc, exec, s[10:11]
	s_cbranch_vccnz .LBB55_2015
; %bb.2010:
	v_cmp_gt_i16_e64 s[10:11], s18, 6
	s_and_b64 vcc, exec, s[10:11]
	s_cbranch_vccz .LBB55_2012
; %bb.2011:
	global_store_dwordx2 v[6:7], v[0:1], off
	s_mov_b64 s[0:1], 0
.LBB55_2012:
	s_andn2_b64 vcc, exec, s[0:1]
	s_cbranch_vccnz .LBB55_2014
; %bb.2013:
	v_cvt_f32_f64_e32 v2, v[0:1]
	global_store_dword v[6:7], v2, off
.LBB55_2014:
	s_mov_b64 s[0:1], 0
.LBB55_2015:
	s_andn2_b64 vcc, exec, s[0:1]
	s_cbranch_vccnz .LBB55_2017
; %bb.2016:
	v_cvt_f32_f64_e32 v2, v[0:1]
	v_cvt_f16_f32_e32 v2, v2
	global_store_short v[6:7], v2, off
.LBB55_2017:
	s_mov_b64 s[0:1], 0
.LBB55_2018:
	s_andn2_b64 vcc, exec, s[0:1]
	s_cbranch_vccnz .LBB55_2034
; %bb.2019:
	v_cmp_lt_i16_e64 s[10:11], s18, 2
	s_mov_b64 s[0:1], -1
	s_and_b64 vcc, exec, s[10:11]
	s_cbranch_vccnz .LBB55_2029
; %bb.2020:
	v_cmp_lt_i16_e64 s[10:11], s18, 3
	s_and_b64 vcc, exec, s[10:11]
	s_cbranch_vccnz .LBB55_2026
; %bb.2021:
	v_cmp_gt_i16_e64 s[10:11], s18, 3
	s_and_b64 vcc, exec, s[10:11]
	s_cbranch_vccz .LBB55_2023
; %bb.2022:
	v_trunc_f64_e32 v[2:3], v[0:1]
	s_movk_i32 s0, 0xffe0
	v_ldexp_f64 v[8:9], v[2:3], s0
	v_floor_f64_e32 v[8:9], v[8:9]
	v_fmac_f64_e32 v[2:3], 0xc1f00000, v[8:9]
	v_cvt_i32_f64_e32 v11, v[8:9]
	v_cvt_u32_f64_e32 v10, v[2:3]
	global_store_dwordx2 v[6:7], v[10:11], off
	s_mov_b64 s[0:1], 0
.LBB55_2023:
	s_andn2_b64 vcc, exec, s[0:1]
	s_cbranch_vccnz .LBB55_2025
; %bb.2024:
	v_cvt_i32_f64_e32 v2, v[0:1]
	global_store_dword v[6:7], v2, off
.LBB55_2025:
	s_mov_b64 s[0:1], 0
.LBB55_2026:
	s_andn2_b64 vcc, exec, s[0:1]
	s_cbranch_vccnz .LBB55_2028
; %bb.2027:
	v_cvt_i32_f64_e32 v2, v[0:1]
	global_store_short v[6:7], v2, off
.LBB55_2028:
	s_mov_b64 s[0:1], 0
.LBB55_2029:
	s_andn2_b64 vcc, exec, s[0:1]
	s_cbranch_vccnz .LBB55_2034
; %bb.2030:
	v_cmp_gt_i16_e64 s[10:11], s18, 0
	s_mov_b64 s[0:1], -1
	s_and_b64 vcc, exec, s[10:11]
	s_cbranch_vccz .LBB55_2032
; %bb.2031:
	v_cvt_i32_f64_e32 v2, v[0:1]
	global_store_byte v[6:7], v2, off
	s_mov_b64 s[0:1], 0
.LBB55_2032:
	s_andn2_b64 vcc, exec, s[0:1]
	s_cbranch_vccnz .LBB55_2034
; %bb.2033:
	v_trunc_f64_e32 v[0:1], v[0:1]
	s_movk_i32 s0, 0xffe0
	v_ldexp_f64 v[2:3], v[0:1], s0
	v_floor_f64_e32 v[2:3], v[2:3]
	v_fmac_f64_e32 v[0:1], 0xc1f00000, v[2:3]
	v_cvt_u32_f64_e32 v0, v[0:1]
	global_store_byte v[6:7], v0, off
.LBB55_2034:
	s_mov_b64 s[12:13], -1
.LBB55_2035:
	s_andn2_b64 vcc, exec, s[12:13]
	s_cbranch_vccnz .LBB55_2044
; %bb.2036:
	v_mov_b32_e32 v2, s9
	v_add_co_u32_e32 v4, vcc, s8, v4
	s_brev_b32 s0, -2
	v_mov_b32_e32 v0, s5
	v_addc_co_u32_e32 v5, vcc, 0, v2, vcc
	v_bfi_b32 v1, s0, v0, v15
	v_mov_b32_e32 v0, s4
	s_and_b64 vcc, exec, s[6:7]
	s_cbranch_vccnz .LBB55_2089
; %bb.2037:
	v_cmp_gt_i16_e64 s[0:1], s18, 25
	s_mov_b64 s[6:7], -1
	s_mov_b64 s[4:5], 0
	s_and_b64 vcc, exec, s[0:1]
	s_mov_b64 s[0:1], 0
	s_cbranch_vccz .LBB55_2124
; %bb.2038:
	v_cmp_gt_i16_e64 s[0:1], s18, 28
	s_and_b64 vcc, exec, s[0:1]
	s_cbranch_vccz .LBB55_2090
; %bb.2039:
	v_cmp_gt_i16_e64 s[0:1], s18, 43
	s_and_b64 vcc, exec, s[0:1]
	;; [unrolled: 4-line block ×3, first 2 shown]
	s_cbranch_vccz .LBB55_2097
; %bb.2041:
	v_cmp_eq_u16_e64 s[6:7], s18, 46
	s_mov_b64 s[0:1], -1
	s_and_b64 vcc, exec, s[6:7]
	s_cbranch_vccz .LBB55_2043
; %bb.2042:
	v_cvt_f32_f64_e32 v2, v[0:1]
	v_bfe_u32 v3, v2, 16, 1
	s_movk_i32 s0, 0x7fff
	v_add3_u32 v3, v2, v3, s0
	v_lshrrev_b32_e32 v3, 16, v3
	v_mov_b32_e32 v6, 0x7fc0
	v_cmp_o_f32_e32 vcc, v2, v2
	v_cndmask_b32_e32 v2, v6, v3, vcc
	global_store_dword v[4:5], v2, off
	s_mov_b64 s[0:1], 0
.LBB55_2043:
	s_mov_b64 s[6:7], 0
	s_branch .LBB55_2098
.LBB55_2044:
	s_mov_b64 s[0:1], 0
	s_mov_b64 s[4:5], 0
                                        ; implicit-def: $vgpr4_vgpr5
                                        ; implicit-def: $sgpr18
                                        ; implicit-def: $vgpr0_vgpr1
.LBB55_2045:
	s_and_b64 s[6:7], s[4:5], exec
	s_andn2_b64 s[4:5], s[28:29], exec
	s_and_b64 s[2:3], s[2:3], exec
	s_and_b64 s[0:1], s[0:1], exec
	s_or_b64 s[28:29], s[4:5], s[2:3]
.LBB55_2046:
	s_or_b64 exec, exec, s[30:31]
	s_and_saveexec_b64 s[2:3], s[28:29]
	s_cbranch_execz .LBB55_2049
; %bb.2047:
	; divergent unreachable
	s_or_b64 exec, exec, s[2:3]
	s_and_saveexec_b64 s[2:3], s[6:7]
	s_xor_b64 s[2:3], exec, s[2:3]
	s_cbranch_execnz .LBB55_2050
.LBB55_2048:
	s_or_b64 exec, exec, s[2:3]
	s_and_saveexec_b64 s[2:3], s[0:1]
	s_cbranch_execnz .LBB55_2051
	s_branch .LBB55_2088
.LBB55_2049:
	s_or_b64 exec, exec, s[2:3]
	s_and_saveexec_b64 s[2:3], s[6:7]
	s_xor_b64 s[2:3], exec, s[2:3]
	s_cbranch_execz .LBB55_2048
.LBB55_2050:
	s_waitcnt vmcnt(0)
	v_cmp_neq_f64_e32 vcc, 0, v[0:1]
	v_cndmask_b32_e64 v2, 0, 1, vcc
	global_store_byte v[4:5], v2, off
	s_or_b64 exec, exec, s[2:3]
	s_and_saveexec_b64 s[2:3], s[0:1]
	s_cbranch_execz .LBB55_2088
.LBB55_2051:
	v_cmp_lt_i16_e64 s[2:3], s18, 5
	s_mov_b64 s[0:1], -1
	s_and_b64 vcc, exec, s[2:3]
	s_cbranch_vccnz .LBB55_2072
; %bb.2052:
	v_cmp_lt_i16_e64 s[2:3], s18, 8
	s_and_b64 vcc, exec, s[2:3]
	s_cbranch_vccnz .LBB55_2062
; %bb.2053:
	v_cmp_lt_i16_e64 s[2:3], s18, 9
	s_and_b64 vcc, exec, s[2:3]
	s_cbranch_vccnz .LBB55_2059
; %bb.2054:
	v_cmp_gt_i16_e64 s[2:3], s18, 9
	s_and_b64 vcc, exec, s[2:3]
	s_cbranch_vccz .LBB55_2056
; %bb.2055:
	v_mov_b32_e32 v2, 0
	v_mov_b32_e32 v3, v2
	s_waitcnt vmcnt(0)
	global_store_dwordx4 v[4:5], v[0:3], off
	s_mov_b64 s[0:1], 0
.LBB55_2056:
	s_andn2_b64 vcc, exec, s[0:1]
	s_cbranch_vccnz .LBB55_2058
; %bb.2057:
	s_waitcnt vmcnt(0)
	v_cvt_f32_f64_e32 v2, v[0:1]
	v_mov_b32_e32 v3, 0
	global_store_dwordx2 v[4:5], v[2:3], off
.LBB55_2058:
	s_mov_b64 s[0:1], 0
.LBB55_2059:
	s_andn2_b64 vcc, exec, s[0:1]
	s_cbranch_vccnz .LBB55_2061
; %bb.2060:
	s_waitcnt vmcnt(0)
	v_cvt_f32_f64_e32 v2, v[0:1]
	v_cvt_f16_f32_e32 v2, v2
	global_store_dword v[4:5], v2, off
.LBB55_2061:
	s_mov_b64 s[0:1], 0
.LBB55_2062:
	s_andn2_b64 vcc, exec, s[0:1]
	s_cbranch_vccnz .LBB55_2071
; %bb.2063:
	v_cmp_lt_i16_e64 s[2:3], s18, 6
	s_mov_b64 s[0:1], -1
	s_and_b64 vcc, exec, s[2:3]
	s_cbranch_vccnz .LBB55_2069
; %bb.2064:
	v_cmp_gt_i16_e64 s[2:3], s18, 6
	s_and_b64 vcc, exec, s[2:3]
	s_cbranch_vccz .LBB55_2066
; %bb.2065:
	s_waitcnt vmcnt(0)
	global_store_dwordx2 v[4:5], v[0:1], off
	s_mov_b64 s[0:1], 0
.LBB55_2066:
	s_andn2_b64 vcc, exec, s[0:1]
	s_cbranch_vccnz .LBB55_2068
; %bb.2067:
	s_waitcnt vmcnt(0)
	v_cvt_f32_f64_e32 v2, v[0:1]
	global_store_dword v[4:5], v2, off
.LBB55_2068:
	s_mov_b64 s[0:1], 0
.LBB55_2069:
	s_andn2_b64 vcc, exec, s[0:1]
	s_cbranch_vccnz .LBB55_2071
; %bb.2070:
	s_waitcnt vmcnt(0)
	v_cvt_f32_f64_e32 v2, v[0:1]
	v_cvt_f16_f32_e32 v2, v2
	global_store_short v[4:5], v2, off
.LBB55_2071:
	s_mov_b64 s[0:1], 0
.LBB55_2072:
	s_andn2_b64 vcc, exec, s[0:1]
	s_cbranch_vccnz .LBB55_2088
; %bb.2073:
	v_cmp_lt_i16_e64 s[2:3], s18, 2
	s_mov_b64 s[0:1], -1
	s_and_b64 vcc, exec, s[2:3]
	s_cbranch_vccnz .LBB55_2083
; %bb.2074:
	v_cmp_lt_i16_e64 s[2:3], s18, 3
	s_and_b64 vcc, exec, s[2:3]
	s_cbranch_vccnz .LBB55_2080
; %bb.2075:
	v_cmp_gt_i16_e64 s[2:3], s18, 3
	s_and_b64 vcc, exec, s[2:3]
	s_cbranch_vccz .LBB55_2077
; %bb.2076:
	s_waitcnt vmcnt(0)
	v_trunc_f64_e32 v[2:3], v[0:1]
	s_movk_i32 s0, 0xffe0
	v_ldexp_f64 v[6:7], v[2:3], s0
	v_floor_f64_e32 v[6:7], v[6:7]
	v_fmac_f64_e32 v[2:3], 0xc1f00000, v[6:7]
	v_cvt_i32_f64_e32 v9, v[6:7]
	v_cvt_u32_f64_e32 v8, v[2:3]
	global_store_dwordx2 v[4:5], v[8:9], off
	s_mov_b64 s[0:1], 0
.LBB55_2077:
	s_andn2_b64 vcc, exec, s[0:1]
	s_cbranch_vccnz .LBB55_2079
; %bb.2078:
	s_waitcnt vmcnt(0)
	v_cvt_i32_f64_e32 v2, v[0:1]
	global_store_dword v[4:5], v2, off
.LBB55_2079:
	s_mov_b64 s[0:1], 0
.LBB55_2080:
	s_andn2_b64 vcc, exec, s[0:1]
	s_cbranch_vccnz .LBB55_2082
; %bb.2081:
	s_waitcnt vmcnt(0)
	v_cvt_i32_f64_e32 v2, v[0:1]
	global_store_short v[4:5], v2, off
.LBB55_2082:
	s_mov_b64 s[0:1], 0
.LBB55_2083:
	s_andn2_b64 vcc, exec, s[0:1]
	s_cbranch_vccnz .LBB55_2088
; %bb.2084:
	v_cmp_gt_i16_e64 s[2:3], s18, 0
	s_mov_b64 s[0:1], -1
	s_and_b64 vcc, exec, s[2:3]
	s_cbranch_vccz .LBB55_2086
; %bb.2085:
	s_waitcnt vmcnt(0)
	v_cvt_i32_f64_e32 v2, v[0:1]
	global_store_byte v[4:5], v2, off
	s_mov_b64 s[0:1], 0
.LBB55_2086:
	s_andn2_b64 vcc, exec, s[0:1]
	s_cbranch_vccnz .LBB55_2088
; %bb.2087:
	s_waitcnt vmcnt(0)
	v_trunc_f64_e32 v[0:1], v[0:1]
	s_movk_i32 s0, 0xffe0
	v_ldexp_f64 v[2:3], v[0:1], s0
	v_floor_f64_e32 v[2:3], v[2:3]
	v_fmac_f64_e32 v[0:1], 0xc1f00000, v[2:3]
	v_cvt_u32_f64_e32 v0, v[0:1]
	global_store_byte v[4:5], v0, off
	s_endpgm
.LBB55_2088:
	s_endpgm
.LBB55_2089:
	s_mov_b64 s[4:5], 0
	s_mov_b64 s[0:1], -1
	s_branch .LBB55_2045
.LBB55_2090:
	s_mov_b64 s[0:1], 0
	s_branch .LBB55_2108
.LBB55_2091:
	s_or_saveexec_b64 s[16:17], s[16:17]
                                        ; implicit-def: $sgpr19
	s_xor_b64 exec, exec, s[16:17]
	s_cbranch_execz .LBB55_1946
.LBB55_2092:
	s_mov_b32 s19, 0x46000000
	v_add_f32_e64 v3, |v2|, s19
	v_and_b32_e32 v3, 0xff, v3
	v_cmp_ne_u32_e32 vcc, 0, v3
	s_andn2_b64 s[14:15], s[14:15], exec
	s_and_b64 s[20:21], vcc, exec
	s_mov_b32 s19, 0
	s_or_b64 s[14:15], s[14:15], s[20:21]
	s_or_b64 exec, exec, s[16:17]
	v_mov_b32_e32 v5, s19
	s_and_saveexec_b64 s[16:17], s[14:15]
	s_cbranch_execnz .LBB55_1947
	s_branch .LBB55_1948
.LBB55_2093:
	s_mov_b64 s[0:1], 0
	s_branch .LBB55_2104
.LBB55_2094:
	s_trap 2
	s_or_b64 s[2:3], s[2:3], exec
	s_cbranch_execz .LBB55_1994
	s_branch .LBB55_1995
.LBB55_2095:
	s_or_saveexec_b64 s[14:15], s[14:15]
                                        ; implicit-def: $sgpr16
	s_xor_b64 exec, exec, s[14:15]
	s_cbranch_execz .LBB55_1959
.LBB55_2096:
	s_mov_b32 s16, 0x42800000
	v_add_f32_e64 v3, |v2|, s16
	v_and_b32_e32 v3, 0xff, v3
	v_cmp_ne_u32_e32 vcc, 0, v3
	s_andn2_b64 s[12:13], s[12:13], exec
	s_and_b64 s[20:21], vcc, exec
	s_mov_b32 s16, 0
	s_or_b64 s[12:13], s[12:13], s[20:21]
	s_or_b64 exec, exec, s[14:15]
	v_mov_b32_e32 v5, s16
	s_and_saveexec_b64 s[14:15], s[12:13]
	s_cbranch_execnz .LBB55_1960
	s_branch .LBB55_1961
.LBB55_2097:
	s_mov_b64 s[0:1], 0
.LBB55_2098:
	s_and_b64 vcc, exec, s[6:7]
	s_cbranch_vccz .LBB55_2103
; %bb.2099:
	v_cmp_eq_u16_e64 s[6:7], s18, 44
	s_mov_b64 s[0:1], -1
	s_and_b64 vcc, exec, s[6:7]
	s_cbranch_vccz .LBB55_2103
; %bb.2100:
	v_cvt_f32_f64_e32 v2, v[0:1]
	v_bfe_u32 v3, v2, 23, 8
	s_movk_i32 s0, 0xff
	v_cmp_ne_u32_e32 vcc, s0, v3
	v_mov_b32_e32 v6, 0xff
	s_and_saveexec_b64 s[6:7], vcc
; %bb.2101:
	s_mov_b32 s0, 0x3fffff
	v_lshrrev_b32_e32 v6, 23, v2
	v_and_b32_e32 v7, 0x400000, v2
	v_and_or_b32 v2, v2, s0, v3
	v_cmp_ne_u32_e32 vcc, 0, v7
	v_cmp_ne_u32_e64 s[0:1], 0, v2
	s_and_b64 s[0:1], vcc, s[0:1]
	v_cndmask_b32_e64 v2, 0, 1, s[0:1]
	v_add_u32_e32 v6, v6, v2
; %bb.2102:
	s_or_b64 exec, exec, s[6:7]
	s_mov_b64 s[0:1], 0
	global_store_byte v[4:5], v6, off
.LBB55_2103:
	s_mov_b64 s[6:7], 0
.LBB55_2104:
	s_and_b64 vcc, exec, s[6:7]
	s_cbranch_vccz .LBB55_2107
; %bb.2105:
	v_cmp_eq_u16_e64 s[6:7], s18, 29
	s_mov_b64 s[0:1], -1
	s_and_b64 vcc, exec, s[6:7]
	s_cbranch_vccz .LBB55_2107
; %bb.2106:
	v_trunc_f64_e32 v[2:3], v[0:1]
	s_movk_i32 s0, 0xffe0
	v_ldexp_f64 v[6:7], v[2:3], s0
	v_floor_f64_e32 v[6:7], v[6:7]
	v_fmac_f64_e32 v[2:3], 0xc1f00000, v[6:7]
	v_cvt_u32_f64_e32 v9, v[6:7]
	v_cvt_u32_f64_e32 v8, v[2:3]
	global_store_dwordx2 v[4:5], v[8:9], off
	s_mov_b64 s[0:1], 0
.LBB55_2107:
	s_mov_b64 s[6:7], 0
.LBB55_2108:
	s_and_b64 vcc, exec, s[6:7]
	s_cbranch_vccz .LBB55_2123
; %bb.2109:
	v_cmp_lt_i16_e64 s[8:9], s18, 27
	s_mov_b64 s[6:7], -1
	s_and_b64 vcc, exec, s[8:9]
	s_cbranch_vccnz .LBB55_2115
; %bb.2110:
	v_cmp_gt_i16_e64 s[8:9], s18, 27
	s_and_b64 vcc, exec, s[8:9]
	s_cbranch_vccz .LBB55_2112
; %bb.2111:
	v_cvt_u32_f64_e32 v2, v[0:1]
	global_store_dword v[4:5], v2, off
	s_mov_b64 s[6:7], 0
.LBB55_2112:
	s_andn2_b64 vcc, exec, s[6:7]
	s_cbranch_vccnz .LBB55_2114
; %bb.2113:
	v_cvt_u32_f64_e32 v2, v[0:1]
	global_store_short v[4:5], v2, off
.LBB55_2114:
	s_mov_b64 s[6:7], 0
.LBB55_2115:
	s_andn2_b64 vcc, exec, s[6:7]
	s_cbranch_vccnz .LBB55_2123
; %bb.2116:
	v_cvt_f32_f64_e32 v2, v[0:1]
	v_and_b32_e32 v3, 0x7fffffff, v2
	s_mov_b32 s6, 0x43800000
	v_cmp_gt_u32_e32 vcc, s6, v3
	v_mov_b32_e32 v6, 0x80
	s_and_saveexec_b64 s[6:7], vcc
	s_cbranch_execz .LBB55_2122
; %bb.2117:
	s_mov_b32 s8, 0x3bffffff
	v_cmp_lt_u32_e32 vcc, s8, v3
	s_mov_b64 s[8:9], 0
                                        ; implicit-def: $vgpr3
	s_and_saveexec_b64 s[10:11], vcc
	s_xor_b64 s[10:11], exec, s[10:11]
	s_cbranch_execz .LBB55_2166
; %bb.2118:
	v_bfe_u32 v3, v2, 20, 1
	s_mov_b32 s12, 0x487ffff
	v_add3_u32 v3, v2, v3, s12
	s_mov_b64 s[8:9], exec
	v_lshrrev_b32_e32 v3, 20, v3
	s_or_saveexec_b64 s[10:11], s[10:11]
                                        ; implicit-def: $sgpr12
	s_xor_b64 exec, exec, s[10:11]
	s_cbranch_execnz .LBB55_2167
.LBB55_2119:
	s_or_b64 exec, exec, s[10:11]
	v_mov_b32_e32 v6, s12
	s_and_saveexec_b64 s[10:11], s[8:9]
.LBB55_2120:
	v_lshrrev_b32_e32 v2, 24, v2
	s_movk_i32 s8, 0x80
	v_and_or_b32 v6, v2, s8, v3
.LBB55_2121:
	s_or_b64 exec, exec, s[10:11]
.LBB55_2122:
	s_or_b64 exec, exec, s[6:7]
	global_store_byte v[4:5], v6, off
.LBB55_2123:
	s_mov_b64 s[6:7], 0
.LBB55_2124:
	s_and_b64 vcc, exec, s[6:7]
	s_cbranch_vccz .LBB55_2164
; %bb.2125:
	v_cmp_gt_i16_e64 s[6:7], s18, 22
	s_mov_b64 s[4:5], -1
	s_and_b64 vcc, exec, s[6:7]
	s_cbranch_vccz .LBB55_2157
; %bb.2126:
	v_cmp_lt_i16_e64 s[6:7], s18, 24
	s_and_b64 vcc, exec, s[6:7]
	s_cbranch_vccnz .LBB55_2146
; %bb.2127:
	v_cmp_gt_i16_e64 s[6:7], s18, 24
	s_and_b64 vcc, exec, s[6:7]
	s_cbranch_vccz .LBB55_2135
; %bb.2128:
	v_cvt_f32_f64_e32 v2, v[0:1]
	v_and_b32_e32 v3, 0x7fffffff, v2
	s_mov_b32 s4, 0x47800000
	v_cmp_gt_u32_e32 vcc, s4, v3
	v_mov_b32_e32 v6, 0x80
	s_and_saveexec_b64 s[4:5], vcc
	s_cbranch_execz .LBB55_2134
; %bb.2129:
	s_mov_b32 s6, 0x37ffffff
	v_cmp_lt_u32_e32 vcc, s6, v3
	s_mov_b64 s[6:7], 0
                                        ; implicit-def: $vgpr3
	s_and_saveexec_b64 s[8:9], vcc
	s_xor_b64 s[8:9], exec, s[8:9]
	s_cbranch_execz .LBB55_2169
; %bb.2130:
	v_bfe_u32 v3, v2, 21, 1
	s_mov_b32 s10, 0x88fffff
	v_add3_u32 v3, v2, v3, s10
	s_mov_b64 s[6:7], exec
	v_lshrrev_b32_e32 v3, 21, v3
	s_or_saveexec_b64 s[8:9], s[8:9]
                                        ; implicit-def: $sgpr10
	s_xor_b64 exec, exec, s[8:9]
	s_cbranch_execnz .LBB55_2170
.LBB55_2131:
	s_or_b64 exec, exec, s[8:9]
	v_mov_b32_e32 v6, s10
	s_and_saveexec_b64 s[8:9], s[6:7]
.LBB55_2132:
	v_lshrrev_b32_e32 v2, 24, v2
	s_movk_i32 s6, 0x80
	v_and_or_b32 v6, v2, s6, v3
.LBB55_2133:
	s_or_b64 exec, exec, s[8:9]
.LBB55_2134:
	s_or_b64 exec, exec, s[4:5]
	s_mov_b64 s[4:5], 0
	global_store_byte v[4:5], v6, off
.LBB55_2135:
	s_and_b64 vcc, exec, s[4:5]
	s_cbranch_vccz .LBB55_2145
; %bb.2136:
	v_cvt_f32_f64_e32 v2, v[0:1]
	v_and_b32_e32 v6, 0x7fffffff, v2
	s_mov_b32 s4, 0x43f00000
	v_cmp_gt_u32_e32 vcc, s4, v6
                                        ; implicit-def: $vgpr3
	s_and_saveexec_b64 s[4:5], vcc
	s_xor_b64 s[4:5], exec, s[4:5]
	s_cbranch_execz .LBB55_2142
; %bb.2137:
	s_mov_b32 s6, 0x3c7fffff
	v_cmp_lt_u32_e32 vcc, s6, v6
                                        ; implicit-def: $vgpr3
	s_and_saveexec_b64 s[6:7], vcc
	s_xor_b64 s[6:7], exec, s[6:7]
; %bb.2138:
	v_bfe_u32 v3, v2, 20, 1
	s_mov_b32 s8, 0x407ffff
	v_add3_u32 v3, v2, v3, s8
	v_lshrrev_b32_e32 v6, 20, v3
	v_and_b32_e32 v3, 0xff00000, v3
	s_mov_b32 s8, 0x7f00000
	v_mov_b32_e32 v7, 0x7e
	v_cmp_ne_u32_e32 vcc, s8, v3
	v_cndmask_b32_e32 v3, v7, v6, vcc
; %bb.2139:
	s_andn2_saveexec_b64 s[6:7], s[6:7]
; %bb.2140:
	s_mov_b32 s8, 0x46800000
	v_add_f32_e64 v3, |v2|, s8
; %bb.2141:
	s_or_b64 exec, exec, s[6:7]
                                        ; implicit-def: $vgpr6
.LBB55_2142:
	s_andn2_saveexec_b64 s[4:5], s[4:5]
; %bb.2143:
	s_mov_b32 s6, 0x7f800000
	v_mov_b32_e32 v3, 0x7e
	v_mov_b32_e32 v7, 0x7f
	v_cmp_lt_u32_e32 vcc, s6, v6
	v_cndmask_b32_e32 v3, v3, v7, vcc
; %bb.2144:
	s_or_b64 exec, exec, s[4:5]
	v_lshrrev_b32_e32 v2, 24, v2
	s_movk_i32 s4, 0x80
	v_and_or_b32 v2, v2, s4, v3
	global_store_byte v[4:5], v2, off
.LBB55_2145:
	s_mov_b64 s[4:5], 0
.LBB55_2146:
	s_andn2_b64 vcc, exec, s[4:5]
	s_cbranch_vccnz .LBB55_2156
; %bb.2147:
	v_cvt_f32_f64_e32 v2, v[0:1]
	v_and_b32_e32 v6, 0x7fffffff, v2
	s_mov_b32 s4, 0x47800000
	v_cmp_gt_u32_e32 vcc, s4, v6
                                        ; implicit-def: $vgpr3
	s_and_saveexec_b64 s[4:5], vcc
	s_xor_b64 s[4:5], exec, s[4:5]
	s_cbranch_execz .LBB55_2153
; %bb.2148:
	s_mov_b32 s6, 0x387fffff
	v_cmp_lt_u32_e32 vcc, s6, v6
                                        ; implicit-def: $vgpr3
	s_and_saveexec_b64 s[6:7], vcc
	s_xor_b64 s[6:7], exec, s[6:7]
; %bb.2149:
	v_bfe_u32 v3, v2, 21, 1
	s_mov_b32 s8, 0x80fffff
	v_add3_u32 v3, v2, v3, s8
	v_lshrrev_b32_e32 v3, 21, v3
; %bb.2150:
	s_andn2_saveexec_b64 s[6:7], s[6:7]
; %bb.2151:
	s_mov_b32 s8, 0x43000000
	v_add_f32_e64 v3, |v2|, s8
; %bb.2152:
	s_or_b64 exec, exec, s[6:7]
                                        ; implicit-def: $vgpr6
.LBB55_2153:
	s_andn2_saveexec_b64 s[4:5], s[4:5]
; %bb.2154:
	s_mov_b32 s6, 0x7f800000
	v_mov_b32_e32 v3, 0x7c
	v_mov_b32_e32 v7, 0x7f
	v_cmp_lt_u32_e32 vcc, s6, v6
	v_cndmask_b32_e32 v3, v3, v7, vcc
; %bb.2155:
	s_or_b64 exec, exec, s[4:5]
	v_lshrrev_b32_e32 v2, 24, v2
	s_movk_i32 s4, 0x80
	v_and_or_b32 v2, v2, s4, v3
	global_store_byte v[4:5], v2, off
.LBB55_2156:
	s_mov_b64 s[4:5], 0
.LBB55_2157:
	s_andn2_b64 vcc, exec, s[4:5]
	s_mov_b64 s[4:5], 0
	s_cbranch_vccnz .LBB55_2164
; %bb.2158:
	v_cmp_gt_i16_e64 s[4:5], s18, 14
	s_mov_b64 s[6:7], -1
	s_and_b64 vcc, exec, s[4:5]
	s_cbranch_vccz .LBB55_2162
; %bb.2159:
	v_cmp_eq_u16_e64 s[4:5], s18, 15
	s_mov_b64 s[0:1], -1
	s_and_b64 vcc, exec, s[4:5]
	s_cbranch_vccz .LBB55_2161
; %bb.2160:
	v_cvt_f32_f64_e32 v2, v[0:1]
	v_bfe_u32 v3, v2, 16, 1
	s_movk_i32 s0, 0x7fff
	v_add3_u32 v3, v2, v3, s0
	v_lshrrev_b32_e32 v3, 16, v3
	v_mov_b32_e32 v6, 0x7fc0
	v_cmp_o_f32_e32 vcc, v2, v2
	v_cndmask_b32_e32 v2, v6, v3, vcc
	global_store_short v[4:5], v2, off
	s_mov_b64 s[0:1], 0
.LBB55_2161:
	s_mov_b64 s[6:7], 0
.LBB55_2162:
	s_mov_b64 s[4:5], 0
	s_and_b64 vcc, exec, s[6:7]
	s_cbranch_vccz .LBB55_2164
; %bb.2163:
	v_cmp_ne_u16_e64 s[0:1], s18, 11
	s_mov_b64 s[4:5], -1
.LBB55_2164:
	s_and_b64 vcc, exec, s[0:1]
	s_cbranch_vccnz .LBB55_2168
.LBB55_2165:
	s_mov_b64 s[0:1], 0
	s_branch .LBB55_2045
.LBB55_2166:
	s_or_saveexec_b64 s[10:11], s[10:11]
                                        ; implicit-def: $sgpr12
	s_xor_b64 exec, exec, s[10:11]
	s_cbranch_execz .LBB55_2119
.LBB55_2167:
	s_mov_b32 s12, 0x46000000
	v_add_f32_e64 v3, |v2|, s12
	v_and_b32_e32 v3, 0xff, v3
	v_cmp_ne_u32_e32 vcc, 0, v3
	s_andn2_b64 s[8:9], s[8:9], exec
	s_and_b64 s[14:15], vcc, exec
	s_mov_b32 s12, 0
	s_or_b64 s[8:9], s[8:9], s[14:15]
	s_or_b64 exec, exec, s[10:11]
	v_mov_b32_e32 v6, s12
	s_and_saveexec_b64 s[10:11], s[8:9]
	s_cbranch_execnz .LBB55_2120
	s_branch .LBB55_2121
.LBB55_2168:
	s_mov_b64 s[4:5], 0
	s_or_b64 s[2:3], s[2:3], exec
	s_trap 2
	s_branch .LBB55_2165
.LBB55_2169:
	s_or_saveexec_b64 s[8:9], s[8:9]
                                        ; implicit-def: $sgpr10
	s_xor_b64 exec, exec, s[8:9]
	s_cbranch_execz .LBB55_2131
.LBB55_2170:
	s_mov_b32 s10, 0x42800000
	v_add_f32_e64 v3, |v2|, s10
	v_and_b32_e32 v3, 0xff, v3
	v_cmp_ne_u32_e32 vcc, 0, v3
	s_andn2_b64 s[6:7], s[6:7], exec
	s_and_b64 s[12:13], vcc, exec
	s_mov_b32 s10, 0
	s_or_b64 s[6:7], s[6:7], s[12:13]
	s_or_b64 exec, exec, s[8:9]
	v_mov_b32_e32 v6, s10
	s_and_saveexec_b64 s[8:9], s[6:7]
	s_cbranch_execnz .LBB55_2132
	s_branch .LBB55_2133
	.section	.rodata,"a",@progbits
	.p2align	6, 0x0
	.amdhsa_kernel _ZN2at6native32elementwise_kernel_manual_unrollILi128ELi4EZNS0_15gpu_kernel_implINS0_13AUnaryFunctorIdddZZZNS0_20copysign_kernel_cudaERNS_18TensorIteratorBaseEENKUlvE_clEvENKUlvE_clEvEUlddE_EEEEvS5_RKT_EUlibE0_EEviT1_
		.amdhsa_group_segment_fixed_size 0
		.amdhsa_private_segment_fixed_size 0
		.amdhsa_kernarg_size 376
		.amdhsa_user_sgpr_count 6
		.amdhsa_user_sgpr_private_segment_buffer 1
		.amdhsa_user_sgpr_dispatch_ptr 0
		.amdhsa_user_sgpr_queue_ptr 0
		.amdhsa_user_sgpr_kernarg_segment_ptr 1
		.amdhsa_user_sgpr_dispatch_id 0
		.amdhsa_user_sgpr_flat_scratch_init 0
		.amdhsa_user_sgpr_kernarg_preload_length 0
		.amdhsa_user_sgpr_kernarg_preload_offset 0
		.amdhsa_user_sgpr_private_segment_size 0
		.amdhsa_uses_dynamic_stack 0
		.amdhsa_system_sgpr_private_segment_wavefront_offset 0
		.amdhsa_system_sgpr_workgroup_id_x 1
		.amdhsa_system_sgpr_workgroup_id_y 0
		.amdhsa_system_sgpr_workgroup_id_z 0
		.amdhsa_system_sgpr_workgroup_info 0
		.amdhsa_system_vgpr_workitem_id 0
		.amdhsa_next_free_vgpr 22
		.amdhsa_next_free_sgpr 79
		.amdhsa_accum_offset 24
		.amdhsa_reserve_vcc 1
		.amdhsa_reserve_flat_scratch 0
		.amdhsa_float_round_mode_32 0
		.amdhsa_float_round_mode_16_64 0
		.amdhsa_float_denorm_mode_32 3
		.amdhsa_float_denorm_mode_16_64 3
		.amdhsa_dx10_clamp 1
		.amdhsa_ieee_mode 1
		.amdhsa_fp16_overflow 0
		.amdhsa_tg_split 0
		.amdhsa_exception_fp_ieee_invalid_op 0
		.amdhsa_exception_fp_denorm_src 0
		.amdhsa_exception_fp_ieee_div_zero 0
		.amdhsa_exception_fp_ieee_overflow 0
		.amdhsa_exception_fp_ieee_underflow 0
		.amdhsa_exception_fp_ieee_inexact 0
		.amdhsa_exception_int_div_zero 0
	.end_amdhsa_kernel
	.section	.text._ZN2at6native32elementwise_kernel_manual_unrollILi128ELi4EZNS0_15gpu_kernel_implINS0_13AUnaryFunctorIdddZZZNS0_20copysign_kernel_cudaERNS_18TensorIteratorBaseEENKUlvE_clEvENKUlvE_clEvEUlddE_EEEEvS5_RKT_EUlibE0_EEviT1_,"axG",@progbits,_ZN2at6native32elementwise_kernel_manual_unrollILi128ELi4EZNS0_15gpu_kernel_implINS0_13AUnaryFunctorIdddZZZNS0_20copysign_kernel_cudaERNS_18TensorIteratorBaseEENKUlvE_clEvENKUlvE_clEvEUlddE_EEEEvS5_RKT_EUlibE0_EEviT1_,comdat
.Lfunc_end55:
	.size	_ZN2at6native32elementwise_kernel_manual_unrollILi128ELi4EZNS0_15gpu_kernel_implINS0_13AUnaryFunctorIdddZZZNS0_20copysign_kernel_cudaERNS_18TensorIteratorBaseEENKUlvE_clEvENKUlvE_clEvEUlddE_EEEEvS5_RKT_EUlibE0_EEviT1_, .Lfunc_end55-_ZN2at6native32elementwise_kernel_manual_unrollILi128ELi4EZNS0_15gpu_kernel_implINS0_13AUnaryFunctorIdddZZZNS0_20copysign_kernel_cudaERNS_18TensorIteratorBaseEENKUlvE_clEvENKUlvE_clEvEUlddE_EEEEvS5_RKT_EUlibE0_EEviT1_
                                        ; -- End function
	.section	.AMDGPU.csdata,"",@progbits
; Kernel info:
; codeLenInByte = 40624
; NumSgprs: 83
; NumVgprs: 22
; NumAgprs: 0
; TotalNumVgprs: 22
; ScratchSize: 0
; MemoryBound: 1
; FloatMode: 240
; IeeeMode: 1
; LDSByteSize: 0 bytes/workgroup (compile time only)
; SGPRBlocks: 10
; VGPRBlocks: 2
; NumSGPRsForWavesPerEU: 83
; NumVGPRsForWavesPerEU: 22
; AccumOffset: 24
; Occupancy: 8
; WaveLimiterHint : 1
; COMPUTE_PGM_RSRC2:SCRATCH_EN: 0
; COMPUTE_PGM_RSRC2:USER_SGPR: 6
; COMPUTE_PGM_RSRC2:TRAP_HANDLER: 0
; COMPUTE_PGM_RSRC2:TGID_X_EN: 1
; COMPUTE_PGM_RSRC2:TGID_Y_EN: 0
; COMPUTE_PGM_RSRC2:TGID_Z_EN: 0
; COMPUTE_PGM_RSRC2:TIDIG_COMP_CNT: 0
; COMPUTE_PGM_RSRC3_GFX90A:ACCUM_OFFSET: 5
; COMPUTE_PGM_RSRC3_GFX90A:TG_SPLIT: 0
	.section	.text._ZN2at6native29vectorized_elementwise_kernelILi16ENS0_13BUnaryFunctorIdddZZZNS0_20copysign_kernel_cudaERNS_18TensorIteratorBaseEENKUlvE_clEvENKUlvE_clEvEUlddE_EESt5arrayIPcLm2EEEEviT0_T1_,"axG",@progbits,_ZN2at6native29vectorized_elementwise_kernelILi16ENS0_13BUnaryFunctorIdddZZZNS0_20copysign_kernel_cudaERNS_18TensorIteratorBaseEENKUlvE_clEvENKUlvE_clEvEUlddE_EESt5arrayIPcLm2EEEEviT0_T1_,comdat
	.globl	_ZN2at6native29vectorized_elementwise_kernelILi16ENS0_13BUnaryFunctorIdddZZZNS0_20copysign_kernel_cudaERNS_18TensorIteratorBaseEENKUlvE_clEvENKUlvE_clEvEUlddE_EESt5arrayIPcLm2EEEEviT0_T1_ ; -- Begin function _ZN2at6native29vectorized_elementwise_kernelILi16ENS0_13BUnaryFunctorIdddZZZNS0_20copysign_kernel_cudaERNS_18TensorIteratorBaseEENKUlvE_clEvENKUlvE_clEvEUlddE_EESt5arrayIPcLm2EEEEviT0_T1_
	.p2align	8
	.type	_ZN2at6native29vectorized_elementwise_kernelILi16ENS0_13BUnaryFunctorIdddZZZNS0_20copysign_kernel_cudaERNS_18TensorIteratorBaseEENKUlvE_clEvENKUlvE_clEvEUlddE_EESt5arrayIPcLm2EEEEviT0_T1_,@function
_ZN2at6native29vectorized_elementwise_kernelILi16ENS0_13BUnaryFunctorIdddZZZNS0_20copysign_kernel_cudaERNS_18TensorIteratorBaseEENKUlvE_clEvENKUlvE_clEvEUlddE_EESt5arrayIPcLm2EEEEviT0_T1_: ; @_ZN2at6native29vectorized_elementwise_kernelILi16ENS0_13BUnaryFunctorIdddZZZNS0_20copysign_kernel_cudaERNS_18TensorIteratorBaseEENKUlvE_clEvENKUlvE_clEvEUlddE_EESt5arrayIPcLm2EEEEviT0_T1_
; %bb.0:
	s_load_dword s0, s[4:5], 0x0
	s_load_dwordx4 s[8:11], s[4:5], 0x10
	s_load_dwordx2 s[12:13], s[4:5], 0x20
	s_lshl_b32 s2, s6, 10
	s_waitcnt lgkmcnt(0)
	s_sub_i32 s6, s0, s2
	s_cmpk_gt_i32 s6, 0x3ff
	s_mov_b64 s[0:1], -1
	s_cbranch_scc0 .LBB56_2
; %bb.1:
	s_ashr_i32 s3, s2, 31
	s_lshl_b64 s[0:1], s[2:3], 3
	s_add_u32 s4, s12, s0
	s_addc_u32 s5, s13, s1
	v_lshlrev_b32_e32 v1, 5, v0
	global_load_dwordx4 v[2:5], v1, s[4:5]
	global_load_dwordx4 v[6:9], v1, s[4:5] offset:16
	s_brev_b32 s3, -2
	v_mov_b32_e32 v10, s9
	s_add_u32 s0, s10, s0
	s_addc_u32 s1, s11, s1
	s_waitcnt vmcnt(1)
	v_bfi_b32 v3, s3, v3, v10
	v_bfi_b32 v5, s3, v5, v10
	s_waitcnt vmcnt(0)
	v_bfi_b32 v7, s3, v7, v10
	v_bfi_b32 v9, s3, v9, v10
	global_store_dwordx4 v1, v[2:5], s[0:1]
	global_store_dwordx4 v1, v[6:9], s[0:1] offset:16
	s_mov_b64 s[0:1], 0
.LBB56_2:
	s_andn2_b64 vcc, exec, s[0:1]
	s_cbranch_vccnz .LBB56_16
; %bb.3:
	v_pk_mov_b32 v[6:7], 0, 0
	v_cmp_gt_i32_e32 vcc, s6, v0
	v_or_b32_e32 v2, s2, v0
	v_pk_mov_b32 v[4:5], v[6:7], v[6:7] op_sel:[0,1]
	v_mov_b32_e32 v1, v0
	s_and_saveexec_b64 s[4:5], vcc
	s_cbranch_execz .LBB56_5
; %bb.4:
	v_mov_b32_e32 v3, 0
	v_lshlrev_b64 v[4:5], 3, v[2:3]
	v_mov_b32_e32 v1, s13
	v_add_co_u32_e64 v4, s[0:1], s12, v4
	v_addc_co_u32_e64 v5, s[0:1], v1, v5, s[0:1]
	global_load_dwordx2 v[4:5], v[4:5], off
	v_or_b32_e32 v1, 0x100, v0
.LBB56_5:
	s_or_b64 exec, exec, s[4:5]
	v_cmp_gt_i32_e64 s[0:1], s6, v1
	s_and_saveexec_b64 s[4:5], s[0:1]
	s_cbranch_execz .LBB56_7
; %bb.6:
	v_add_u32_e32 v6, s2, v1
	v_mov_b32_e32 v7, 0
	v_lshlrev_b64 v[6:7], 3, v[6:7]
	v_mov_b32_e32 v3, s13
	v_add_co_u32_e64 v6, s[0:1], s12, v6
	v_addc_co_u32_e64 v7, s[0:1], v3, v7, s[0:1]
	global_load_dwordx2 v[6:7], v[6:7], off
	v_add_u32_e32 v1, 0x100, v1
.LBB56_7:
	s_or_b64 exec, exec, s[4:5]
	v_pk_mov_b32 v[10:11], 0, 0
	v_cmp_gt_i32_e64 s[0:1], s6, v1
	v_pk_mov_b32 v[8:9], v[10:11], v[10:11] op_sel:[0,1]
	s_and_saveexec_b64 s[4:5], s[0:1]
	s_cbranch_execz .LBB56_9
; %bb.8:
	v_add_u32_e32 v8, s2, v1
	v_mov_b32_e32 v9, 0
	v_lshlrev_b64 v[8:9], 3, v[8:9]
	v_mov_b32_e32 v3, s13
	v_add_co_u32_e64 v8, s[0:1], s12, v8
	v_addc_co_u32_e64 v9, s[0:1], v3, v9, s[0:1]
	global_load_dwordx2 v[8:9], v[8:9], off
	v_add_u32_e32 v1, 0x100, v1
.LBB56_9:
	s_or_b64 exec, exec, s[4:5]
	v_cmp_gt_i32_e64 s[0:1], s6, v1
	s_and_saveexec_b64 s[4:5], s[0:1]
	s_cbranch_execz .LBB56_11
; %bb.10:
	v_add_u32_e32 v10, s2, v1
	v_mov_b32_e32 v11, 0
	v_lshlrev_b64 v[10:11], 3, v[10:11]
	v_mov_b32_e32 v1, s13
	v_add_co_u32_e64 v10, s[0:1], s12, v10
	v_addc_co_u32_e64 v11, s[0:1], v1, v11, s[0:1]
	global_load_dwordx2 v[10:11], v[10:11], off
.LBB56_11:
	s_or_b64 exec, exec, s[4:5]
	v_or_b32_e32 v1, 0x100, v0
	s_brev_b32 s3, -2
	v_mov_b32_e32 v3, s9
	v_cmp_gt_i32_e64 s[0:1], s6, v1
	s_waitcnt vmcnt(0)
	v_bfi_b32 v5, s3, v5, v3
	v_bfi_b32 v7, s3, v7, v3
	v_cndmask_b32_e64 v12, v4, v6, s[0:1]
	v_or_b32_e32 v6, 0x200, v0
	v_cndmask_b32_e64 v13, v5, v7, s[0:1]
	v_bfi_b32 v7, s3, v9, v3
	v_cmp_gt_i32_e64 s[0:1], s6, v6
	v_or_b32_e32 v6, 0x300, v0
	v_cndmask_b32_e64 v9, v5, v7, s[0:1]
	v_cndmask_b32_e64 v8, v4, v8, s[0:1]
	v_bfi_b32 v3, s3, v11, v3
	v_cmp_gt_i32_e64 s[0:1], s6, v6
	v_cndmask_b32_e64 v7, v5, v3, s[0:1]
	v_cndmask_b32_e64 v6, v4, v10, s[0:1]
	s_and_saveexec_b64 s[0:1], vcc
	s_cbranch_execnz .LBB56_17
; %bb.12:
	s_or_b64 exec, exec, s[0:1]
	v_cmp_gt_i32_e32 vcc, s6, v0
	s_and_saveexec_b64 s[0:1], vcc
	s_cbranch_execnz .LBB56_18
.LBB56_13:
	s_or_b64 exec, exec, s[0:1]
	v_cmp_gt_i32_e32 vcc, s6, v0
	s_and_saveexec_b64 s[0:1], vcc
	s_cbranch_execnz .LBB56_19
.LBB56_14:
	s_or_b64 exec, exec, s[0:1]
	v_cmp_gt_i32_e32 vcc, s6, v0
	s_and_saveexec_b64 s[0:1], vcc
	s_cbranch_execz .LBB56_16
.LBB56_15:
	v_add_u32_e32 v0, s2, v0
	v_mov_b32_e32 v1, 0
	v_lshlrev_b64 v[0:1], 3, v[0:1]
	v_mov_b32_e32 v2, s11
	v_add_co_u32_e32 v0, vcc, s10, v0
	v_addc_co_u32_e32 v1, vcc, v2, v1, vcc
	global_store_dwordx2 v[0:1], v[6:7], off
.LBB56_16:
	s_endpgm
.LBB56_17:
	v_mov_b32_e32 v3, 0
	v_lshlrev_b64 v[2:3], 3, v[2:3]
	v_mov_b32_e32 v0, s11
	v_add_co_u32_e32 v2, vcc, s10, v2
	v_addc_co_u32_e32 v3, vcc, v0, v3, vcc
	v_mov_b32_e32 v0, v1
	global_store_dwordx2 v[2:3], v[4:5], off
	s_or_b64 exec, exec, s[0:1]
	v_cmp_gt_i32_e32 vcc, s6, v0
	s_and_saveexec_b64 s[0:1], vcc
	s_cbranch_execz .LBB56_13
.LBB56_18:
	v_add_u32_e32 v2, s2, v0
	v_mov_b32_e32 v3, 0
	v_lshlrev_b64 v[2:3], 3, v[2:3]
	v_mov_b32_e32 v1, s11
	v_add_co_u32_e32 v2, vcc, s10, v2
	v_addc_co_u32_e32 v3, vcc, v1, v3, vcc
	v_add_u32_e32 v0, 0x100, v0
	global_store_dwordx2 v[2:3], v[12:13], off
	s_or_b64 exec, exec, s[0:1]
	v_cmp_gt_i32_e32 vcc, s6, v0
	s_and_saveexec_b64 s[0:1], vcc
	s_cbranch_execz .LBB56_14
.LBB56_19:
	v_add_u32_e32 v2, s2, v0
	v_mov_b32_e32 v3, 0
	v_lshlrev_b64 v[2:3], 3, v[2:3]
	v_mov_b32_e32 v1, s11
	v_add_co_u32_e32 v2, vcc, s10, v2
	v_addc_co_u32_e32 v3, vcc, v1, v3, vcc
	v_add_u32_e32 v0, 0x100, v0
	global_store_dwordx2 v[2:3], v[8:9], off
	s_or_b64 exec, exec, s[0:1]
	v_cmp_gt_i32_e32 vcc, s6, v0
	s_and_saveexec_b64 s[0:1], vcc
	s_cbranch_execnz .LBB56_15
	s_branch .LBB56_16
	.section	.rodata,"a",@progbits
	.p2align	6, 0x0
	.amdhsa_kernel _ZN2at6native29vectorized_elementwise_kernelILi16ENS0_13BUnaryFunctorIdddZZZNS0_20copysign_kernel_cudaERNS_18TensorIteratorBaseEENKUlvE_clEvENKUlvE_clEvEUlddE_EESt5arrayIPcLm2EEEEviT0_T1_
		.amdhsa_group_segment_fixed_size 0
		.amdhsa_private_segment_fixed_size 0
		.amdhsa_kernarg_size 40
		.amdhsa_user_sgpr_count 6
		.amdhsa_user_sgpr_private_segment_buffer 1
		.amdhsa_user_sgpr_dispatch_ptr 0
		.amdhsa_user_sgpr_queue_ptr 0
		.amdhsa_user_sgpr_kernarg_segment_ptr 1
		.amdhsa_user_sgpr_dispatch_id 0
		.amdhsa_user_sgpr_flat_scratch_init 0
		.amdhsa_user_sgpr_kernarg_preload_length 0
		.amdhsa_user_sgpr_kernarg_preload_offset 0
		.amdhsa_user_sgpr_private_segment_size 0
		.amdhsa_uses_dynamic_stack 0
		.amdhsa_system_sgpr_private_segment_wavefront_offset 0
		.amdhsa_system_sgpr_workgroup_id_x 1
		.amdhsa_system_sgpr_workgroup_id_y 0
		.amdhsa_system_sgpr_workgroup_id_z 0
		.amdhsa_system_sgpr_workgroup_info 0
		.amdhsa_system_vgpr_workitem_id 0
		.amdhsa_next_free_vgpr 14
		.amdhsa_next_free_sgpr 14
		.amdhsa_accum_offset 16
		.amdhsa_reserve_vcc 1
		.amdhsa_reserve_flat_scratch 0
		.amdhsa_float_round_mode_32 0
		.amdhsa_float_round_mode_16_64 0
		.amdhsa_float_denorm_mode_32 3
		.amdhsa_float_denorm_mode_16_64 3
		.amdhsa_dx10_clamp 1
		.amdhsa_ieee_mode 1
		.amdhsa_fp16_overflow 0
		.amdhsa_tg_split 0
		.amdhsa_exception_fp_ieee_invalid_op 0
		.amdhsa_exception_fp_denorm_src 0
		.amdhsa_exception_fp_ieee_div_zero 0
		.amdhsa_exception_fp_ieee_overflow 0
		.amdhsa_exception_fp_ieee_underflow 0
		.amdhsa_exception_fp_ieee_inexact 0
		.amdhsa_exception_int_div_zero 0
	.end_amdhsa_kernel
	.section	.text._ZN2at6native29vectorized_elementwise_kernelILi16ENS0_13BUnaryFunctorIdddZZZNS0_20copysign_kernel_cudaERNS_18TensorIteratorBaseEENKUlvE_clEvENKUlvE_clEvEUlddE_EESt5arrayIPcLm2EEEEviT0_T1_,"axG",@progbits,_ZN2at6native29vectorized_elementwise_kernelILi16ENS0_13BUnaryFunctorIdddZZZNS0_20copysign_kernel_cudaERNS_18TensorIteratorBaseEENKUlvE_clEvENKUlvE_clEvEUlddE_EESt5arrayIPcLm2EEEEviT0_T1_,comdat
.Lfunc_end56:
	.size	_ZN2at6native29vectorized_elementwise_kernelILi16ENS0_13BUnaryFunctorIdddZZZNS0_20copysign_kernel_cudaERNS_18TensorIteratorBaseEENKUlvE_clEvENKUlvE_clEvEUlddE_EESt5arrayIPcLm2EEEEviT0_T1_, .Lfunc_end56-_ZN2at6native29vectorized_elementwise_kernelILi16ENS0_13BUnaryFunctorIdddZZZNS0_20copysign_kernel_cudaERNS_18TensorIteratorBaseEENKUlvE_clEvENKUlvE_clEvEUlddE_EESt5arrayIPcLm2EEEEviT0_T1_
                                        ; -- End function
	.section	.AMDGPU.csdata,"",@progbits
; Kernel info:
; codeLenInByte = 892
; NumSgprs: 18
; NumVgprs: 14
; NumAgprs: 0
; TotalNumVgprs: 14
; ScratchSize: 0
; MemoryBound: 0
; FloatMode: 240
; IeeeMode: 1
; LDSByteSize: 0 bytes/workgroup (compile time only)
; SGPRBlocks: 2
; VGPRBlocks: 1
; NumSGPRsForWavesPerEU: 18
; NumVGPRsForWavesPerEU: 14
; AccumOffset: 16
; Occupancy: 8
; WaveLimiterHint : 0
; COMPUTE_PGM_RSRC2:SCRATCH_EN: 0
; COMPUTE_PGM_RSRC2:USER_SGPR: 6
; COMPUTE_PGM_RSRC2:TRAP_HANDLER: 0
; COMPUTE_PGM_RSRC2:TGID_X_EN: 1
; COMPUTE_PGM_RSRC2:TGID_Y_EN: 0
; COMPUTE_PGM_RSRC2:TGID_Z_EN: 0
; COMPUTE_PGM_RSRC2:TIDIG_COMP_CNT: 0
; COMPUTE_PGM_RSRC3_GFX90A:ACCUM_OFFSET: 3
; COMPUTE_PGM_RSRC3_GFX90A:TG_SPLIT: 0
	.section	.text._ZN2at6native29vectorized_elementwise_kernelILi8ENS0_13BUnaryFunctorIdddZZZNS0_20copysign_kernel_cudaERNS_18TensorIteratorBaseEENKUlvE_clEvENKUlvE_clEvEUlddE_EESt5arrayIPcLm2EEEEviT0_T1_,"axG",@progbits,_ZN2at6native29vectorized_elementwise_kernelILi8ENS0_13BUnaryFunctorIdddZZZNS0_20copysign_kernel_cudaERNS_18TensorIteratorBaseEENKUlvE_clEvENKUlvE_clEvEUlddE_EESt5arrayIPcLm2EEEEviT0_T1_,comdat
	.globl	_ZN2at6native29vectorized_elementwise_kernelILi8ENS0_13BUnaryFunctorIdddZZZNS0_20copysign_kernel_cudaERNS_18TensorIteratorBaseEENKUlvE_clEvENKUlvE_clEvEUlddE_EESt5arrayIPcLm2EEEEviT0_T1_ ; -- Begin function _ZN2at6native29vectorized_elementwise_kernelILi8ENS0_13BUnaryFunctorIdddZZZNS0_20copysign_kernel_cudaERNS_18TensorIteratorBaseEENKUlvE_clEvENKUlvE_clEvEUlddE_EESt5arrayIPcLm2EEEEviT0_T1_
	.p2align	8
	.type	_ZN2at6native29vectorized_elementwise_kernelILi8ENS0_13BUnaryFunctorIdddZZZNS0_20copysign_kernel_cudaERNS_18TensorIteratorBaseEENKUlvE_clEvENKUlvE_clEvEUlddE_EESt5arrayIPcLm2EEEEviT0_T1_,@function
_ZN2at6native29vectorized_elementwise_kernelILi8ENS0_13BUnaryFunctorIdddZZZNS0_20copysign_kernel_cudaERNS_18TensorIteratorBaseEENKUlvE_clEvENKUlvE_clEvEUlddE_EESt5arrayIPcLm2EEEEviT0_T1_: ; @_ZN2at6native29vectorized_elementwise_kernelILi8ENS0_13BUnaryFunctorIdddZZZNS0_20copysign_kernel_cudaERNS_18TensorIteratorBaseEENKUlvE_clEvENKUlvE_clEvEUlddE_EESt5arrayIPcLm2EEEEviT0_T1_
; %bb.0:
	s_load_dword s0, s[4:5], 0x0
	s_load_dwordx4 s[8:11], s[4:5], 0x10
	s_load_dwordx2 s[12:13], s[4:5], 0x20
	s_lshl_b32 s2, s6, 10
	s_waitcnt lgkmcnt(0)
	s_sub_i32 s6, s0, s2
	s_cmpk_gt_i32 s6, 0x3ff
	s_mov_b64 s[0:1], -1
	s_cbranch_scc0 .LBB57_2
; %bb.1:
	s_ashr_i32 s3, s2, 31
	s_lshl_b64 s[0:1], s[2:3], 3
	s_add_u32 s4, s12, s0
	s_addc_u32 s5, s13, s1
	v_lshlrev_b32_e32 v1, 5, v0
	global_load_dwordx4 v[2:5], v1, s[4:5]
	global_load_dwordx4 v[6:9], v1, s[4:5] offset:16
	s_brev_b32 s3, -2
	v_mov_b32_e32 v10, s9
	s_add_u32 s0, s10, s0
	s_addc_u32 s1, s11, s1
	s_waitcnt vmcnt(1)
	v_bfi_b32 v3, s3, v3, v10
	v_bfi_b32 v5, s3, v5, v10
	s_waitcnt vmcnt(0)
	v_bfi_b32 v7, s3, v7, v10
	v_bfi_b32 v9, s3, v9, v10
	global_store_dwordx4 v1, v[2:5], s[0:1]
	global_store_dwordx4 v1, v[6:9], s[0:1] offset:16
	s_mov_b64 s[0:1], 0
.LBB57_2:
	s_andn2_b64 vcc, exec, s[0:1]
	s_cbranch_vccnz .LBB57_16
; %bb.3:
	v_pk_mov_b32 v[6:7], 0, 0
	v_cmp_gt_i32_e32 vcc, s6, v0
	v_or_b32_e32 v2, s2, v0
	v_pk_mov_b32 v[4:5], v[6:7], v[6:7] op_sel:[0,1]
	v_mov_b32_e32 v1, v0
	s_and_saveexec_b64 s[4:5], vcc
	s_cbranch_execz .LBB57_5
; %bb.4:
	v_mov_b32_e32 v3, 0
	v_lshlrev_b64 v[4:5], 3, v[2:3]
	v_mov_b32_e32 v1, s13
	v_add_co_u32_e64 v4, s[0:1], s12, v4
	v_addc_co_u32_e64 v5, s[0:1], v1, v5, s[0:1]
	global_load_dwordx2 v[4:5], v[4:5], off
	v_or_b32_e32 v1, 0x100, v0
.LBB57_5:
	s_or_b64 exec, exec, s[4:5]
	v_cmp_gt_i32_e64 s[0:1], s6, v1
	s_and_saveexec_b64 s[4:5], s[0:1]
	s_cbranch_execz .LBB57_7
; %bb.6:
	v_add_u32_e32 v6, s2, v1
	v_mov_b32_e32 v7, 0
	v_lshlrev_b64 v[6:7], 3, v[6:7]
	v_mov_b32_e32 v3, s13
	v_add_co_u32_e64 v6, s[0:1], s12, v6
	v_addc_co_u32_e64 v7, s[0:1], v3, v7, s[0:1]
	global_load_dwordx2 v[6:7], v[6:7], off
	v_add_u32_e32 v1, 0x100, v1
.LBB57_7:
	s_or_b64 exec, exec, s[4:5]
	v_pk_mov_b32 v[10:11], 0, 0
	v_cmp_gt_i32_e64 s[0:1], s6, v1
	v_pk_mov_b32 v[8:9], v[10:11], v[10:11] op_sel:[0,1]
	s_and_saveexec_b64 s[4:5], s[0:1]
	s_cbranch_execz .LBB57_9
; %bb.8:
	v_add_u32_e32 v8, s2, v1
	v_mov_b32_e32 v9, 0
	v_lshlrev_b64 v[8:9], 3, v[8:9]
	v_mov_b32_e32 v3, s13
	v_add_co_u32_e64 v8, s[0:1], s12, v8
	v_addc_co_u32_e64 v9, s[0:1], v3, v9, s[0:1]
	global_load_dwordx2 v[8:9], v[8:9], off
	v_add_u32_e32 v1, 0x100, v1
.LBB57_9:
	s_or_b64 exec, exec, s[4:5]
	v_cmp_gt_i32_e64 s[0:1], s6, v1
	s_and_saveexec_b64 s[4:5], s[0:1]
	s_cbranch_execz .LBB57_11
; %bb.10:
	v_add_u32_e32 v10, s2, v1
	v_mov_b32_e32 v11, 0
	v_lshlrev_b64 v[10:11], 3, v[10:11]
	v_mov_b32_e32 v1, s13
	v_add_co_u32_e64 v10, s[0:1], s12, v10
	v_addc_co_u32_e64 v11, s[0:1], v1, v11, s[0:1]
	global_load_dwordx2 v[10:11], v[10:11], off
.LBB57_11:
	s_or_b64 exec, exec, s[4:5]
	v_or_b32_e32 v1, 0x100, v0
	s_brev_b32 s3, -2
	v_mov_b32_e32 v3, s9
	v_cmp_gt_i32_e64 s[0:1], s6, v1
	s_waitcnt vmcnt(0)
	v_bfi_b32 v5, s3, v5, v3
	v_bfi_b32 v7, s3, v7, v3
	v_cndmask_b32_e64 v12, v4, v6, s[0:1]
	v_or_b32_e32 v6, 0x200, v0
	v_cndmask_b32_e64 v13, v5, v7, s[0:1]
	v_bfi_b32 v7, s3, v9, v3
	v_cmp_gt_i32_e64 s[0:1], s6, v6
	v_or_b32_e32 v6, 0x300, v0
	v_cndmask_b32_e64 v9, v5, v7, s[0:1]
	v_cndmask_b32_e64 v8, v4, v8, s[0:1]
	v_bfi_b32 v3, s3, v11, v3
	v_cmp_gt_i32_e64 s[0:1], s6, v6
	v_cndmask_b32_e64 v7, v5, v3, s[0:1]
	v_cndmask_b32_e64 v6, v4, v10, s[0:1]
	s_and_saveexec_b64 s[0:1], vcc
	s_cbranch_execnz .LBB57_17
; %bb.12:
	s_or_b64 exec, exec, s[0:1]
	v_cmp_gt_i32_e32 vcc, s6, v0
	s_and_saveexec_b64 s[0:1], vcc
	s_cbranch_execnz .LBB57_18
.LBB57_13:
	s_or_b64 exec, exec, s[0:1]
	v_cmp_gt_i32_e32 vcc, s6, v0
	s_and_saveexec_b64 s[0:1], vcc
	s_cbranch_execnz .LBB57_19
.LBB57_14:
	s_or_b64 exec, exec, s[0:1]
	v_cmp_gt_i32_e32 vcc, s6, v0
	s_and_saveexec_b64 s[0:1], vcc
	s_cbranch_execz .LBB57_16
.LBB57_15:
	v_add_u32_e32 v0, s2, v0
	v_mov_b32_e32 v1, 0
	v_lshlrev_b64 v[0:1], 3, v[0:1]
	v_mov_b32_e32 v2, s11
	v_add_co_u32_e32 v0, vcc, s10, v0
	v_addc_co_u32_e32 v1, vcc, v2, v1, vcc
	global_store_dwordx2 v[0:1], v[6:7], off
.LBB57_16:
	s_endpgm
.LBB57_17:
	v_mov_b32_e32 v3, 0
	v_lshlrev_b64 v[2:3], 3, v[2:3]
	v_mov_b32_e32 v0, s11
	v_add_co_u32_e32 v2, vcc, s10, v2
	v_addc_co_u32_e32 v3, vcc, v0, v3, vcc
	v_mov_b32_e32 v0, v1
	global_store_dwordx2 v[2:3], v[4:5], off
	s_or_b64 exec, exec, s[0:1]
	v_cmp_gt_i32_e32 vcc, s6, v0
	s_and_saveexec_b64 s[0:1], vcc
	s_cbranch_execz .LBB57_13
.LBB57_18:
	v_add_u32_e32 v2, s2, v0
	v_mov_b32_e32 v3, 0
	v_lshlrev_b64 v[2:3], 3, v[2:3]
	v_mov_b32_e32 v1, s11
	v_add_co_u32_e32 v2, vcc, s10, v2
	v_addc_co_u32_e32 v3, vcc, v1, v3, vcc
	v_add_u32_e32 v0, 0x100, v0
	global_store_dwordx2 v[2:3], v[12:13], off
	s_or_b64 exec, exec, s[0:1]
	v_cmp_gt_i32_e32 vcc, s6, v0
	s_and_saveexec_b64 s[0:1], vcc
	s_cbranch_execz .LBB57_14
.LBB57_19:
	v_add_u32_e32 v2, s2, v0
	v_mov_b32_e32 v3, 0
	v_lshlrev_b64 v[2:3], 3, v[2:3]
	v_mov_b32_e32 v1, s11
	v_add_co_u32_e32 v2, vcc, s10, v2
	v_addc_co_u32_e32 v3, vcc, v1, v3, vcc
	v_add_u32_e32 v0, 0x100, v0
	global_store_dwordx2 v[2:3], v[8:9], off
	s_or_b64 exec, exec, s[0:1]
	v_cmp_gt_i32_e32 vcc, s6, v0
	s_and_saveexec_b64 s[0:1], vcc
	s_cbranch_execnz .LBB57_15
	s_branch .LBB57_16
	.section	.rodata,"a",@progbits
	.p2align	6, 0x0
	.amdhsa_kernel _ZN2at6native29vectorized_elementwise_kernelILi8ENS0_13BUnaryFunctorIdddZZZNS0_20copysign_kernel_cudaERNS_18TensorIteratorBaseEENKUlvE_clEvENKUlvE_clEvEUlddE_EESt5arrayIPcLm2EEEEviT0_T1_
		.amdhsa_group_segment_fixed_size 0
		.amdhsa_private_segment_fixed_size 0
		.amdhsa_kernarg_size 40
		.amdhsa_user_sgpr_count 6
		.amdhsa_user_sgpr_private_segment_buffer 1
		.amdhsa_user_sgpr_dispatch_ptr 0
		.amdhsa_user_sgpr_queue_ptr 0
		.amdhsa_user_sgpr_kernarg_segment_ptr 1
		.amdhsa_user_sgpr_dispatch_id 0
		.amdhsa_user_sgpr_flat_scratch_init 0
		.amdhsa_user_sgpr_kernarg_preload_length 0
		.amdhsa_user_sgpr_kernarg_preload_offset 0
		.amdhsa_user_sgpr_private_segment_size 0
		.amdhsa_uses_dynamic_stack 0
		.amdhsa_system_sgpr_private_segment_wavefront_offset 0
		.amdhsa_system_sgpr_workgroup_id_x 1
		.amdhsa_system_sgpr_workgroup_id_y 0
		.amdhsa_system_sgpr_workgroup_id_z 0
		.amdhsa_system_sgpr_workgroup_info 0
		.amdhsa_system_vgpr_workitem_id 0
		.amdhsa_next_free_vgpr 14
		.amdhsa_next_free_sgpr 14
		.amdhsa_accum_offset 16
		.amdhsa_reserve_vcc 1
		.amdhsa_reserve_flat_scratch 0
		.amdhsa_float_round_mode_32 0
		.amdhsa_float_round_mode_16_64 0
		.amdhsa_float_denorm_mode_32 3
		.amdhsa_float_denorm_mode_16_64 3
		.amdhsa_dx10_clamp 1
		.amdhsa_ieee_mode 1
		.amdhsa_fp16_overflow 0
		.amdhsa_tg_split 0
		.amdhsa_exception_fp_ieee_invalid_op 0
		.amdhsa_exception_fp_denorm_src 0
		.amdhsa_exception_fp_ieee_div_zero 0
		.amdhsa_exception_fp_ieee_overflow 0
		.amdhsa_exception_fp_ieee_underflow 0
		.amdhsa_exception_fp_ieee_inexact 0
		.amdhsa_exception_int_div_zero 0
	.end_amdhsa_kernel
	.section	.text._ZN2at6native29vectorized_elementwise_kernelILi8ENS0_13BUnaryFunctorIdddZZZNS0_20copysign_kernel_cudaERNS_18TensorIteratorBaseEENKUlvE_clEvENKUlvE_clEvEUlddE_EESt5arrayIPcLm2EEEEviT0_T1_,"axG",@progbits,_ZN2at6native29vectorized_elementwise_kernelILi8ENS0_13BUnaryFunctorIdddZZZNS0_20copysign_kernel_cudaERNS_18TensorIteratorBaseEENKUlvE_clEvENKUlvE_clEvEUlddE_EESt5arrayIPcLm2EEEEviT0_T1_,comdat
.Lfunc_end57:
	.size	_ZN2at6native29vectorized_elementwise_kernelILi8ENS0_13BUnaryFunctorIdddZZZNS0_20copysign_kernel_cudaERNS_18TensorIteratorBaseEENKUlvE_clEvENKUlvE_clEvEUlddE_EESt5arrayIPcLm2EEEEviT0_T1_, .Lfunc_end57-_ZN2at6native29vectorized_elementwise_kernelILi8ENS0_13BUnaryFunctorIdddZZZNS0_20copysign_kernel_cudaERNS_18TensorIteratorBaseEENKUlvE_clEvENKUlvE_clEvEUlddE_EESt5arrayIPcLm2EEEEviT0_T1_
                                        ; -- End function
	.section	.AMDGPU.csdata,"",@progbits
; Kernel info:
; codeLenInByte = 892
; NumSgprs: 18
; NumVgprs: 14
; NumAgprs: 0
; TotalNumVgprs: 14
; ScratchSize: 0
; MemoryBound: 0
; FloatMode: 240
; IeeeMode: 1
; LDSByteSize: 0 bytes/workgroup (compile time only)
; SGPRBlocks: 2
; VGPRBlocks: 1
; NumSGPRsForWavesPerEU: 18
; NumVGPRsForWavesPerEU: 14
; AccumOffset: 16
; Occupancy: 8
; WaveLimiterHint : 0
; COMPUTE_PGM_RSRC2:SCRATCH_EN: 0
; COMPUTE_PGM_RSRC2:USER_SGPR: 6
; COMPUTE_PGM_RSRC2:TRAP_HANDLER: 0
; COMPUTE_PGM_RSRC2:TGID_X_EN: 1
; COMPUTE_PGM_RSRC2:TGID_Y_EN: 0
; COMPUTE_PGM_RSRC2:TGID_Z_EN: 0
; COMPUTE_PGM_RSRC2:TIDIG_COMP_CNT: 0
; COMPUTE_PGM_RSRC3_GFX90A:ACCUM_OFFSET: 3
; COMPUTE_PGM_RSRC3_GFX90A:TG_SPLIT: 0
	.section	.text._ZN2at6native29vectorized_elementwise_kernelILi4ENS0_13BUnaryFunctorIdddZZZNS0_20copysign_kernel_cudaERNS_18TensorIteratorBaseEENKUlvE_clEvENKUlvE_clEvEUlddE_EESt5arrayIPcLm2EEEEviT0_T1_,"axG",@progbits,_ZN2at6native29vectorized_elementwise_kernelILi4ENS0_13BUnaryFunctorIdddZZZNS0_20copysign_kernel_cudaERNS_18TensorIteratorBaseEENKUlvE_clEvENKUlvE_clEvEUlddE_EESt5arrayIPcLm2EEEEviT0_T1_,comdat
	.globl	_ZN2at6native29vectorized_elementwise_kernelILi4ENS0_13BUnaryFunctorIdddZZZNS0_20copysign_kernel_cudaERNS_18TensorIteratorBaseEENKUlvE_clEvENKUlvE_clEvEUlddE_EESt5arrayIPcLm2EEEEviT0_T1_ ; -- Begin function _ZN2at6native29vectorized_elementwise_kernelILi4ENS0_13BUnaryFunctorIdddZZZNS0_20copysign_kernel_cudaERNS_18TensorIteratorBaseEENKUlvE_clEvENKUlvE_clEvEUlddE_EESt5arrayIPcLm2EEEEviT0_T1_
	.p2align	8
	.type	_ZN2at6native29vectorized_elementwise_kernelILi4ENS0_13BUnaryFunctorIdddZZZNS0_20copysign_kernel_cudaERNS_18TensorIteratorBaseEENKUlvE_clEvENKUlvE_clEvEUlddE_EESt5arrayIPcLm2EEEEviT0_T1_,@function
_ZN2at6native29vectorized_elementwise_kernelILi4ENS0_13BUnaryFunctorIdddZZZNS0_20copysign_kernel_cudaERNS_18TensorIteratorBaseEENKUlvE_clEvENKUlvE_clEvEUlddE_EESt5arrayIPcLm2EEEEviT0_T1_: ; @_ZN2at6native29vectorized_elementwise_kernelILi4ENS0_13BUnaryFunctorIdddZZZNS0_20copysign_kernel_cudaERNS_18TensorIteratorBaseEENKUlvE_clEvENKUlvE_clEvEUlddE_EESt5arrayIPcLm2EEEEviT0_T1_
; %bb.0:
	s_load_dword s0, s[4:5], 0x0
	s_load_dwordx4 s[8:11], s[4:5], 0x10
	s_load_dwordx2 s[12:13], s[4:5], 0x20
	s_lshl_b32 s2, s6, 10
	s_waitcnt lgkmcnt(0)
	s_sub_i32 s6, s0, s2
	s_cmpk_gt_i32 s6, 0x3ff
	s_mov_b64 s[0:1], -1
	s_cbranch_scc0 .LBB58_2
; %bb.1:
	s_ashr_i32 s3, s2, 31
	s_lshl_b64 s[0:1], s[2:3], 3
	s_add_u32 s4, s12, s0
	s_addc_u32 s5, s13, s1
	v_lshlrev_b32_e32 v1, 5, v0
	global_load_dwordx4 v[2:5], v1, s[4:5]
	global_load_dwordx4 v[6:9], v1, s[4:5] offset:16
	s_brev_b32 s3, -2
	v_mov_b32_e32 v10, s9
	s_add_u32 s0, s10, s0
	s_addc_u32 s1, s11, s1
	s_waitcnt vmcnt(1)
	v_bfi_b32 v3, s3, v3, v10
	v_bfi_b32 v5, s3, v5, v10
	s_waitcnt vmcnt(0)
	v_bfi_b32 v7, s3, v7, v10
	v_bfi_b32 v9, s3, v9, v10
	global_store_dwordx4 v1, v[2:5], s[0:1]
	global_store_dwordx4 v1, v[6:9], s[0:1] offset:16
	s_mov_b64 s[0:1], 0
.LBB58_2:
	s_andn2_b64 vcc, exec, s[0:1]
	s_cbranch_vccnz .LBB58_16
; %bb.3:
	v_pk_mov_b32 v[6:7], 0, 0
	v_cmp_gt_i32_e32 vcc, s6, v0
	v_or_b32_e32 v2, s2, v0
	v_pk_mov_b32 v[4:5], v[6:7], v[6:7] op_sel:[0,1]
	v_mov_b32_e32 v1, v0
	s_and_saveexec_b64 s[4:5], vcc
	s_cbranch_execz .LBB58_5
; %bb.4:
	v_mov_b32_e32 v3, 0
	v_lshlrev_b64 v[4:5], 3, v[2:3]
	v_mov_b32_e32 v1, s13
	v_add_co_u32_e64 v4, s[0:1], s12, v4
	v_addc_co_u32_e64 v5, s[0:1], v1, v5, s[0:1]
	global_load_dwordx2 v[4:5], v[4:5], off
	v_or_b32_e32 v1, 0x100, v0
.LBB58_5:
	s_or_b64 exec, exec, s[4:5]
	v_cmp_gt_i32_e64 s[0:1], s6, v1
	s_and_saveexec_b64 s[4:5], s[0:1]
	s_cbranch_execz .LBB58_7
; %bb.6:
	v_add_u32_e32 v6, s2, v1
	v_mov_b32_e32 v7, 0
	v_lshlrev_b64 v[6:7], 3, v[6:7]
	v_mov_b32_e32 v3, s13
	v_add_co_u32_e64 v6, s[0:1], s12, v6
	v_addc_co_u32_e64 v7, s[0:1], v3, v7, s[0:1]
	global_load_dwordx2 v[6:7], v[6:7], off
	v_add_u32_e32 v1, 0x100, v1
.LBB58_7:
	s_or_b64 exec, exec, s[4:5]
	v_pk_mov_b32 v[10:11], 0, 0
	v_cmp_gt_i32_e64 s[0:1], s6, v1
	v_pk_mov_b32 v[8:9], v[10:11], v[10:11] op_sel:[0,1]
	s_and_saveexec_b64 s[4:5], s[0:1]
	s_cbranch_execz .LBB58_9
; %bb.8:
	v_add_u32_e32 v8, s2, v1
	v_mov_b32_e32 v9, 0
	v_lshlrev_b64 v[8:9], 3, v[8:9]
	v_mov_b32_e32 v3, s13
	v_add_co_u32_e64 v8, s[0:1], s12, v8
	v_addc_co_u32_e64 v9, s[0:1], v3, v9, s[0:1]
	global_load_dwordx2 v[8:9], v[8:9], off
	v_add_u32_e32 v1, 0x100, v1
.LBB58_9:
	s_or_b64 exec, exec, s[4:5]
	v_cmp_gt_i32_e64 s[0:1], s6, v1
	s_and_saveexec_b64 s[4:5], s[0:1]
	s_cbranch_execz .LBB58_11
; %bb.10:
	v_add_u32_e32 v10, s2, v1
	v_mov_b32_e32 v11, 0
	v_lshlrev_b64 v[10:11], 3, v[10:11]
	v_mov_b32_e32 v1, s13
	v_add_co_u32_e64 v10, s[0:1], s12, v10
	v_addc_co_u32_e64 v11, s[0:1], v1, v11, s[0:1]
	global_load_dwordx2 v[10:11], v[10:11], off
.LBB58_11:
	s_or_b64 exec, exec, s[4:5]
	v_or_b32_e32 v1, 0x100, v0
	s_brev_b32 s3, -2
	v_mov_b32_e32 v3, s9
	v_cmp_gt_i32_e64 s[0:1], s6, v1
	s_waitcnt vmcnt(0)
	v_bfi_b32 v5, s3, v5, v3
	v_bfi_b32 v7, s3, v7, v3
	v_cndmask_b32_e64 v12, v4, v6, s[0:1]
	v_or_b32_e32 v6, 0x200, v0
	v_cndmask_b32_e64 v13, v5, v7, s[0:1]
	v_bfi_b32 v7, s3, v9, v3
	v_cmp_gt_i32_e64 s[0:1], s6, v6
	v_or_b32_e32 v6, 0x300, v0
	v_cndmask_b32_e64 v9, v5, v7, s[0:1]
	v_cndmask_b32_e64 v8, v4, v8, s[0:1]
	v_bfi_b32 v3, s3, v11, v3
	v_cmp_gt_i32_e64 s[0:1], s6, v6
	v_cndmask_b32_e64 v7, v5, v3, s[0:1]
	v_cndmask_b32_e64 v6, v4, v10, s[0:1]
	s_and_saveexec_b64 s[0:1], vcc
	s_cbranch_execnz .LBB58_17
; %bb.12:
	s_or_b64 exec, exec, s[0:1]
	v_cmp_gt_i32_e32 vcc, s6, v0
	s_and_saveexec_b64 s[0:1], vcc
	s_cbranch_execnz .LBB58_18
.LBB58_13:
	s_or_b64 exec, exec, s[0:1]
	v_cmp_gt_i32_e32 vcc, s6, v0
	s_and_saveexec_b64 s[0:1], vcc
	s_cbranch_execnz .LBB58_19
.LBB58_14:
	s_or_b64 exec, exec, s[0:1]
	v_cmp_gt_i32_e32 vcc, s6, v0
	s_and_saveexec_b64 s[0:1], vcc
	s_cbranch_execz .LBB58_16
.LBB58_15:
	v_add_u32_e32 v0, s2, v0
	v_mov_b32_e32 v1, 0
	v_lshlrev_b64 v[0:1], 3, v[0:1]
	v_mov_b32_e32 v2, s11
	v_add_co_u32_e32 v0, vcc, s10, v0
	v_addc_co_u32_e32 v1, vcc, v2, v1, vcc
	global_store_dwordx2 v[0:1], v[6:7], off
.LBB58_16:
	s_endpgm
.LBB58_17:
	v_mov_b32_e32 v3, 0
	v_lshlrev_b64 v[2:3], 3, v[2:3]
	v_mov_b32_e32 v0, s11
	v_add_co_u32_e32 v2, vcc, s10, v2
	v_addc_co_u32_e32 v3, vcc, v0, v3, vcc
	v_mov_b32_e32 v0, v1
	global_store_dwordx2 v[2:3], v[4:5], off
	s_or_b64 exec, exec, s[0:1]
	v_cmp_gt_i32_e32 vcc, s6, v0
	s_and_saveexec_b64 s[0:1], vcc
	s_cbranch_execz .LBB58_13
.LBB58_18:
	v_add_u32_e32 v2, s2, v0
	v_mov_b32_e32 v3, 0
	v_lshlrev_b64 v[2:3], 3, v[2:3]
	v_mov_b32_e32 v1, s11
	v_add_co_u32_e32 v2, vcc, s10, v2
	v_addc_co_u32_e32 v3, vcc, v1, v3, vcc
	v_add_u32_e32 v0, 0x100, v0
	global_store_dwordx2 v[2:3], v[12:13], off
	s_or_b64 exec, exec, s[0:1]
	v_cmp_gt_i32_e32 vcc, s6, v0
	s_and_saveexec_b64 s[0:1], vcc
	s_cbranch_execz .LBB58_14
.LBB58_19:
	v_add_u32_e32 v2, s2, v0
	v_mov_b32_e32 v3, 0
	v_lshlrev_b64 v[2:3], 3, v[2:3]
	v_mov_b32_e32 v1, s11
	v_add_co_u32_e32 v2, vcc, s10, v2
	v_addc_co_u32_e32 v3, vcc, v1, v3, vcc
	v_add_u32_e32 v0, 0x100, v0
	global_store_dwordx2 v[2:3], v[8:9], off
	s_or_b64 exec, exec, s[0:1]
	v_cmp_gt_i32_e32 vcc, s6, v0
	s_and_saveexec_b64 s[0:1], vcc
	s_cbranch_execnz .LBB58_15
	s_branch .LBB58_16
	.section	.rodata,"a",@progbits
	.p2align	6, 0x0
	.amdhsa_kernel _ZN2at6native29vectorized_elementwise_kernelILi4ENS0_13BUnaryFunctorIdddZZZNS0_20copysign_kernel_cudaERNS_18TensorIteratorBaseEENKUlvE_clEvENKUlvE_clEvEUlddE_EESt5arrayIPcLm2EEEEviT0_T1_
		.amdhsa_group_segment_fixed_size 0
		.amdhsa_private_segment_fixed_size 0
		.amdhsa_kernarg_size 40
		.amdhsa_user_sgpr_count 6
		.amdhsa_user_sgpr_private_segment_buffer 1
		.amdhsa_user_sgpr_dispatch_ptr 0
		.amdhsa_user_sgpr_queue_ptr 0
		.amdhsa_user_sgpr_kernarg_segment_ptr 1
		.amdhsa_user_sgpr_dispatch_id 0
		.amdhsa_user_sgpr_flat_scratch_init 0
		.amdhsa_user_sgpr_kernarg_preload_length 0
		.amdhsa_user_sgpr_kernarg_preload_offset 0
		.amdhsa_user_sgpr_private_segment_size 0
		.amdhsa_uses_dynamic_stack 0
		.amdhsa_system_sgpr_private_segment_wavefront_offset 0
		.amdhsa_system_sgpr_workgroup_id_x 1
		.amdhsa_system_sgpr_workgroup_id_y 0
		.amdhsa_system_sgpr_workgroup_id_z 0
		.amdhsa_system_sgpr_workgroup_info 0
		.amdhsa_system_vgpr_workitem_id 0
		.amdhsa_next_free_vgpr 14
		.amdhsa_next_free_sgpr 14
		.amdhsa_accum_offset 16
		.amdhsa_reserve_vcc 1
		.amdhsa_reserve_flat_scratch 0
		.amdhsa_float_round_mode_32 0
		.amdhsa_float_round_mode_16_64 0
		.amdhsa_float_denorm_mode_32 3
		.amdhsa_float_denorm_mode_16_64 3
		.amdhsa_dx10_clamp 1
		.amdhsa_ieee_mode 1
		.amdhsa_fp16_overflow 0
		.amdhsa_tg_split 0
		.amdhsa_exception_fp_ieee_invalid_op 0
		.amdhsa_exception_fp_denorm_src 0
		.amdhsa_exception_fp_ieee_div_zero 0
		.amdhsa_exception_fp_ieee_overflow 0
		.amdhsa_exception_fp_ieee_underflow 0
		.amdhsa_exception_fp_ieee_inexact 0
		.amdhsa_exception_int_div_zero 0
	.end_amdhsa_kernel
	.section	.text._ZN2at6native29vectorized_elementwise_kernelILi4ENS0_13BUnaryFunctorIdddZZZNS0_20copysign_kernel_cudaERNS_18TensorIteratorBaseEENKUlvE_clEvENKUlvE_clEvEUlddE_EESt5arrayIPcLm2EEEEviT0_T1_,"axG",@progbits,_ZN2at6native29vectorized_elementwise_kernelILi4ENS0_13BUnaryFunctorIdddZZZNS0_20copysign_kernel_cudaERNS_18TensorIteratorBaseEENKUlvE_clEvENKUlvE_clEvEUlddE_EESt5arrayIPcLm2EEEEviT0_T1_,comdat
.Lfunc_end58:
	.size	_ZN2at6native29vectorized_elementwise_kernelILi4ENS0_13BUnaryFunctorIdddZZZNS0_20copysign_kernel_cudaERNS_18TensorIteratorBaseEENKUlvE_clEvENKUlvE_clEvEUlddE_EESt5arrayIPcLm2EEEEviT0_T1_, .Lfunc_end58-_ZN2at6native29vectorized_elementwise_kernelILi4ENS0_13BUnaryFunctorIdddZZZNS0_20copysign_kernel_cudaERNS_18TensorIteratorBaseEENKUlvE_clEvENKUlvE_clEvEUlddE_EESt5arrayIPcLm2EEEEviT0_T1_
                                        ; -- End function
	.section	.AMDGPU.csdata,"",@progbits
; Kernel info:
; codeLenInByte = 892
; NumSgprs: 18
; NumVgprs: 14
; NumAgprs: 0
; TotalNumVgprs: 14
; ScratchSize: 0
; MemoryBound: 0
; FloatMode: 240
; IeeeMode: 1
; LDSByteSize: 0 bytes/workgroup (compile time only)
; SGPRBlocks: 2
; VGPRBlocks: 1
; NumSGPRsForWavesPerEU: 18
; NumVGPRsForWavesPerEU: 14
; AccumOffset: 16
; Occupancy: 8
; WaveLimiterHint : 0
; COMPUTE_PGM_RSRC2:SCRATCH_EN: 0
; COMPUTE_PGM_RSRC2:USER_SGPR: 6
; COMPUTE_PGM_RSRC2:TRAP_HANDLER: 0
; COMPUTE_PGM_RSRC2:TGID_X_EN: 1
; COMPUTE_PGM_RSRC2:TGID_Y_EN: 0
; COMPUTE_PGM_RSRC2:TGID_Z_EN: 0
; COMPUTE_PGM_RSRC2:TIDIG_COMP_CNT: 0
; COMPUTE_PGM_RSRC3_GFX90A:ACCUM_OFFSET: 3
; COMPUTE_PGM_RSRC3_GFX90A:TG_SPLIT: 0
	.section	.text._ZN2at6native29vectorized_elementwise_kernelILi2ENS0_13BUnaryFunctorIdddZZZNS0_20copysign_kernel_cudaERNS_18TensorIteratorBaseEENKUlvE_clEvENKUlvE_clEvEUlddE_EESt5arrayIPcLm2EEEEviT0_T1_,"axG",@progbits,_ZN2at6native29vectorized_elementwise_kernelILi2ENS0_13BUnaryFunctorIdddZZZNS0_20copysign_kernel_cudaERNS_18TensorIteratorBaseEENKUlvE_clEvENKUlvE_clEvEUlddE_EESt5arrayIPcLm2EEEEviT0_T1_,comdat
	.globl	_ZN2at6native29vectorized_elementwise_kernelILi2ENS0_13BUnaryFunctorIdddZZZNS0_20copysign_kernel_cudaERNS_18TensorIteratorBaseEENKUlvE_clEvENKUlvE_clEvEUlddE_EESt5arrayIPcLm2EEEEviT0_T1_ ; -- Begin function _ZN2at6native29vectorized_elementwise_kernelILi2ENS0_13BUnaryFunctorIdddZZZNS0_20copysign_kernel_cudaERNS_18TensorIteratorBaseEENKUlvE_clEvENKUlvE_clEvEUlddE_EESt5arrayIPcLm2EEEEviT0_T1_
	.p2align	8
	.type	_ZN2at6native29vectorized_elementwise_kernelILi2ENS0_13BUnaryFunctorIdddZZZNS0_20copysign_kernel_cudaERNS_18TensorIteratorBaseEENKUlvE_clEvENKUlvE_clEvEUlddE_EESt5arrayIPcLm2EEEEviT0_T1_,@function
_ZN2at6native29vectorized_elementwise_kernelILi2ENS0_13BUnaryFunctorIdddZZZNS0_20copysign_kernel_cudaERNS_18TensorIteratorBaseEENKUlvE_clEvENKUlvE_clEvEUlddE_EESt5arrayIPcLm2EEEEviT0_T1_: ; @_ZN2at6native29vectorized_elementwise_kernelILi2ENS0_13BUnaryFunctorIdddZZZNS0_20copysign_kernel_cudaERNS_18TensorIteratorBaseEENKUlvE_clEvENKUlvE_clEvEUlddE_EESt5arrayIPcLm2EEEEviT0_T1_
; %bb.0:
	s_load_dword s0, s[4:5], 0x0
	s_load_dwordx4 s[8:11], s[4:5], 0x10
	s_load_dwordx2 s[12:13], s[4:5], 0x20
	s_lshl_b32 s2, s6, 10
	s_waitcnt lgkmcnt(0)
	s_sub_i32 s6, s0, s2
	s_cmpk_gt_i32 s6, 0x3ff
	s_mov_b64 s[0:1], -1
	s_cbranch_scc0 .LBB59_2
; %bb.1:
	s_ashr_i32 s3, s2, 31
	s_lshl_b64 s[0:1], s[2:3], 3
	s_add_u32 s4, s12, s0
	s_addc_u32 s5, s13, s1
	v_lshlrev_b32_e32 v1, 4, v0
	v_mov_b32_e32 v2, s5
	v_add_co_u32_e32 v6, vcc, s4, v1
	v_addc_co_u32_e32 v7, vcc, 0, v2, vcc
	v_add_co_u32_e32 v6, vcc, 0x1000, v6
	v_addc_co_u32_e32 v7, vcc, 0, v7, vcc
	global_load_dwordx4 v[2:5], v1, s[4:5]
	s_add_u32 s0, s10, s0
	global_load_dwordx4 v[6:9], v[6:7], off
	s_addc_u32 s1, s11, s1
	v_mov_b32_e32 v10, s1
	v_add_co_u32_e32 v11, vcc, s0, v1
	v_addc_co_u32_e32 v13, vcc, 0, v10, vcc
	s_brev_b32 s3, -2
	v_mov_b32_e32 v12, s9
	v_add_co_u32_e32 v10, vcc, 0x1000, v11
	v_addc_co_u32_e32 v11, vcc, 0, v13, vcc
	s_waitcnt vmcnt(1)
	v_bfi_b32 v3, s3, v3, v12
	v_bfi_b32 v5, s3, v5, v12
	s_waitcnt vmcnt(0)
	v_bfi_b32 v7, s3, v7, v12
	v_bfi_b32 v9, s3, v9, v12
	global_store_dwordx4 v1, v[2:5], s[0:1]
	global_store_dwordx4 v[10:11], v[6:9], off
	s_mov_b64 s[0:1], 0
.LBB59_2:
	s_andn2_b64 vcc, exec, s[0:1]
	s_cbranch_vccnz .LBB59_16
; %bb.3:
	v_pk_mov_b32 v[6:7], 0, 0
	v_cmp_gt_i32_e32 vcc, s6, v0
	v_or_b32_e32 v2, s2, v0
	v_pk_mov_b32 v[4:5], v[6:7], v[6:7] op_sel:[0,1]
	v_mov_b32_e32 v1, v0
	s_and_saveexec_b64 s[4:5], vcc
	s_cbranch_execz .LBB59_5
; %bb.4:
	v_mov_b32_e32 v3, 0
	v_lshlrev_b64 v[4:5], 3, v[2:3]
	v_mov_b32_e32 v1, s13
	v_add_co_u32_e64 v4, s[0:1], s12, v4
	v_addc_co_u32_e64 v5, s[0:1], v1, v5, s[0:1]
	global_load_dwordx2 v[4:5], v[4:5], off
	v_or_b32_e32 v1, 0x100, v0
.LBB59_5:
	s_or_b64 exec, exec, s[4:5]
	v_cmp_gt_i32_e64 s[0:1], s6, v1
	s_and_saveexec_b64 s[4:5], s[0:1]
	s_cbranch_execz .LBB59_7
; %bb.6:
	v_add_u32_e32 v6, s2, v1
	v_mov_b32_e32 v7, 0
	v_lshlrev_b64 v[6:7], 3, v[6:7]
	v_mov_b32_e32 v3, s13
	v_add_co_u32_e64 v6, s[0:1], s12, v6
	v_addc_co_u32_e64 v7, s[0:1], v3, v7, s[0:1]
	global_load_dwordx2 v[6:7], v[6:7], off
	v_add_u32_e32 v1, 0x100, v1
.LBB59_7:
	s_or_b64 exec, exec, s[4:5]
	v_pk_mov_b32 v[10:11], 0, 0
	v_cmp_gt_i32_e64 s[0:1], s6, v1
	v_pk_mov_b32 v[8:9], v[10:11], v[10:11] op_sel:[0,1]
	s_and_saveexec_b64 s[4:5], s[0:1]
	s_cbranch_execz .LBB59_9
; %bb.8:
	v_add_u32_e32 v8, s2, v1
	v_mov_b32_e32 v9, 0
	v_lshlrev_b64 v[8:9], 3, v[8:9]
	v_mov_b32_e32 v3, s13
	v_add_co_u32_e64 v8, s[0:1], s12, v8
	v_addc_co_u32_e64 v9, s[0:1], v3, v9, s[0:1]
	global_load_dwordx2 v[8:9], v[8:9], off
	v_add_u32_e32 v1, 0x100, v1
.LBB59_9:
	s_or_b64 exec, exec, s[4:5]
	v_cmp_gt_i32_e64 s[0:1], s6, v1
	s_and_saveexec_b64 s[4:5], s[0:1]
	s_cbranch_execz .LBB59_11
; %bb.10:
	v_add_u32_e32 v10, s2, v1
	v_mov_b32_e32 v11, 0
	v_lshlrev_b64 v[10:11], 3, v[10:11]
	v_mov_b32_e32 v1, s13
	v_add_co_u32_e64 v10, s[0:1], s12, v10
	v_addc_co_u32_e64 v11, s[0:1], v1, v11, s[0:1]
	global_load_dwordx2 v[10:11], v[10:11], off
.LBB59_11:
	s_or_b64 exec, exec, s[4:5]
	v_or_b32_e32 v1, 0x100, v0
	s_brev_b32 s3, -2
	v_mov_b32_e32 v3, s9
	v_cmp_gt_i32_e64 s[0:1], s6, v1
	s_waitcnt vmcnt(0)
	v_bfi_b32 v5, s3, v5, v3
	v_bfi_b32 v7, s3, v7, v3
	v_cndmask_b32_e64 v12, v4, v6, s[0:1]
	v_or_b32_e32 v6, 0x200, v0
	v_cndmask_b32_e64 v13, v5, v7, s[0:1]
	v_bfi_b32 v7, s3, v9, v3
	v_cmp_gt_i32_e64 s[0:1], s6, v6
	v_or_b32_e32 v6, 0x300, v0
	v_cndmask_b32_e64 v9, v5, v7, s[0:1]
	v_cndmask_b32_e64 v8, v4, v8, s[0:1]
	v_bfi_b32 v3, s3, v11, v3
	v_cmp_gt_i32_e64 s[0:1], s6, v6
	v_cndmask_b32_e64 v7, v5, v3, s[0:1]
	v_cndmask_b32_e64 v6, v4, v10, s[0:1]
	s_and_saveexec_b64 s[0:1], vcc
	s_cbranch_execnz .LBB59_17
; %bb.12:
	s_or_b64 exec, exec, s[0:1]
	v_cmp_gt_i32_e32 vcc, s6, v0
	s_and_saveexec_b64 s[0:1], vcc
	s_cbranch_execnz .LBB59_18
.LBB59_13:
	s_or_b64 exec, exec, s[0:1]
	v_cmp_gt_i32_e32 vcc, s6, v0
	s_and_saveexec_b64 s[0:1], vcc
	s_cbranch_execnz .LBB59_19
.LBB59_14:
	s_or_b64 exec, exec, s[0:1]
	v_cmp_gt_i32_e32 vcc, s6, v0
	s_and_saveexec_b64 s[0:1], vcc
	s_cbranch_execz .LBB59_16
.LBB59_15:
	v_add_u32_e32 v0, s2, v0
	v_mov_b32_e32 v1, 0
	v_lshlrev_b64 v[0:1], 3, v[0:1]
	v_mov_b32_e32 v2, s11
	v_add_co_u32_e32 v0, vcc, s10, v0
	v_addc_co_u32_e32 v1, vcc, v2, v1, vcc
	global_store_dwordx2 v[0:1], v[6:7], off
.LBB59_16:
	s_endpgm
.LBB59_17:
	v_mov_b32_e32 v3, 0
	v_lshlrev_b64 v[2:3], 3, v[2:3]
	v_mov_b32_e32 v0, s11
	v_add_co_u32_e32 v2, vcc, s10, v2
	v_addc_co_u32_e32 v3, vcc, v0, v3, vcc
	v_mov_b32_e32 v0, v1
	global_store_dwordx2 v[2:3], v[4:5], off
	s_or_b64 exec, exec, s[0:1]
	v_cmp_gt_i32_e32 vcc, s6, v0
	s_and_saveexec_b64 s[0:1], vcc
	s_cbranch_execz .LBB59_13
.LBB59_18:
	v_add_u32_e32 v2, s2, v0
	v_mov_b32_e32 v3, 0
	v_lshlrev_b64 v[2:3], 3, v[2:3]
	v_mov_b32_e32 v1, s11
	v_add_co_u32_e32 v2, vcc, s10, v2
	v_addc_co_u32_e32 v3, vcc, v1, v3, vcc
	v_add_u32_e32 v0, 0x100, v0
	global_store_dwordx2 v[2:3], v[12:13], off
	s_or_b64 exec, exec, s[0:1]
	v_cmp_gt_i32_e32 vcc, s6, v0
	s_and_saveexec_b64 s[0:1], vcc
	s_cbranch_execz .LBB59_14
.LBB59_19:
	v_add_u32_e32 v2, s2, v0
	v_mov_b32_e32 v3, 0
	v_lshlrev_b64 v[2:3], 3, v[2:3]
	v_mov_b32_e32 v1, s11
	v_add_co_u32_e32 v2, vcc, s10, v2
	v_addc_co_u32_e32 v3, vcc, v1, v3, vcc
	v_add_u32_e32 v0, 0x100, v0
	global_store_dwordx2 v[2:3], v[8:9], off
	s_or_b64 exec, exec, s[0:1]
	v_cmp_gt_i32_e32 vcc, s6, v0
	s_and_saveexec_b64 s[0:1], vcc
	s_cbranch_execnz .LBB59_15
	s_branch .LBB59_16
	.section	.rodata,"a",@progbits
	.p2align	6, 0x0
	.amdhsa_kernel _ZN2at6native29vectorized_elementwise_kernelILi2ENS0_13BUnaryFunctorIdddZZZNS0_20copysign_kernel_cudaERNS_18TensorIteratorBaseEENKUlvE_clEvENKUlvE_clEvEUlddE_EESt5arrayIPcLm2EEEEviT0_T1_
		.amdhsa_group_segment_fixed_size 0
		.amdhsa_private_segment_fixed_size 0
		.amdhsa_kernarg_size 40
		.amdhsa_user_sgpr_count 6
		.amdhsa_user_sgpr_private_segment_buffer 1
		.amdhsa_user_sgpr_dispatch_ptr 0
		.amdhsa_user_sgpr_queue_ptr 0
		.amdhsa_user_sgpr_kernarg_segment_ptr 1
		.amdhsa_user_sgpr_dispatch_id 0
		.amdhsa_user_sgpr_flat_scratch_init 0
		.amdhsa_user_sgpr_kernarg_preload_length 0
		.amdhsa_user_sgpr_kernarg_preload_offset 0
		.amdhsa_user_sgpr_private_segment_size 0
		.amdhsa_uses_dynamic_stack 0
		.amdhsa_system_sgpr_private_segment_wavefront_offset 0
		.amdhsa_system_sgpr_workgroup_id_x 1
		.amdhsa_system_sgpr_workgroup_id_y 0
		.amdhsa_system_sgpr_workgroup_id_z 0
		.amdhsa_system_sgpr_workgroup_info 0
		.amdhsa_system_vgpr_workitem_id 0
		.amdhsa_next_free_vgpr 14
		.amdhsa_next_free_sgpr 14
		.amdhsa_accum_offset 16
		.amdhsa_reserve_vcc 1
		.amdhsa_reserve_flat_scratch 0
		.amdhsa_float_round_mode_32 0
		.amdhsa_float_round_mode_16_64 0
		.amdhsa_float_denorm_mode_32 3
		.amdhsa_float_denorm_mode_16_64 3
		.amdhsa_dx10_clamp 1
		.amdhsa_ieee_mode 1
		.amdhsa_fp16_overflow 0
		.amdhsa_tg_split 0
		.amdhsa_exception_fp_ieee_invalid_op 0
		.amdhsa_exception_fp_denorm_src 0
		.amdhsa_exception_fp_ieee_div_zero 0
		.amdhsa_exception_fp_ieee_overflow 0
		.amdhsa_exception_fp_ieee_underflow 0
		.amdhsa_exception_fp_ieee_inexact 0
		.amdhsa_exception_int_div_zero 0
	.end_amdhsa_kernel
	.section	.text._ZN2at6native29vectorized_elementwise_kernelILi2ENS0_13BUnaryFunctorIdddZZZNS0_20copysign_kernel_cudaERNS_18TensorIteratorBaseEENKUlvE_clEvENKUlvE_clEvEUlddE_EESt5arrayIPcLm2EEEEviT0_T1_,"axG",@progbits,_ZN2at6native29vectorized_elementwise_kernelILi2ENS0_13BUnaryFunctorIdddZZZNS0_20copysign_kernel_cudaERNS_18TensorIteratorBaseEENKUlvE_clEvENKUlvE_clEvEUlddE_EESt5arrayIPcLm2EEEEviT0_T1_,comdat
.Lfunc_end59:
	.size	_ZN2at6native29vectorized_elementwise_kernelILi2ENS0_13BUnaryFunctorIdddZZZNS0_20copysign_kernel_cudaERNS_18TensorIteratorBaseEENKUlvE_clEvENKUlvE_clEvEUlddE_EESt5arrayIPcLm2EEEEviT0_T1_, .Lfunc_end59-_ZN2at6native29vectorized_elementwise_kernelILi2ENS0_13BUnaryFunctorIdddZZZNS0_20copysign_kernel_cudaERNS_18TensorIteratorBaseEENKUlvE_clEvENKUlvE_clEvEUlddE_EESt5arrayIPcLm2EEEEviT0_T1_
                                        ; -- End function
	.section	.AMDGPU.csdata,"",@progbits
; Kernel info:
; codeLenInByte = 940
; NumSgprs: 18
; NumVgprs: 14
; NumAgprs: 0
; TotalNumVgprs: 14
; ScratchSize: 0
; MemoryBound: 0
; FloatMode: 240
; IeeeMode: 1
; LDSByteSize: 0 bytes/workgroup (compile time only)
; SGPRBlocks: 2
; VGPRBlocks: 1
; NumSGPRsForWavesPerEU: 18
; NumVGPRsForWavesPerEU: 14
; AccumOffset: 16
; Occupancy: 8
; WaveLimiterHint : 1
; COMPUTE_PGM_RSRC2:SCRATCH_EN: 0
; COMPUTE_PGM_RSRC2:USER_SGPR: 6
; COMPUTE_PGM_RSRC2:TRAP_HANDLER: 0
; COMPUTE_PGM_RSRC2:TGID_X_EN: 1
; COMPUTE_PGM_RSRC2:TGID_Y_EN: 0
; COMPUTE_PGM_RSRC2:TGID_Z_EN: 0
; COMPUTE_PGM_RSRC2:TIDIG_COMP_CNT: 0
; COMPUTE_PGM_RSRC3_GFX90A:ACCUM_OFFSET: 3
; COMPUTE_PGM_RSRC3_GFX90A:TG_SPLIT: 0
	.section	.text._ZN2at6native27unrolled_elementwise_kernelINS0_13BUnaryFunctorIdddZZZNS0_20copysign_kernel_cudaERNS_18TensorIteratorBaseEENKUlvE_clEvENKUlvE_clEvEUlddE_EESt5arrayIPcLm2EELi4E23TrivialOffsetCalculatorILi1EjESD_NS0_6memory15LoadWithoutCastENSE_16StoreWithoutCastEEEviT_T0_T2_T3_T4_T5_,"axG",@progbits,_ZN2at6native27unrolled_elementwise_kernelINS0_13BUnaryFunctorIdddZZZNS0_20copysign_kernel_cudaERNS_18TensorIteratorBaseEENKUlvE_clEvENKUlvE_clEvEUlddE_EESt5arrayIPcLm2EELi4E23TrivialOffsetCalculatorILi1EjESD_NS0_6memory15LoadWithoutCastENSE_16StoreWithoutCastEEEviT_T0_T2_T3_T4_T5_,comdat
	.globl	_ZN2at6native27unrolled_elementwise_kernelINS0_13BUnaryFunctorIdddZZZNS0_20copysign_kernel_cudaERNS_18TensorIteratorBaseEENKUlvE_clEvENKUlvE_clEvEUlddE_EESt5arrayIPcLm2EELi4E23TrivialOffsetCalculatorILi1EjESD_NS0_6memory15LoadWithoutCastENSE_16StoreWithoutCastEEEviT_T0_T2_T3_T4_T5_ ; -- Begin function _ZN2at6native27unrolled_elementwise_kernelINS0_13BUnaryFunctorIdddZZZNS0_20copysign_kernel_cudaERNS_18TensorIteratorBaseEENKUlvE_clEvENKUlvE_clEvEUlddE_EESt5arrayIPcLm2EELi4E23TrivialOffsetCalculatorILi1EjESD_NS0_6memory15LoadWithoutCastENSE_16StoreWithoutCastEEEviT_T0_T2_T3_T4_T5_
	.p2align	8
	.type	_ZN2at6native27unrolled_elementwise_kernelINS0_13BUnaryFunctorIdddZZZNS0_20copysign_kernel_cudaERNS_18TensorIteratorBaseEENKUlvE_clEvENKUlvE_clEvEUlddE_EESt5arrayIPcLm2EELi4E23TrivialOffsetCalculatorILi1EjESD_NS0_6memory15LoadWithoutCastENSE_16StoreWithoutCastEEEviT_T0_T2_T3_T4_T5_,@function
_ZN2at6native27unrolled_elementwise_kernelINS0_13BUnaryFunctorIdddZZZNS0_20copysign_kernel_cudaERNS_18TensorIteratorBaseEENKUlvE_clEvENKUlvE_clEvEUlddE_EESt5arrayIPcLm2EELi4E23TrivialOffsetCalculatorILi1EjESD_NS0_6memory15LoadWithoutCastENSE_16StoreWithoutCastEEEviT_T0_T2_T3_T4_T5_: ; @_ZN2at6native27unrolled_elementwise_kernelINS0_13BUnaryFunctorIdddZZZNS0_20copysign_kernel_cudaERNS_18TensorIteratorBaseEENKUlvE_clEvENKUlvE_clEvEUlddE_EESt5arrayIPcLm2EELi4E23TrivialOffsetCalculatorILi1EjESD_NS0_6memory15LoadWithoutCastENSE_16StoreWithoutCastEEEviT_T0_T2_T3_T4_T5_
; %bb.0:
	s_load_dword s0, s[4:5], 0x0
	s_load_dwordx2 s[2:3], s[4:5], 0x20
	s_lshl_b32 s10, s6, 10
	v_pk_mov_b32 v[6:7], 0, 0
	v_or_b32_e32 v2, s10, v0
	s_waitcnt lgkmcnt(0)
	s_sub_i32 s11, s0, s10
	v_cmp_gt_i32_e32 vcc, s11, v0
	v_pk_mov_b32 v[4:5], v[6:7], v[6:7] op_sel:[0,1]
	v_mov_b32_e32 v1, v0
	s_and_saveexec_b64 s[6:7], vcc
	s_cbranch_execz .LBB60_2
; %bb.1:
	v_mov_b32_e32 v3, 0
	v_lshlrev_b64 v[4:5], 3, v[2:3]
	v_mov_b32_e32 v1, s3
	v_add_co_u32_e64 v4, s[0:1], s2, v4
	v_addc_co_u32_e64 v5, s[0:1], v1, v5, s[0:1]
	global_load_dwordx2 v[4:5], v[4:5], off
	v_or_b32_e32 v1, 0x100, v0
.LBB60_2:
	s_or_b64 exec, exec, s[6:7]
	s_load_dwordx4 s[4:7], s[4:5], 0x10
	v_cmp_gt_i32_e64 s[0:1], s11, v1
	s_and_saveexec_b64 s[8:9], s[0:1]
	s_cbranch_execz .LBB60_4
; %bb.3:
	v_add_u32_e32 v6, s10, v1
	v_mov_b32_e32 v7, 0
	v_lshlrev_b64 v[6:7], 3, v[6:7]
	v_mov_b32_e32 v3, s3
	v_add_co_u32_e64 v6, s[0:1], s2, v6
	v_addc_co_u32_e64 v7, s[0:1], v3, v7, s[0:1]
	global_load_dwordx2 v[6:7], v[6:7], off
	v_add_u32_e32 v1, 0x100, v1
.LBB60_4:
	s_or_b64 exec, exec, s[8:9]
	v_pk_mov_b32 v[10:11], 0, 0
	v_cmp_gt_i32_e64 s[0:1], s11, v1
	v_pk_mov_b32 v[8:9], v[10:11], v[10:11] op_sel:[0,1]
	s_and_saveexec_b64 s[8:9], s[0:1]
	s_cbranch_execz .LBB60_6
; %bb.5:
	v_add_u32_e32 v8, s10, v1
	v_mov_b32_e32 v9, 0
	v_lshlrev_b64 v[8:9], 3, v[8:9]
	v_mov_b32_e32 v3, s3
	v_add_co_u32_e64 v8, s[0:1], s2, v8
	v_addc_co_u32_e64 v9, s[0:1], v3, v9, s[0:1]
	global_load_dwordx2 v[8:9], v[8:9], off
	v_add_u32_e32 v1, 0x100, v1
.LBB60_6:
	s_or_b64 exec, exec, s[8:9]
	v_cmp_gt_i32_e64 s[0:1], s11, v1
	s_and_saveexec_b64 s[8:9], s[0:1]
	s_cbranch_execz .LBB60_8
; %bb.7:
	v_add_u32_e32 v10, s10, v1
	v_mov_b32_e32 v11, 0
	v_lshlrev_b64 v[10:11], 3, v[10:11]
	v_mov_b32_e32 v1, s3
	v_add_co_u32_e64 v10, s[0:1], s2, v10
	v_addc_co_u32_e64 v11, s[0:1], v1, v11, s[0:1]
	global_load_dwordx2 v[10:11], v[10:11], off
.LBB60_8:
	s_or_b64 exec, exec, s[8:9]
	v_or_b32_e32 v1, 0x100, v0
	s_brev_b32 s2, -2
	s_waitcnt lgkmcnt(0)
	v_mov_b32_e32 v3, s5
	v_cmp_gt_i32_e64 s[0:1], s11, v1
	s_waitcnt vmcnt(0)
	v_bfi_b32 v5, s2, v5, v3
	v_bfi_b32 v7, s2, v7, v3
	v_cndmask_b32_e64 v12, v4, v6, s[0:1]
	v_or_b32_e32 v6, 0x200, v0
	v_cndmask_b32_e64 v13, v5, v7, s[0:1]
	v_bfi_b32 v7, s2, v9, v3
	v_cmp_gt_i32_e64 s[0:1], s11, v6
	v_or_b32_e32 v6, 0x300, v0
	v_cndmask_b32_e64 v9, v5, v7, s[0:1]
	v_cndmask_b32_e64 v8, v4, v8, s[0:1]
	v_bfi_b32 v3, s2, v11, v3
	v_cmp_gt_i32_e64 s[0:1], s11, v6
	v_cndmask_b32_e64 v7, v5, v3, s[0:1]
	v_cndmask_b32_e64 v6, v4, v10, s[0:1]
	s_and_saveexec_b64 s[0:1], vcc
	s_cbranch_execnz .LBB60_13
; %bb.9:
	s_or_b64 exec, exec, s[0:1]
	v_cmp_gt_i32_e32 vcc, s11, v0
	s_and_saveexec_b64 s[0:1], vcc
	s_cbranch_execnz .LBB60_14
.LBB60_10:
	s_or_b64 exec, exec, s[0:1]
	v_cmp_gt_i32_e32 vcc, s11, v0
	s_and_saveexec_b64 s[0:1], vcc
	s_cbranch_execnz .LBB60_15
.LBB60_11:
	s_or_b64 exec, exec, s[0:1]
	v_cmp_gt_i32_e32 vcc, s11, v0
	s_and_saveexec_b64 s[0:1], vcc
	s_cbranch_execnz .LBB60_16
.LBB60_12:
	s_endpgm
.LBB60_13:
	v_mov_b32_e32 v3, 0
	v_lshlrev_b64 v[2:3], 3, v[2:3]
	v_mov_b32_e32 v0, s7
	v_add_co_u32_e32 v2, vcc, s6, v2
	v_addc_co_u32_e32 v3, vcc, v0, v3, vcc
	v_mov_b32_e32 v0, v1
	global_store_dwordx2 v[2:3], v[4:5], off
	s_or_b64 exec, exec, s[0:1]
	v_cmp_gt_i32_e32 vcc, s11, v0
	s_and_saveexec_b64 s[0:1], vcc
	s_cbranch_execz .LBB60_10
.LBB60_14:
	v_add_u32_e32 v2, 0x100, v0
	v_add_u32_e32 v0, s10, v0
	v_mov_b32_e32 v1, 0
	v_lshlrev_b64 v[0:1], 3, v[0:1]
	v_mov_b32_e32 v3, s7
	v_add_co_u32_e32 v0, vcc, s6, v0
	v_addc_co_u32_e32 v1, vcc, v3, v1, vcc
	global_store_dwordx2 v[0:1], v[12:13], off
	v_mov_b32_e32 v0, v2
	s_or_b64 exec, exec, s[0:1]
	v_cmp_gt_i32_e32 vcc, s11, v0
	s_and_saveexec_b64 s[0:1], vcc
	s_cbranch_execz .LBB60_11
.LBB60_15:
	v_add_u32_e32 v2, 0x100, v0
	v_add_u32_e32 v0, s10, v0
	v_mov_b32_e32 v1, 0
	v_lshlrev_b64 v[0:1], 3, v[0:1]
	v_mov_b32_e32 v3, s7
	v_add_co_u32_e32 v0, vcc, s6, v0
	v_addc_co_u32_e32 v1, vcc, v3, v1, vcc
	global_store_dwordx2 v[0:1], v[8:9], off
	v_mov_b32_e32 v0, v2
	s_or_b64 exec, exec, s[0:1]
	v_cmp_gt_i32_e32 vcc, s11, v0
	s_and_saveexec_b64 s[0:1], vcc
	s_cbranch_execz .LBB60_12
.LBB60_16:
	v_add_u32_e32 v0, s10, v0
	v_mov_b32_e32 v1, 0
	v_lshlrev_b64 v[0:1], 3, v[0:1]
	v_mov_b32_e32 v2, s7
	v_add_co_u32_e32 v0, vcc, s6, v0
	v_addc_co_u32_e32 v1, vcc, v2, v1, vcc
	global_store_dwordx2 v[0:1], v[6:7], off
	s_endpgm
	.section	.rodata,"a",@progbits
	.p2align	6, 0x0
	.amdhsa_kernel _ZN2at6native27unrolled_elementwise_kernelINS0_13BUnaryFunctorIdddZZZNS0_20copysign_kernel_cudaERNS_18TensorIteratorBaseEENKUlvE_clEvENKUlvE_clEvEUlddE_EESt5arrayIPcLm2EELi4E23TrivialOffsetCalculatorILi1EjESD_NS0_6memory15LoadWithoutCastENSE_16StoreWithoutCastEEEviT_T0_T2_T3_T4_T5_
		.amdhsa_group_segment_fixed_size 0
		.amdhsa_private_segment_fixed_size 0
		.amdhsa_kernarg_size 44
		.amdhsa_user_sgpr_count 6
		.amdhsa_user_sgpr_private_segment_buffer 1
		.amdhsa_user_sgpr_dispatch_ptr 0
		.amdhsa_user_sgpr_queue_ptr 0
		.amdhsa_user_sgpr_kernarg_segment_ptr 1
		.amdhsa_user_sgpr_dispatch_id 0
		.amdhsa_user_sgpr_flat_scratch_init 0
		.amdhsa_user_sgpr_kernarg_preload_length 0
		.amdhsa_user_sgpr_kernarg_preload_offset 0
		.amdhsa_user_sgpr_private_segment_size 0
		.amdhsa_uses_dynamic_stack 0
		.amdhsa_system_sgpr_private_segment_wavefront_offset 0
		.amdhsa_system_sgpr_workgroup_id_x 1
		.amdhsa_system_sgpr_workgroup_id_y 0
		.amdhsa_system_sgpr_workgroup_id_z 0
		.amdhsa_system_sgpr_workgroup_info 0
		.amdhsa_system_vgpr_workitem_id 0
		.amdhsa_next_free_vgpr 14
		.amdhsa_next_free_sgpr 12
		.amdhsa_accum_offset 16
		.amdhsa_reserve_vcc 1
		.amdhsa_reserve_flat_scratch 0
		.amdhsa_float_round_mode_32 0
		.amdhsa_float_round_mode_16_64 0
		.amdhsa_float_denorm_mode_32 3
		.amdhsa_float_denorm_mode_16_64 3
		.amdhsa_dx10_clamp 1
		.amdhsa_ieee_mode 1
		.amdhsa_fp16_overflow 0
		.amdhsa_tg_split 0
		.amdhsa_exception_fp_ieee_invalid_op 0
		.amdhsa_exception_fp_denorm_src 0
		.amdhsa_exception_fp_ieee_div_zero 0
		.amdhsa_exception_fp_ieee_overflow 0
		.amdhsa_exception_fp_ieee_underflow 0
		.amdhsa_exception_fp_ieee_inexact 0
		.amdhsa_exception_int_div_zero 0
	.end_amdhsa_kernel
	.section	.text._ZN2at6native27unrolled_elementwise_kernelINS0_13BUnaryFunctorIdddZZZNS0_20copysign_kernel_cudaERNS_18TensorIteratorBaseEENKUlvE_clEvENKUlvE_clEvEUlddE_EESt5arrayIPcLm2EELi4E23TrivialOffsetCalculatorILi1EjESD_NS0_6memory15LoadWithoutCastENSE_16StoreWithoutCastEEEviT_T0_T2_T3_T4_T5_,"axG",@progbits,_ZN2at6native27unrolled_elementwise_kernelINS0_13BUnaryFunctorIdddZZZNS0_20copysign_kernel_cudaERNS_18TensorIteratorBaseEENKUlvE_clEvENKUlvE_clEvEUlddE_EESt5arrayIPcLm2EELi4E23TrivialOffsetCalculatorILi1EjESD_NS0_6memory15LoadWithoutCastENSE_16StoreWithoutCastEEEviT_T0_T2_T3_T4_T5_,comdat
.Lfunc_end60:
	.size	_ZN2at6native27unrolled_elementwise_kernelINS0_13BUnaryFunctorIdddZZZNS0_20copysign_kernel_cudaERNS_18TensorIteratorBaseEENKUlvE_clEvENKUlvE_clEvEUlddE_EESt5arrayIPcLm2EELi4E23TrivialOffsetCalculatorILi1EjESD_NS0_6memory15LoadWithoutCastENSE_16StoreWithoutCastEEEviT_T0_T2_T3_T4_T5_, .Lfunc_end60-_ZN2at6native27unrolled_elementwise_kernelINS0_13BUnaryFunctorIdddZZZNS0_20copysign_kernel_cudaERNS_18TensorIteratorBaseEENKUlvE_clEvENKUlvE_clEvEUlddE_EESt5arrayIPcLm2EELi4E23TrivialOffsetCalculatorILi1EjESD_NS0_6memory15LoadWithoutCastENSE_16StoreWithoutCastEEEviT_T0_T2_T3_T4_T5_
                                        ; -- End function
	.section	.AMDGPU.csdata,"",@progbits
; Kernel info:
; codeLenInByte = 772
; NumSgprs: 16
; NumVgprs: 14
; NumAgprs: 0
; TotalNumVgprs: 14
; ScratchSize: 0
; MemoryBound: 0
; FloatMode: 240
; IeeeMode: 1
; LDSByteSize: 0 bytes/workgroup (compile time only)
; SGPRBlocks: 1
; VGPRBlocks: 1
; NumSGPRsForWavesPerEU: 16
; NumVGPRsForWavesPerEU: 14
; AccumOffset: 16
; Occupancy: 8
; WaveLimiterHint : 0
; COMPUTE_PGM_RSRC2:SCRATCH_EN: 0
; COMPUTE_PGM_RSRC2:USER_SGPR: 6
; COMPUTE_PGM_RSRC2:TRAP_HANDLER: 0
; COMPUTE_PGM_RSRC2:TGID_X_EN: 1
; COMPUTE_PGM_RSRC2:TGID_Y_EN: 0
; COMPUTE_PGM_RSRC2:TGID_Z_EN: 0
; COMPUTE_PGM_RSRC2:TIDIG_COMP_CNT: 0
; COMPUTE_PGM_RSRC3_GFX90A:ACCUM_OFFSET: 3
; COMPUTE_PGM_RSRC3_GFX90A:TG_SPLIT: 0
	.section	.text._ZN2at6native32elementwise_kernel_manual_unrollILi128ELi4EZNS0_22gpu_kernel_impl_nocastINS0_13BUnaryFunctorIdddZZZNS0_20copysign_kernel_cudaERNS_18TensorIteratorBaseEENKUlvE_clEvENKUlvE_clEvEUlddE_EEEEvS5_RKT_EUlibE_EEviT1_,"axG",@progbits,_ZN2at6native32elementwise_kernel_manual_unrollILi128ELi4EZNS0_22gpu_kernel_impl_nocastINS0_13BUnaryFunctorIdddZZZNS0_20copysign_kernel_cudaERNS_18TensorIteratorBaseEENKUlvE_clEvENKUlvE_clEvEUlddE_EEEEvS5_RKT_EUlibE_EEviT1_,comdat
	.globl	_ZN2at6native32elementwise_kernel_manual_unrollILi128ELi4EZNS0_22gpu_kernel_impl_nocastINS0_13BUnaryFunctorIdddZZZNS0_20copysign_kernel_cudaERNS_18TensorIteratorBaseEENKUlvE_clEvENKUlvE_clEvEUlddE_EEEEvS5_RKT_EUlibE_EEviT1_ ; -- Begin function _ZN2at6native32elementwise_kernel_manual_unrollILi128ELi4EZNS0_22gpu_kernel_impl_nocastINS0_13BUnaryFunctorIdddZZZNS0_20copysign_kernel_cudaERNS_18TensorIteratorBaseEENKUlvE_clEvENKUlvE_clEvEUlddE_EEEEvS5_RKT_EUlibE_EEviT1_
	.p2align	8
	.type	_ZN2at6native32elementwise_kernel_manual_unrollILi128ELi4EZNS0_22gpu_kernel_impl_nocastINS0_13BUnaryFunctorIdddZZZNS0_20copysign_kernel_cudaERNS_18TensorIteratorBaseEENKUlvE_clEvENKUlvE_clEvEUlddE_EEEEvS5_RKT_EUlibE_EEviT1_,@function
_ZN2at6native32elementwise_kernel_manual_unrollILi128ELi4EZNS0_22gpu_kernel_impl_nocastINS0_13BUnaryFunctorIdddZZZNS0_20copysign_kernel_cudaERNS_18TensorIteratorBaseEENKUlvE_clEvENKUlvE_clEvEUlddE_EEEEvS5_RKT_EUlibE_EEviT1_: ; @_ZN2at6native32elementwise_kernel_manual_unrollILi128ELi4EZNS0_22gpu_kernel_impl_nocastINS0_13BUnaryFunctorIdddZZZNS0_20copysign_kernel_cudaERNS_18TensorIteratorBaseEENKUlvE_clEvENKUlvE_clEvEUlddE_EEEEvS5_RKT_EUlibE_EEviT1_
; %bb.0:
	s_load_dword s59, s[4:5], 0x0
	s_load_dword s33, s[4:5], 0x8
	s_or_b32 s4, s4, 8
	v_lshl_or_b32 v8, s6, 9, v0
	v_or_b32_e32 v15, 0x180, v8
	s_waitcnt lgkmcnt(0)
	v_cmp_le_i32_e32 vcc, s59, v15
	s_add_i32 s58, s33, -1
	s_cmp_gt_u32 s58, 1
	s_cselect_b64 s[6:7], -1, 0
	s_and_saveexec_b64 s[0:1], vcc
	s_xor_b64 s[34:35], exec, s[0:1]
	s_cbranch_execz .LBB61_8
; %bb.1:
	s_load_dwordx4 s[28:31], s[4:5], 0x4
	s_load_dwordx2 s[42:43], s[4:5], 0x14
	s_load_dwordx4 s[24:27], s[4:5], 0xc4
	s_load_dwordx4 s[0:3], s[4:5], 0x148
	s_load_dwordx2 s[40:41], s[4:5], 0x160
	s_cmp_lg_u32 s33, 0
	s_cselect_b64 s[48:49], -1, 0
	s_add_u32 s46, s4, 0xc4
	s_addc_u32 s47, s5, 0
	s_waitcnt lgkmcnt(0)
	s_min_u32 s40, s58, 15
	s_cmp_gt_u32 s33, 1
	s_cselect_b64 s[44:45], -1, 0
	v_cmp_gt_i32_e32 vcc, s59, v8
	s_and_saveexec_b64 s[50:51], vcc
	s_cbranch_execz .LBB61_16
; %bb.2:
	s_andn2_b64 vcc, exec, s[6:7]
	s_cbranch_vccnz .LBB61_24
; %bb.3:
	s_mov_b32 s52, 0
	s_andn2_b64 vcc, exec, s[48:49]
	v_mov_b32_e32 v2, 0
	v_mov_b32_e32 v0, 0
	s_cbranch_vccnz .LBB61_80
; %bb.4:
	s_add_i32 s60, s40, 1
	s_cmp_eq_u32 s58, 2
	s_cbranch_scc1 .LBB61_75
; %bb.5:
	s_and_b32 s52, s60, 28
	s_mov_b32 s53, 0
	v_mov_b32_e32 v0, 0
	s_mov_b64 s[54:55], s[4:5]
	s_mov_b64 s[56:57], s[46:47]
	v_mov_b32_e32 v3, v8
	v_mov_b32_e32 v2, 0
.LBB61_6:                               ; =>This Inner Loop Header: Depth=1
	s_load_dwordx8 s[16:23], s[54:55], 0x4
	s_load_dwordx4 s[36:39], s[54:55], 0x24
	s_load_dwordx8 s[8:15], s[56:57], 0x0
	s_add_u32 s54, s54, 48
	s_addc_u32 s55, s55, 0
	s_waitcnt lgkmcnt(0)
	v_mul_hi_u32 v1, s17, v3
	v_add_u32_e32 v1, v3, v1
	v_lshrrev_b32_e32 v1, s18, v1
	v_mul_lo_u32 v4, v1, s16
	v_mul_hi_u32 v5, s20, v1
	v_sub_u32_e32 v3, v3, v4
	v_add_u32_e32 v4, v1, v5
	v_lshrrev_b32_e32 v4, s21, v4
	v_mul_lo_u32 v6, v4, s19
	v_mul_hi_u32 v7, s23, v4
	v_sub_u32_e32 v1, v1, v6
	v_add_u32_e32 v6, v4, v7
	v_mul_lo_u32 v5, v3, s9
	v_mul_lo_u32 v3, v3, s8
	v_mul_lo_u32 v7, v1, s11
	v_mul_lo_u32 v1, v1, s10
	v_lshrrev_b32_e32 v6, s36, v6
	v_add3_u32 v0, v3, v0, v1
	v_mul_hi_u32 v3, s38, v6
	v_add_u32_e32 v3, v6, v3
	v_lshrrev_b32_e32 v3, s39, v3
	s_add_i32 s53, s53, 4
	v_add3_u32 v1, v5, v2, v7
	v_mul_lo_u32 v2, v6, s22
	v_mul_lo_u32 v5, v3, s37
	s_add_u32 s56, s56, 32
	v_sub_u32_e32 v2, v4, v2
	v_sub_u32_e32 v5, v6, v5
	s_addc_u32 s57, s57, 0
	v_mul_lo_u32 v4, v2, s12
	v_mul_lo_u32 v2, v2, s13
	;; [unrolled: 1-line block ×4, first 2 shown]
	s_cmp_lg_u32 s52, s53
	v_add3_u32 v2, v2, v1, v5
	v_add3_u32 v0, v4, v0, v6
	s_cbranch_scc1 .LBB61_6
; %bb.7:
	v_mov_b32_e32 v1, v2
	s_branch .LBB61_76
.LBB61_8:
	s_andn2_saveexec_b64 s[0:1], s[34:35]
	s_cbranch_execz .LBB61_103
.LBB61_9:
	v_cndmask_b32_e64 v0, 0, 1, s[6:7]
	v_cmp_ne_u32_e64 s[0:1], 1, v0
	s_andn2_b64 vcc, exec, s[6:7]
	s_cbranch_vccnz .LBB61_23
; %bb.10:
	s_mov_b32 s2, 0
	s_cmp_lg_u32 s33, 0
	v_mov_b32_e32 v2, 0
	v_mov_b32_e32 v0, 0
	s_cbranch_scc0 .LBB61_15
; %bb.11:
	s_min_u32 s30, s58, 15
	s_add_i32 s30, s30, 1
	s_cmp_eq_u32 s58, 2
	s_cbranch_scc1 .LBB61_26
; %bb.12:
	s_add_u32 s6, s4, 0xc4
	s_addc_u32 s7, s5, 0
	s_and_b32 s2, s30, 28
	s_mov_b32 s3, 0
	v_mov_b32_e32 v0, 0
	s_mov_b64 s[28:29], s[4:5]
	v_mov_b32_e32 v3, v8
	v_mov_b32_e32 v2, 0
.LBB61_13:                              ; =>This Inner Loop Header: Depth=1
	s_load_dwordx8 s[16:23], s[28:29], 0x4
	s_load_dwordx4 s[24:27], s[28:29], 0x24
	s_load_dwordx8 s[8:15], s[6:7], 0x0
	s_add_u32 s28, s28, 48
	s_addc_u32 s29, s29, 0
	s_waitcnt lgkmcnt(0)
	v_mul_hi_u32 v1, s17, v3
	v_add_u32_e32 v1, v3, v1
	v_lshrrev_b32_e32 v1, s18, v1
	v_mul_lo_u32 v4, v1, s16
	v_mul_hi_u32 v5, s20, v1
	v_sub_u32_e32 v3, v3, v4
	v_add_u32_e32 v4, v1, v5
	v_lshrrev_b32_e32 v4, s21, v4
	v_mul_lo_u32 v6, v4, s19
	v_mul_hi_u32 v7, s23, v4
	v_sub_u32_e32 v1, v1, v6
	v_add_u32_e32 v6, v4, v7
	v_mul_lo_u32 v5, v3, s9
	v_mul_lo_u32 v3, v3, s8
	;; [unrolled: 1-line block ×4, first 2 shown]
	v_lshrrev_b32_e32 v6, s24, v6
	v_add3_u32 v0, v3, v0, v1
	v_mul_hi_u32 v3, s26, v6
	v_add_u32_e32 v3, v6, v3
	v_lshrrev_b32_e32 v3, s27, v3
	s_add_i32 s3, s3, 4
	v_add3_u32 v1, v5, v2, v7
	v_mul_lo_u32 v2, v6, s22
	v_mul_lo_u32 v5, v3, s25
	s_add_u32 s6, s6, 32
	v_sub_u32_e32 v2, v4, v2
	v_sub_u32_e32 v5, v6, v5
	s_addc_u32 s7, s7, 0
	v_mul_lo_u32 v4, v2, s12
	v_mul_lo_u32 v2, v2, s13
	v_mul_lo_u32 v6, v5, s14
	v_mul_lo_u32 v5, v5, s15
	s_cmp_lg_u32 s2, s3
	v_add3_u32 v2, v2, v1, v5
	v_add3_u32 v0, v4, v0, v6
	s_cbranch_scc1 .LBB61_13
; %bb.14:
	v_mov_b32_e32 v1, v2
	s_and_b32 s8, s30, 3
	s_cmp_eq_u32 s8, 0
	s_cbranch_scc0 .LBB61_27
.LBB61_15:
	s_cbranch_execz .LBB61_30
	s_branch .LBB61_32
.LBB61_16:
	s_or_b64 exec, exec, s[50:51]
	v_cmp_gt_i32_e32 vcc, s59, v8
	s_and_saveexec_b64 s[50:51], vcc
	s_cbranch_execz .LBB61_84
.LBB61_17:
	s_andn2_b64 vcc, exec, s[6:7]
	s_cbranch_vccnz .LBB61_25
; %bb.18:
	s_mov_b32 s52, 0
	s_andn2_b64 vcc, exec, s[48:49]
	v_mov_b32_e32 v2, 0
	v_mov_b32_e32 v0, 0
	s_cbranch_vccnz .LBB61_97
; %bb.19:
	s_add_i32 s60, s40, 1
	s_cmp_eq_u32 s58, 2
	s_cbranch_scc1 .LBB61_92
; %bb.20:
	s_and_b32 s52, s60, 28
	s_mov_b32 s53, 0
	v_mov_b32_e32 v0, 0
	s_mov_b64 s[54:55], s[4:5]
	s_mov_b64 s[56:57], s[46:47]
	v_mov_b32_e32 v3, v8
	v_mov_b32_e32 v2, 0
.LBB61_21:                              ; =>This Inner Loop Header: Depth=1
	s_load_dwordx8 s[16:23], s[54:55], 0x4
	s_load_dwordx4 s[36:39], s[54:55], 0x24
	s_load_dwordx8 s[8:15], s[56:57], 0x0
	s_add_u32 s54, s54, 48
	s_addc_u32 s55, s55, 0
	s_waitcnt lgkmcnt(0)
	v_mul_hi_u32 v1, s17, v3
	v_add_u32_e32 v1, v3, v1
	v_lshrrev_b32_e32 v1, s18, v1
	v_mul_lo_u32 v4, v1, s16
	v_mul_hi_u32 v5, s20, v1
	v_sub_u32_e32 v3, v3, v4
	v_add_u32_e32 v4, v1, v5
	v_lshrrev_b32_e32 v4, s21, v4
	v_mul_lo_u32 v6, v4, s19
	v_mul_hi_u32 v7, s23, v4
	v_sub_u32_e32 v1, v1, v6
	v_add_u32_e32 v6, v4, v7
	v_mul_lo_u32 v5, v3, s9
	v_mul_lo_u32 v3, v3, s8
	v_mul_lo_u32 v7, v1, s11
	v_mul_lo_u32 v1, v1, s10
	v_lshrrev_b32_e32 v6, s36, v6
	v_add3_u32 v0, v3, v0, v1
	v_mul_hi_u32 v3, s38, v6
	v_add_u32_e32 v3, v6, v3
	v_lshrrev_b32_e32 v3, s39, v3
	s_add_i32 s53, s53, 4
	v_add3_u32 v1, v5, v2, v7
	v_mul_lo_u32 v2, v6, s22
	v_mul_lo_u32 v5, v3, s37
	s_add_u32 s56, s56, 32
	v_sub_u32_e32 v2, v4, v2
	v_sub_u32_e32 v5, v6, v5
	s_addc_u32 s57, s57, 0
	v_mul_lo_u32 v4, v2, s12
	v_mul_lo_u32 v2, v2, s13
	;; [unrolled: 1-line block ×4, first 2 shown]
	s_cmp_eq_u32 s52, s53
	v_add3_u32 v2, v2, v1, v5
	v_add3_u32 v0, v4, v0, v6
	s_cbranch_scc0 .LBB61_21
; %bb.22:
	v_mov_b32_e32 v1, v2
	s_branch .LBB61_93
.LBB61_23:
                                        ; implicit-def: $vgpr2
                                        ; implicit-def: $vgpr0
	s_branch .LBB61_30
.LBB61_24:
                                        ; implicit-def: $vgpr2
                                        ; implicit-def: $vgpr0
	s_branch .LBB61_81
.LBB61_25:
                                        ; implicit-def: $vgpr2
                                        ; implicit-def: $vgpr0
	s_branch .LBB61_98
.LBB61_26:
	s_mov_b32 s3, s2
	v_pk_mov_b32 v[0:1], s[2:3], s[2:3] op_sel:[0,1]
                                        ; implicit-def: $vgpr2
	v_mov_b32_e32 v3, v8
	s_and_b32 s8, s30, 3
	s_cmp_eq_u32 s8, 0
	s_cbranch_scc1 .LBB61_15
.LBB61_27:
	s_lshl_b32 s3, s2, 3
	s_add_u32 s3, s3, s4
	s_addc_u32 s7, 0, s5
	s_add_u32 s6, s3, 0xc4
	s_addc_u32 s7, s7, 0
	s_mul_i32 s2, s2, 12
	s_add_u32 s2, s4, s2
	s_addc_u32 s3, 0, s5
.LBB61_28:                              ; =>This Inner Loop Header: Depth=1
	s_load_dwordx2 s[10:11], s[2:3], 0x4
	s_load_dword s9, s[2:3], 0xc
	s_load_dwordx2 s[12:13], s[6:7], 0x0
	v_mov_b32_e32 v2, v1
	s_add_u32 s2, s2, 12
	s_waitcnt lgkmcnt(0)
	v_mul_hi_u32 v1, s11, v3
	v_add_u32_e32 v1, v3, v1
	v_lshrrev_b32_e32 v1, s9, v1
	s_addc_u32 s3, s3, 0
	v_mul_lo_u32 v4, v1, s10
	s_add_u32 s6, s6, 8
	v_sub_u32_e32 v6, v3, v4
	v_mov_b32_e32 v3, v1
	s_addc_u32 s7, s7, 0
	s_add_i32 s8, s8, -1
	v_mad_u64_u32 v[4:5], s[10:11], v6, s13, v[2:3]
	v_mad_u64_u32 v[0:1], s[10:11], v6, s12, v[0:1]
	s_cmp_lg_u32 s8, 0
	v_mov_b32_e32 v1, v4
	s_cbranch_scc1 .LBB61_28
; %bb.29:
	v_mov_b32_e32 v2, v1
	s_cbranch_execnz .LBB61_32
.LBB61_30:
	s_load_dwordx4 s[8:11], s[4:5], 0x4
	s_load_dwordx2 s[2:3], s[4:5], 0xc4
	s_cmp_lt_u32 s33, 2
	s_waitcnt lgkmcnt(0)
	v_mul_hi_u32 v0, s9, v8
	v_add_u32_e32 v0, v8, v0
	v_lshrrev_b32_e32 v1, s10, v0
	v_mul_lo_u32 v0, v1, s8
	v_sub_u32_e32 v0, v8, v0
	v_mul_lo_u32 v2, v0, s3
	v_mul_lo_u32 v0, v0, s2
	s_cbranch_scc1 .LBB61_32
; %bb.31:
	s_load_dwordx4 s[8:11], s[4:5], 0x10
	s_load_dwordx2 s[2:3], s[4:5], 0xcc
	s_waitcnt lgkmcnt(0)
	v_mul_hi_u32 v3, s9, v1
	v_add_u32_e32 v3, v1, v3
	v_lshrrev_b32_e32 v3, s10, v3
	v_mul_lo_u32 v3, v3, s8
	v_sub_u32_e32 v3, v1, v3
	v_mad_u64_u32 v[0:1], s[6:7], v3, s2, v[0:1]
	v_mad_u64_u32 v[2:3], s[2:3], v3, s3, v[2:3]
.LBB61_32:
	s_and_b64 vcc, exec, s[0:1]
	v_add_u32_e32 v1, 0x80, v8
	s_cbranch_vccnz .LBB61_39
; %bb.33:
	s_mov_b32 s2, 0
	s_cmp_lg_u32 s33, 0
	v_mov_b32_e32 v6, 0
	v_mov_b32_e32 v4, 0
	s_cbranch_scc0 .LBB61_38
; %bb.34:
	s_min_u32 s30, s58, 15
	s_add_i32 s30, s30, 1
	s_cmp_eq_u32 s58, 2
	s_cbranch_scc1 .LBB61_40
; %bb.35:
	s_add_u32 s6, s4, 0xc4
	s_addc_u32 s7, s5, 0
	s_and_b32 s2, s30, 28
	s_mov_b32 s3, 0
	v_mov_b32_e32 v4, 0
	s_mov_b64 s[28:29], s[4:5]
	v_mov_b32_e32 v3, v1
	v_mov_b32_e32 v6, 0
.LBB61_36:                              ; =>This Inner Loop Header: Depth=1
	s_load_dwordx8 s[16:23], s[28:29], 0x4
	s_load_dwordx4 s[24:27], s[28:29], 0x24
	s_load_dwordx8 s[8:15], s[6:7], 0x0
	s_add_u32 s28, s28, 48
	s_addc_u32 s29, s29, 0
	s_waitcnt lgkmcnt(0)
	v_mul_hi_u32 v5, s17, v3
	v_add_u32_e32 v5, v3, v5
	v_lshrrev_b32_e32 v5, s18, v5
	v_mul_lo_u32 v7, v5, s16
	v_mul_hi_u32 v9, s20, v5
	v_sub_u32_e32 v3, v3, v7
	v_add_u32_e32 v7, v5, v9
	v_lshrrev_b32_e32 v7, s21, v7
	v_mul_lo_u32 v10, v7, s19
	v_mul_hi_u32 v11, s23, v7
	v_sub_u32_e32 v5, v5, v10
	v_add_u32_e32 v10, v7, v11
	v_mul_lo_u32 v9, v3, s9
	v_mul_lo_u32 v3, v3, s8
	;; [unrolled: 1-line block ×4, first 2 shown]
	v_lshrrev_b32_e32 v10, s24, v10
	v_add3_u32 v4, v3, v4, v5
	v_add3_u32 v5, v9, v6, v11
	v_mul_lo_u32 v3, v10, s22
	v_mul_hi_u32 v6, s26, v10
	v_sub_u32_e32 v3, v7, v3
	v_add_u32_e32 v6, v10, v6
	v_mul_lo_u32 v7, v3, s12
	v_mul_lo_u32 v9, v3, s13
	v_lshrrev_b32_e32 v3, s27, v6
	s_add_i32 s3, s3, 4
	v_mul_lo_u32 v6, v3, s25
	s_add_u32 s6, s6, 32
	v_sub_u32_e32 v6, v10, v6
	s_addc_u32 s7, s7, 0
	v_mul_lo_u32 v10, v6, s14
	v_mul_lo_u32 v6, v6, s15
	s_cmp_lg_u32 s2, s3
	v_add3_u32 v6, v9, v5, v6
	v_add3_u32 v4, v7, v4, v10
	s_cbranch_scc1 .LBB61_36
; %bb.37:
	v_mov_b32_e32 v5, v6
	s_and_b32 s8, s30, 3
	s_cmp_eq_u32 s8, 0
	s_cbranch_scc0 .LBB61_41
.LBB61_38:
	s_cbranch_execz .LBB61_44
	s_branch .LBB61_46
.LBB61_39:
                                        ; implicit-def: $vgpr6
                                        ; implicit-def: $vgpr4
	s_branch .LBB61_44
.LBB61_40:
	s_mov_b32 s3, s2
	v_pk_mov_b32 v[4:5], s[2:3], s[2:3] op_sel:[0,1]
                                        ; implicit-def: $vgpr6
	v_mov_b32_e32 v3, v1
	s_and_b32 s8, s30, 3
	s_cmp_eq_u32 s8, 0
	s_cbranch_scc1 .LBB61_38
.LBB61_41:
	s_lshl_b32 s3, s2, 3
	s_add_u32 s3, s3, s4
	s_addc_u32 s7, 0, s5
	s_add_u32 s6, s3, 0xc4
	s_addc_u32 s7, s7, 0
	s_mul_i32 s2, s2, 12
	s_add_u32 s2, s4, s2
	s_addc_u32 s3, 0, s5
.LBB61_42:                              ; =>This Inner Loop Header: Depth=1
	s_load_dwordx2 s[10:11], s[2:3], 0x4
	s_load_dword s9, s[2:3], 0xc
	s_load_dwordx2 s[12:13], s[6:7], 0x0
	v_mov_b32_e32 v6, v5
	s_add_u32 s2, s2, 12
	s_waitcnt lgkmcnt(0)
	v_mul_hi_u32 v5, s11, v3
	v_add_u32_e32 v5, v3, v5
	v_lshrrev_b32_e32 v5, s9, v5
	s_addc_u32 s3, s3, 0
	v_mul_lo_u32 v7, v5, s10
	s_add_u32 s6, s6, 8
	v_sub_u32_e32 v9, v3, v7
	s_addc_u32 s7, s7, 0
	s_add_i32 s8, s8, -1
	v_mov_b32_e32 v3, v5
	v_mad_u64_u32 v[6:7], s[10:11], v9, s13, v[6:7]
	v_mad_u64_u32 v[4:5], s[10:11], v9, s12, v[4:5]
	s_cmp_lg_u32 s8, 0
	v_mov_b32_e32 v5, v6
	s_cbranch_scc1 .LBB61_42
; %bb.43:
	v_mov_b32_e32 v6, v5
	s_cbranch_execnz .LBB61_46
.LBB61_44:
	s_load_dwordx4 s[8:11], s[4:5], 0x4
	s_load_dwordx2 s[2:3], s[4:5], 0xc4
	s_cmp_lt_u32 s33, 2
	s_waitcnt lgkmcnt(0)
	v_mul_hi_u32 v3, s9, v1
	v_add_u32_e32 v3, v1, v3
	v_lshrrev_b32_e32 v3, s10, v3
	v_mul_lo_u32 v4, v3, s8
	v_sub_u32_e32 v1, v1, v4
	v_mul_lo_u32 v6, v1, s3
	v_mul_lo_u32 v4, v1, s2
	s_cbranch_scc1 .LBB61_46
; %bb.45:
	s_load_dwordx4 s[8:11], s[4:5], 0x10
	s_load_dwordx2 s[2:3], s[4:5], 0xcc
	s_waitcnt lgkmcnt(0)
	v_mul_hi_u32 v1, s9, v3
	v_add_u32_e32 v1, v3, v1
	v_lshrrev_b32_e32 v1, s10, v1
	v_mul_lo_u32 v1, v1, s8
	v_sub_u32_e32 v1, v3, v1
	v_mad_u64_u32 v[4:5], s[6:7], v1, s2, v[4:5]
	v_mad_u64_u32 v[6:7], s[2:3], v1, s3, v[6:7]
.LBB61_46:
	s_and_b64 vcc, exec, s[0:1]
	v_add_u32_e32 v1, 0x100, v8
	s_cbranch_vccnz .LBB61_53
; %bb.47:
	s_mov_b32 s2, 0
	s_cmp_lg_u32 s33, 0
	v_mov_b32_e32 v10, 0
	v_mov_b32_e32 v8, 0
	s_cbranch_scc0 .LBB61_52
; %bb.48:
	s_min_u32 s30, s58, 15
	s_add_i32 s30, s30, 1
	s_cmp_eq_u32 s58, 2
	s_cbranch_scc1 .LBB61_54
; %bb.49:
	s_add_u32 s6, s4, 0xc4
	s_addc_u32 s7, s5, 0
	s_and_b32 s2, s30, 28
	s_mov_b32 s3, 0
	v_mov_b32_e32 v8, 0
	s_mov_b64 s[28:29], s[4:5]
	v_mov_b32_e32 v3, v1
	v_mov_b32_e32 v10, 0
.LBB61_50:                              ; =>This Inner Loop Header: Depth=1
	s_load_dwordx8 s[16:23], s[28:29], 0x4
	s_load_dwordx4 s[24:27], s[28:29], 0x24
	s_load_dwordx8 s[8:15], s[6:7], 0x0
	s_add_u32 s28, s28, 48
	s_addc_u32 s29, s29, 0
	s_waitcnt lgkmcnt(0)
	v_mul_hi_u32 v5, s17, v3
	v_add_u32_e32 v5, v3, v5
	v_lshrrev_b32_e32 v5, s18, v5
	v_mul_lo_u32 v7, v5, s16
	v_mul_hi_u32 v9, s20, v5
	v_sub_u32_e32 v3, v3, v7
	v_add_u32_e32 v7, v5, v9
	v_lshrrev_b32_e32 v7, s21, v7
	v_mul_lo_u32 v11, v7, s19
	v_mul_hi_u32 v12, s23, v7
	v_sub_u32_e32 v5, v5, v11
	v_add_u32_e32 v11, v7, v12
	v_mul_lo_u32 v9, v3, s9
	v_mul_lo_u32 v3, v3, s8
	;; [unrolled: 1-line block ×4, first 2 shown]
	v_lshrrev_b32_e32 v11, s24, v11
	v_add3_u32 v5, v3, v8, v5
	v_add3_u32 v8, v9, v10, v12
	v_mul_lo_u32 v3, v11, s22
	v_mul_hi_u32 v9, s26, v11
	v_sub_u32_e32 v3, v7, v3
	v_add_u32_e32 v7, v11, v9
	v_mul_lo_u32 v9, v3, s12
	v_mul_lo_u32 v10, v3, s13
	v_lshrrev_b32_e32 v3, s27, v7
	s_add_i32 s3, s3, 4
	v_mul_lo_u32 v7, v3, s25
	s_add_u32 s6, s6, 32
	v_sub_u32_e32 v7, v11, v7
	s_addc_u32 s7, s7, 0
	v_mul_lo_u32 v11, v7, s14
	v_mul_lo_u32 v7, v7, s15
	s_cmp_lg_u32 s2, s3
	v_add3_u32 v10, v10, v8, v7
	v_add3_u32 v8, v9, v5, v11
	s_cbranch_scc1 .LBB61_50
; %bb.51:
	v_mov_b32_e32 v9, v10
	s_and_b32 s8, s30, 3
	s_cmp_eq_u32 s8, 0
	s_cbranch_scc0 .LBB61_55
.LBB61_52:
	s_cbranch_execz .LBB61_58
	s_branch .LBB61_60
.LBB61_53:
                                        ; implicit-def: $vgpr10
                                        ; implicit-def: $vgpr8
	s_branch .LBB61_58
.LBB61_54:
	s_mov_b32 s3, s2
	v_pk_mov_b32 v[8:9], s[2:3], s[2:3] op_sel:[0,1]
                                        ; implicit-def: $vgpr10
	v_mov_b32_e32 v3, v1
	s_and_b32 s8, s30, 3
	s_cmp_eq_u32 s8, 0
	s_cbranch_scc1 .LBB61_52
.LBB61_55:
	s_lshl_b32 s3, s2, 3
	s_add_u32 s3, s3, s4
	s_addc_u32 s7, 0, s5
	s_add_u32 s6, s3, 0xc4
	s_addc_u32 s7, s7, 0
	s_mul_i32 s2, s2, 12
	s_add_u32 s2, s4, s2
	s_addc_u32 s3, 0, s5
.LBB61_56:                              ; =>This Inner Loop Header: Depth=1
	s_load_dwordx2 s[10:11], s[2:3], 0x4
	s_load_dword s9, s[2:3], 0xc
	s_load_dwordx2 s[12:13], s[6:7], 0x0
	s_add_u32 s2, s2, 12
	s_addc_u32 s3, s3, 0
	s_waitcnt lgkmcnt(0)
	v_mul_hi_u32 v5, s11, v3
	v_add_u32_e32 v5, v3, v5
	v_lshrrev_b32_e32 v5, s9, v5
	v_mul_lo_u32 v7, v5, s10
	v_mov_b32_e32 v10, v9
	s_add_u32 s6, s6, 8
	v_sub_u32_e32 v7, v3, v7
	s_addc_u32 s7, s7, 0
	s_add_i32 s8, s8, -1
	v_mad_u64_u32 v[10:11], s[10:11], v7, s13, v[10:11]
	v_mad_u64_u32 v[8:9], s[10:11], v7, s12, v[8:9]
	s_cmp_lg_u32 s8, 0
	v_mov_b32_e32 v3, v5
	v_mov_b32_e32 v9, v10
	s_cbranch_scc1 .LBB61_56
; %bb.57:
	v_mov_b32_e32 v10, v9
	s_cbranch_execnz .LBB61_60
.LBB61_58:
	s_load_dwordx4 s[8:11], s[4:5], 0x4
	s_load_dwordx2 s[2:3], s[4:5], 0xc4
	s_cmp_lt_u32 s33, 2
	s_waitcnt lgkmcnt(0)
	v_mul_hi_u32 v3, s9, v1
	v_add_u32_e32 v3, v1, v3
	v_lshrrev_b32_e32 v3, s10, v3
	v_mul_lo_u32 v5, v3, s8
	v_sub_u32_e32 v1, v1, v5
	v_mul_lo_u32 v10, v1, s3
	v_mul_lo_u32 v8, v1, s2
	s_cbranch_scc1 .LBB61_60
; %bb.59:
	s_load_dwordx4 s[8:11], s[4:5], 0x10
	s_load_dwordx2 s[2:3], s[4:5], 0xcc
	s_waitcnt lgkmcnt(0)
	v_mul_hi_u32 v1, s9, v3
	v_add_u32_e32 v1, v3, v1
	v_lshrrev_b32_e32 v1, s10, v1
	v_mul_lo_u32 v1, v1, s8
	v_sub_u32_e32 v1, v3, v1
	v_mad_u64_u32 v[8:9], s[6:7], v1, s2, v[8:9]
	v_mad_u64_u32 v[10:11], s[2:3], v1, s3, v[10:11]
.LBB61_60:
	s_and_b64 vcc, exec, s[0:1]
	s_cbranch_vccnz .LBB61_67
; %bb.61:
	s_mov_b32 s6, 0
	s_cmp_lg_u32 s33, 0
	v_mov_b32_e32 v14, 0
	v_mov_b32_e32 v12, 0
	s_cbranch_scc0 .LBB61_66
; %bb.62:
	s_min_u32 s28, s58, 15
	s_add_i32 s28, s28, 1
	s_cmp_eq_u32 s58, 2
	s_cbranch_scc1 .LBB61_68
; %bb.63:
	s_add_u32 s24, s4, 0xc4
	s_addc_u32 s25, s5, 0
	s_and_b32 s6, s28, 28
	s_mov_b32 s7, 0
	v_mov_b32_e32 v12, 0
	s_mov_b64 s[26:27], s[4:5]
	v_mov_b32_e32 v1, v15
	v_mov_b32_e32 v14, 0
.LBB61_64:                              ; =>This Inner Loop Header: Depth=1
	s_load_dwordx8 s[16:23], s[26:27], 0x4
	s_load_dwordx4 s[0:3], s[26:27], 0x24
	s_load_dwordx8 s[8:15], s[24:25], 0x0
	s_add_u32 s26, s26, 48
	s_addc_u32 s27, s27, 0
	s_waitcnt lgkmcnt(0)
	v_mul_hi_u32 v3, s17, v1
	v_add_u32_e32 v3, v1, v3
	v_lshrrev_b32_e32 v3, s18, v3
	v_mul_lo_u32 v5, v3, s16
	v_mul_hi_u32 v7, s20, v3
	v_sub_u32_e32 v1, v1, v5
	v_add_u32_e32 v5, v3, v7
	v_lshrrev_b32_e32 v5, s21, v5
	v_mul_lo_u32 v9, v5, s19
	v_mul_hi_u32 v11, s23, v5
	v_sub_u32_e32 v3, v3, v9
	v_add_u32_e32 v9, v5, v11
	v_mul_lo_u32 v7, v1, s9
	v_mul_lo_u32 v1, v1, s8
	;; [unrolled: 1-line block ×4, first 2 shown]
	v_lshrrev_b32_e32 v9, s0, v9
	v_add3_u32 v3, v1, v12, v3
	v_add3_u32 v7, v7, v14, v11
	v_mul_lo_u32 v1, v9, s22
	v_mul_hi_u32 v11, s2, v9
	v_sub_u32_e32 v1, v5, v1
	v_add_u32_e32 v5, v9, v11
	v_mul_lo_u32 v11, v1, s12
	v_mul_lo_u32 v12, v1, s13
	v_lshrrev_b32_e32 v1, s3, v5
	s_add_i32 s7, s7, 4
	v_mul_lo_u32 v5, v1, s1
	s_add_u32 s24, s24, 32
	v_sub_u32_e32 v5, v9, v5
	s_addc_u32 s25, s25, 0
	v_mul_lo_u32 v9, v5, s14
	v_mul_lo_u32 v5, v5, s15
	s_cmp_lg_u32 s6, s7
	v_add3_u32 v14, v12, v7, v5
	v_add3_u32 v12, v11, v3, v9
	s_cbranch_scc1 .LBB61_64
; %bb.65:
	v_mov_b32_e32 v13, v14
	s_and_b32 s7, s28, 3
	s_cmp_eq_u32 s7, 0
	s_cbranch_scc0 .LBB61_69
.LBB61_66:
	s_cbranch_execz .LBB61_72
	s_branch .LBB61_74
.LBB61_67:
                                        ; implicit-def: $vgpr14
                                        ; implicit-def: $vgpr12
	s_branch .LBB61_72
.LBB61_68:
	s_mov_b32 s7, s6
	v_pk_mov_b32 v[12:13], s[6:7], s[6:7] op_sel:[0,1]
                                        ; implicit-def: $vgpr14
	v_mov_b32_e32 v1, v15
	s_and_b32 s7, s28, 3
	s_cmp_eq_u32 s7, 0
	s_cbranch_scc1 .LBB61_66
.LBB61_69:
	s_lshl_b32 s0, s6, 3
	s_add_u32 s0, s0, s4
	s_addc_u32 s1, 0, s5
	s_add_u32 s0, s0, 0xc4
	s_addc_u32 s1, s1, 0
	s_mul_i32 s2, s6, 12
	s_add_u32 s2, s4, s2
	s_addc_u32 s3, 0, s5
.LBB61_70:                              ; =>This Inner Loop Header: Depth=1
	s_load_dwordx2 s[8:9], s[2:3], 0x4
	s_load_dword s6, s[2:3], 0xc
	s_load_dwordx2 s[10:11], s[0:1], 0x0
	s_add_u32 s2, s2, 12
	s_addc_u32 s3, s3, 0
	s_waitcnt lgkmcnt(0)
	v_mul_hi_u32 v3, s9, v1
	v_add_u32_e32 v3, v1, v3
	v_lshrrev_b32_e32 v3, s6, v3
	v_mul_lo_u32 v5, v3, s8
	v_mov_b32_e32 v14, v13
	s_add_u32 s0, s0, 8
	v_sub_u32_e32 v5, v1, v5
	s_addc_u32 s1, s1, 0
	s_add_i32 s7, s7, -1
	v_mad_u64_u32 v[16:17], s[8:9], v5, s11, v[14:15]
	v_mad_u64_u32 v[12:13], s[8:9], v5, s10, v[12:13]
	s_cmp_lg_u32 s7, 0
	v_mov_b32_e32 v1, v3
	v_mov_b32_e32 v13, v16
	s_cbranch_scc1 .LBB61_70
; %bb.71:
	v_mov_b32_e32 v14, v13
	s_cbranch_execnz .LBB61_74
.LBB61_72:
	s_load_dwordx4 s[0:3], s[4:5], 0x4
	s_load_dwordx2 s[6:7], s[4:5], 0xc4
	s_cmp_lt_u32 s33, 2
	s_waitcnt lgkmcnt(0)
	v_mul_hi_u32 v1, s1, v15
	v_add_u32_e32 v1, v15, v1
	v_lshrrev_b32_e32 v1, s2, v1
	v_mul_lo_u32 v3, v1, s0
	v_sub_u32_e32 v3, v15, v3
	v_mul_lo_u32 v14, v3, s7
	v_mul_lo_u32 v12, v3, s6
	s_cbranch_scc1 .LBB61_74
; %bb.73:
	s_load_dwordx4 s[0:3], s[4:5], 0x10
	s_load_dwordx2 s[6:7], s[4:5], 0xcc
	s_waitcnt lgkmcnt(0)
	v_mul_hi_u32 v3, s1, v1
	v_add_u32_e32 v3, v1, v3
	v_lshrrev_b32_e32 v3, s2, v3
	v_mul_lo_u32 v3, v3, s0
	v_sub_u32_e32 v1, v1, v3
	v_mad_u64_u32 v[12:13], s[0:1], v1, s6, v[12:13]
	v_mad_u64_u32 v[14:15], s[0:1], v1, s7, v[14:15]
.LBB61_74:
	s_load_dwordx4 s[0:3], s[4:5], 0x148
	s_load_dwordx2 s[6:7], s[4:5], 0x160
	s_waitcnt lgkmcnt(0)
	global_load_dwordx2 v[16:17], v2, s[2:3]
	global_load_dwordx2 v[18:19], v6, s[2:3]
	;; [unrolled: 1-line block ×4, first 2 shown]
	s_brev_b32 s2, -2
	v_mov_b32_e32 v1, s7
	s_waitcnt vmcnt(3)
	v_bfi_b32 v17, s2, v17, v1
	s_waitcnt vmcnt(2)
	v_bfi_b32 v19, s2, v19, v1
	;; [unrolled: 2-line block ×4, first 2 shown]
	global_store_dwordx2 v0, v[16:17], s[0:1]
	global_store_dwordx2 v4, v[18:19], s[0:1]
	;; [unrolled: 1-line block ×4, first 2 shown]
	s_endpgm
.LBB61_75:
	s_mov_b32 s53, s52
	v_pk_mov_b32 v[0:1], s[52:53], s[52:53] op_sel:[0,1]
                                        ; implicit-def: $vgpr2
	v_mov_b32_e32 v3, v8
.LBB61_76:
	s_and_b32 s12, s60, 3
	s_cmp_eq_u32 s12, 0
	s_cbranch_scc1 .LBB61_80
; %bb.77:
	s_lshl_b32 s8, s52, 3
	s_add_u32 s8, s8, s4
	s_addc_u32 s9, s5, 0
	s_add_u32 s8, s8, 0xc4
	s_addc_u32 s9, s9, 0
	s_mul_i32 s10, s52, 12
	s_add_u32 s10, s4, s10
	s_addc_u32 s11, s5, 0
.LBB61_78:                              ; =>This Inner Loop Header: Depth=1
	s_load_dwordx2 s[14:15], s[10:11], 0x4
	s_load_dword s13, s[10:11], 0xc
	s_load_dwordx2 s[16:17], s[8:9], 0x0
	v_mov_b32_e32 v2, v1
	s_add_u32 s10, s10, 12
	s_waitcnt lgkmcnt(0)
	v_mul_hi_u32 v1, s15, v3
	v_add_u32_e32 v1, v3, v1
	v_lshrrev_b32_e32 v1, s13, v1
	s_addc_u32 s11, s11, 0
	v_mul_lo_u32 v4, v1, s14
	s_add_u32 s8, s8, 8
	v_sub_u32_e32 v6, v3, v4
	v_mov_b32_e32 v3, v1
	s_addc_u32 s9, s9, 0
	s_add_i32 s12, s12, -1
	v_mad_u64_u32 v[4:5], s[14:15], v6, s17, v[2:3]
	v_mad_u64_u32 v[0:1], s[14:15], v6, s16, v[0:1]
	s_cmp_lg_u32 s12, 0
	v_mov_b32_e32 v1, v4
	s_cbranch_scc1 .LBB61_78
; %bb.79:
	v_mov_b32_e32 v2, v1
.LBB61_80:
	s_cbranch_execnz .LBB61_83
.LBB61_81:
	v_mul_hi_u32 v0, s29, v8
	v_add_u32_e32 v0, v8, v0
	v_lshrrev_b32_e32 v1, s30, v0
	v_mul_lo_u32 v0, v1, s28
	v_sub_u32_e32 v0, v8, v0
	v_mul_lo_u32 v2, v0, s25
	s_andn2_b64 vcc, exec, s[44:45]
	v_mul_lo_u32 v0, v0, s24
	s_cbranch_vccnz .LBB61_83
; %bb.82:
	v_mul_hi_u32 v3, s42, v1
	v_add_u32_e32 v3, v1, v3
	v_lshrrev_b32_e32 v3, s43, v3
	v_mul_lo_u32 v3, v3, s31
	v_sub_u32_e32 v3, v1, v3
	v_mad_u64_u32 v[0:1], s[8:9], v3, s26, v[0:1]
	v_mad_u64_u32 v[2:3], s[8:9], v3, s27, v[2:3]
.LBB61_83:
	global_load_dwordx2 v[2:3], v2, s[2:3]
	s_brev_b32 s8, -2
	v_mov_b32_e32 v1, s41
	v_add_u32_e32 v8, 0x80, v8
	s_waitcnt vmcnt(0)
	v_bfi_b32 v3, s8, v3, v1
	global_store_dwordx2 v0, v[2:3], s[0:1]
	s_or_b64 exec, exec, s[50:51]
	v_cmp_gt_i32_e32 vcc, s59, v8
	s_and_saveexec_b64 s[50:51], vcc
	s_cbranch_execnz .LBB61_17
.LBB61_84:
	s_or_b64 exec, exec, s[50:51]
	v_cmp_gt_i32_e32 vcc, s59, v8
	s_and_saveexec_b64 s[50:51], vcc
	s_cbranch_execz .LBB61_101
.LBB61_85:
	s_andn2_b64 vcc, exec, s[6:7]
	s_cbranch_vccnz .LBB61_91
; %bb.86:
	s_mov_b32 s52, 0
	s_andn2_b64 vcc, exec, s[48:49]
	v_mov_b32_e32 v2, 0
	v_mov_b32_e32 v0, 0
	s_cbranch_vccnz .LBB61_109
; %bb.87:
	s_add_i32 s60, s40, 1
	s_cmp_eq_u32 s58, 2
	s_cbranch_scc1 .LBB61_104
; %bb.88:
	s_and_b32 s52, s60, 28
	s_mov_b32 s53, 0
	v_mov_b32_e32 v0, 0
	s_mov_b64 s[54:55], s[4:5]
	s_mov_b64 s[56:57], s[46:47]
	v_mov_b32_e32 v3, v8
	v_mov_b32_e32 v2, 0
.LBB61_89:                              ; =>This Inner Loop Header: Depth=1
	s_load_dwordx8 s[16:23], s[54:55], 0x4
	s_load_dwordx4 s[36:39], s[54:55], 0x24
	s_load_dwordx8 s[8:15], s[56:57], 0x0
	s_add_u32 s54, s54, 48
	s_addc_u32 s55, s55, 0
	s_waitcnt lgkmcnt(0)
	v_mul_hi_u32 v1, s17, v3
	v_add_u32_e32 v1, v3, v1
	v_lshrrev_b32_e32 v1, s18, v1
	v_mul_lo_u32 v4, v1, s16
	v_mul_hi_u32 v5, s20, v1
	v_sub_u32_e32 v3, v3, v4
	v_add_u32_e32 v4, v1, v5
	v_lshrrev_b32_e32 v4, s21, v4
	v_mul_lo_u32 v6, v4, s19
	v_mul_hi_u32 v7, s23, v4
	v_sub_u32_e32 v1, v1, v6
	v_add_u32_e32 v6, v4, v7
	v_mul_lo_u32 v5, v3, s9
	v_mul_lo_u32 v3, v3, s8
	;; [unrolled: 1-line block ×4, first 2 shown]
	v_lshrrev_b32_e32 v6, s36, v6
	v_add3_u32 v0, v3, v0, v1
	v_mul_hi_u32 v3, s38, v6
	v_add_u32_e32 v3, v6, v3
	v_lshrrev_b32_e32 v3, s39, v3
	s_add_i32 s53, s53, 4
	v_add3_u32 v1, v5, v2, v7
	v_mul_lo_u32 v2, v6, s22
	v_mul_lo_u32 v5, v3, s37
	s_add_u32 s56, s56, 32
	v_sub_u32_e32 v2, v4, v2
	v_sub_u32_e32 v5, v6, v5
	s_addc_u32 s57, s57, 0
	v_mul_lo_u32 v4, v2, s12
	v_mul_lo_u32 v2, v2, s13
	;; [unrolled: 1-line block ×4, first 2 shown]
	s_cmp_eq_u32 s52, s53
	v_add3_u32 v2, v2, v1, v5
	v_add3_u32 v0, v4, v0, v6
	s_cbranch_scc0 .LBB61_89
; %bb.90:
	v_mov_b32_e32 v1, v2
	s_branch .LBB61_105
.LBB61_91:
                                        ; implicit-def: $vgpr2
                                        ; implicit-def: $vgpr0
	s_branch .LBB61_110
.LBB61_92:
	s_mov_b32 s53, s52
	v_pk_mov_b32 v[0:1], s[52:53], s[52:53] op_sel:[0,1]
                                        ; implicit-def: $vgpr2
	v_mov_b32_e32 v3, v8
.LBB61_93:
	s_and_b32 s12, s60, 3
	s_cmp_eq_u32 s12, 0
	s_cbranch_scc1 .LBB61_97
; %bb.94:
	s_lshl_b32 s8, s52, 3
	s_add_u32 s8, s8, s4
	s_addc_u32 s9, s5, 0
	s_add_u32 s8, s8, 0xc4
	s_addc_u32 s9, s9, 0
	s_mul_i32 s10, s52, 12
	s_add_u32 s10, s4, s10
	s_addc_u32 s11, s5, 0
.LBB61_95:                              ; =>This Inner Loop Header: Depth=1
	s_load_dwordx2 s[14:15], s[10:11], 0x4
	s_load_dword s13, s[10:11], 0xc
	s_load_dwordx2 s[16:17], s[8:9], 0x0
	v_mov_b32_e32 v2, v1
	s_add_u32 s10, s10, 12
	s_waitcnt lgkmcnt(0)
	v_mul_hi_u32 v1, s15, v3
	v_add_u32_e32 v1, v3, v1
	v_lshrrev_b32_e32 v1, s13, v1
	s_addc_u32 s11, s11, 0
	v_mul_lo_u32 v4, v1, s14
	s_add_u32 s8, s8, 8
	v_sub_u32_e32 v6, v3, v4
	v_mov_b32_e32 v3, v1
	s_addc_u32 s9, s9, 0
	s_add_i32 s12, s12, -1
	v_mad_u64_u32 v[4:5], s[14:15], v6, s17, v[2:3]
	v_mad_u64_u32 v[0:1], s[14:15], v6, s16, v[0:1]
	s_cmp_lg_u32 s12, 0
	v_mov_b32_e32 v1, v4
	s_cbranch_scc1 .LBB61_95
; %bb.96:
	v_mov_b32_e32 v2, v1
.LBB61_97:
	s_cbranch_execnz .LBB61_100
.LBB61_98:
	v_mul_hi_u32 v0, s29, v8
	v_add_u32_e32 v0, v8, v0
	v_lshrrev_b32_e32 v1, s30, v0
	v_mul_lo_u32 v0, v1, s28
	v_sub_u32_e32 v0, v8, v0
	v_mul_lo_u32 v2, v0, s25
	s_andn2_b64 vcc, exec, s[44:45]
	v_mul_lo_u32 v0, v0, s24
	s_cbranch_vccnz .LBB61_100
; %bb.99:
	v_mul_hi_u32 v3, s42, v1
	v_add_u32_e32 v3, v1, v3
	v_lshrrev_b32_e32 v3, s43, v3
	v_mul_lo_u32 v3, v3, s31
	v_sub_u32_e32 v3, v1, v3
	v_mad_u64_u32 v[0:1], s[8:9], v3, s26, v[0:1]
	v_mad_u64_u32 v[2:3], s[8:9], v3, s27, v[2:3]
.LBB61_100:
	global_load_dwordx2 v[2:3], v2, s[2:3]
	s_brev_b32 s8, -2
	v_mov_b32_e32 v1, s41
	v_add_u32_e32 v8, 0x80, v8
	s_waitcnt vmcnt(0)
	v_bfi_b32 v3, s8, v3, v1
	global_store_dwordx2 v0, v[2:3], s[0:1]
	s_or_b64 exec, exec, s[50:51]
	v_cmp_gt_i32_e32 vcc, s59, v8
	s_and_saveexec_b64 s[50:51], vcc
	s_cbranch_execnz .LBB61_85
.LBB61_101:
	s_or_b64 exec, exec, s[50:51]
	v_cmp_gt_i32_e32 vcc, s59, v8
	s_and_saveexec_b64 s[50:51], vcc
	s_cbranch_execnz .LBB61_113
.LBB61_102:
	s_or_b64 exec, exec, s[50:51]
                                        ; implicit-def: $vgpr15
                                        ; implicit-def: $vgpr8
	s_andn2_saveexec_b64 s[0:1], s[34:35]
	s_cbranch_execnz .LBB61_9
.LBB61_103:
	s_endpgm
.LBB61_104:
	s_mov_b32 s53, s52
	v_pk_mov_b32 v[0:1], s[52:53], s[52:53] op_sel:[0,1]
                                        ; implicit-def: $vgpr2
	v_mov_b32_e32 v3, v8
.LBB61_105:
	s_and_b32 s12, s60, 3
	s_cmp_eq_u32 s12, 0
	s_cbranch_scc1 .LBB61_109
; %bb.106:
	s_lshl_b32 s8, s52, 3
	s_add_u32 s8, s8, s4
	s_addc_u32 s9, s5, 0
	s_add_u32 s8, s8, 0xc4
	s_addc_u32 s9, s9, 0
	s_mul_i32 s10, s52, 12
	s_add_u32 s10, s4, s10
	s_addc_u32 s11, s5, 0
.LBB61_107:                             ; =>This Inner Loop Header: Depth=1
	s_load_dwordx2 s[14:15], s[10:11], 0x4
	s_load_dword s13, s[10:11], 0xc
	s_load_dwordx2 s[16:17], s[8:9], 0x0
	v_mov_b32_e32 v2, v1
	s_add_u32 s10, s10, 12
	s_waitcnt lgkmcnt(0)
	v_mul_hi_u32 v1, s15, v3
	v_add_u32_e32 v1, v3, v1
	v_lshrrev_b32_e32 v1, s13, v1
	s_addc_u32 s11, s11, 0
	v_mul_lo_u32 v4, v1, s14
	s_add_u32 s8, s8, 8
	v_sub_u32_e32 v6, v3, v4
	v_mov_b32_e32 v3, v1
	s_addc_u32 s9, s9, 0
	s_add_i32 s12, s12, -1
	v_mad_u64_u32 v[4:5], s[14:15], v6, s17, v[2:3]
	v_mad_u64_u32 v[0:1], s[14:15], v6, s16, v[0:1]
	s_cmp_lg_u32 s12, 0
	v_mov_b32_e32 v1, v4
	s_cbranch_scc1 .LBB61_107
; %bb.108:
	v_mov_b32_e32 v2, v1
.LBB61_109:
	s_cbranch_execnz .LBB61_112
.LBB61_110:
	v_mul_hi_u32 v0, s29, v8
	v_add_u32_e32 v0, v8, v0
	v_lshrrev_b32_e32 v1, s30, v0
	v_mul_lo_u32 v0, v1, s28
	v_sub_u32_e32 v0, v8, v0
	v_mul_lo_u32 v2, v0, s25
	s_andn2_b64 vcc, exec, s[44:45]
	v_mul_lo_u32 v0, v0, s24
	s_cbranch_vccnz .LBB61_112
; %bb.111:
	v_mul_hi_u32 v3, s42, v1
	v_add_u32_e32 v3, v1, v3
	v_lshrrev_b32_e32 v3, s43, v3
	v_mul_lo_u32 v3, v3, s31
	v_sub_u32_e32 v3, v1, v3
	v_mad_u64_u32 v[0:1], s[8:9], v3, s26, v[0:1]
	v_mad_u64_u32 v[2:3], s[8:9], v3, s27, v[2:3]
.LBB61_112:
	global_load_dwordx2 v[2:3], v2, s[2:3]
	s_brev_b32 s8, -2
	v_mov_b32_e32 v1, s41
	v_add_u32_e32 v8, 0x80, v8
	s_waitcnt vmcnt(0)
	v_bfi_b32 v3, s8, v3, v1
	global_store_dwordx2 v0, v[2:3], s[0:1]
	s_or_b64 exec, exec, s[50:51]
	v_cmp_gt_i32_e32 vcc, s59, v8
	s_and_saveexec_b64 s[50:51], vcc
	s_cbranch_execz .LBB61_102
.LBB61_113:
	s_andn2_b64 vcc, exec, s[6:7]
	s_cbranch_vccnz .LBB61_119
; %bb.114:
	s_mov_b32 s52, 0
	s_andn2_b64 vcc, exec, s[48:49]
	v_mov_b32_e32 v2, 0
	v_mov_b32_e32 v0, 0
	s_cbranch_vccnz .LBB61_125
; %bb.115:
	s_add_i32 s40, s40, 1
	s_cmp_eq_u32 s58, 2
	s_cbranch_scc1 .LBB61_120
; %bb.116:
	s_and_b32 s52, s40, 28
	s_mov_b32 s53, 0
	v_mov_b32_e32 v0, 0
	s_mov_b64 s[48:49], s[4:5]
	v_mov_b32_e32 v3, v8
	v_mov_b32_e32 v2, 0
.LBB61_117:                             ; =>This Inner Loop Header: Depth=1
	s_load_dwordx8 s[16:23], s[48:49], 0x4
	s_load_dwordx4 s[36:39], s[48:49], 0x24
	s_load_dwordx8 s[8:15], s[46:47], 0x0
	s_add_u32 s48, s48, 48
	s_addc_u32 s49, s49, 0
	s_waitcnt lgkmcnt(0)
	v_mul_hi_u32 v1, s17, v3
	v_add_u32_e32 v1, v3, v1
	v_lshrrev_b32_e32 v1, s18, v1
	v_mul_lo_u32 v4, v1, s16
	v_mul_hi_u32 v5, s20, v1
	v_sub_u32_e32 v3, v3, v4
	v_add_u32_e32 v4, v1, v5
	v_lshrrev_b32_e32 v4, s21, v4
	v_mul_lo_u32 v6, v4, s19
	v_mul_hi_u32 v7, s23, v4
	v_sub_u32_e32 v1, v1, v6
	v_add_u32_e32 v6, v4, v7
	v_mul_lo_u32 v5, v3, s9
	v_mul_lo_u32 v3, v3, s8
	;; [unrolled: 1-line block ×4, first 2 shown]
	v_lshrrev_b32_e32 v6, s36, v6
	v_add3_u32 v0, v3, v0, v1
	v_mul_hi_u32 v3, s38, v6
	v_add_u32_e32 v3, v6, v3
	v_lshrrev_b32_e32 v3, s39, v3
	s_add_i32 s53, s53, 4
	v_add3_u32 v1, v5, v2, v7
	v_mul_lo_u32 v2, v6, s22
	v_mul_lo_u32 v5, v3, s37
	s_add_u32 s46, s46, 32
	v_sub_u32_e32 v2, v4, v2
	v_sub_u32_e32 v5, v6, v5
	s_addc_u32 s47, s47, 0
	v_mul_lo_u32 v4, v2, s12
	v_mul_lo_u32 v2, v2, s13
	;; [unrolled: 1-line block ×4, first 2 shown]
	s_cmp_eq_u32 s52, s53
	v_add3_u32 v2, v2, v1, v5
	v_add3_u32 v0, v4, v0, v6
	s_cbranch_scc0 .LBB61_117
; %bb.118:
	v_mov_b32_e32 v1, v2
	s_branch .LBB61_121
.LBB61_119:
                                        ; implicit-def: $vgpr2
                                        ; implicit-def: $vgpr0
	s_branch .LBB61_126
.LBB61_120:
	s_mov_b32 s53, s52
	v_pk_mov_b32 v[0:1], s[52:53], s[52:53] op_sel:[0,1]
                                        ; implicit-def: $vgpr2
	v_mov_b32_e32 v3, v8
.LBB61_121:
	s_and_b32 s12, s40, 3
	s_cmp_eq_u32 s12, 0
	s_cbranch_scc1 .LBB61_125
; %bb.122:
	s_lshl_b32 s8, s52, 3
	s_add_u32 s8, s8, s4
	s_addc_u32 s9, s5, 0
	s_add_u32 s8, s8, 0xc4
	s_addc_u32 s9, s9, 0
	s_mul_i32 s10, s52, 12
	s_add_u32 s10, s4, s10
	s_addc_u32 s11, s5, 0
.LBB61_123:                             ; =>This Inner Loop Header: Depth=1
	s_load_dwordx2 s[14:15], s[10:11], 0x4
	s_load_dword s13, s[10:11], 0xc
	s_load_dwordx2 s[16:17], s[8:9], 0x0
	v_mov_b32_e32 v2, v1
	s_add_u32 s10, s10, 12
	s_waitcnt lgkmcnt(0)
	v_mul_hi_u32 v1, s15, v3
	v_add_u32_e32 v1, v3, v1
	v_lshrrev_b32_e32 v1, s13, v1
	s_addc_u32 s11, s11, 0
	v_mul_lo_u32 v4, v1, s14
	s_add_u32 s8, s8, 8
	v_sub_u32_e32 v6, v3, v4
	v_mov_b32_e32 v3, v1
	s_addc_u32 s9, s9, 0
	s_add_i32 s12, s12, -1
	v_mad_u64_u32 v[4:5], s[14:15], v6, s17, v[2:3]
	v_mad_u64_u32 v[0:1], s[14:15], v6, s16, v[0:1]
	s_cmp_lg_u32 s12, 0
	v_mov_b32_e32 v1, v4
	s_cbranch_scc1 .LBB61_123
; %bb.124:
	v_mov_b32_e32 v2, v1
.LBB61_125:
	s_cbranch_execnz .LBB61_128
.LBB61_126:
	v_mul_hi_u32 v0, s29, v8
	v_add_u32_e32 v0, v8, v0
	v_lshrrev_b32_e32 v1, s30, v0
	v_mul_lo_u32 v0, v1, s28
	v_sub_u32_e32 v0, v8, v0
	v_mul_lo_u32 v2, v0, s25
	s_andn2_b64 vcc, exec, s[44:45]
	v_mul_lo_u32 v0, v0, s24
	s_cbranch_vccnz .LBB61_128
; %bb.127:
	v_mul_hi_u32 v3, s42, v1
	v_add_u32_e32 v3, v1, v3
	v_lshrrev_b32_e32 v3, s43, v3
	v_mul_lo_u32 v3, v3, s31
	v_sub_u32_e32 v3, v1, v3
	v_mad_u64_u32 v[0:1], s[8:9], v3, s26, v[0:1]
	v_mad_u64_u32 v[2:3], s[8:9], v3, s27, v[2:3]
.LBB61_128:
	global_load_dwordx2 v[2:3], v2, s[2:3]
	s_brev_b32 s2, -2
	v_mov_b32_e32 v1, s41
	s_waitcnt vmcnt(0)
	v_bfi_b32 v3, s2, v3, v1
	global_store_dwordx2 v0, v[2:3], s[0:1]
	s_or_b64 exec, exec, s[50:51]
                                        ; implicit-def: $vgpr15
                                        ; implicit-def: $vgpr8
	s_andn2_saveexec_b64 s[0:1], s[34:35]
	s_cbranch_execz .LBB61_103
	s_branch .LBB61_9
	.section	.rodata,"a",@progbits
	.p2align	6, 0x0
	.amdhsa_kernel _ZN2at6native32elementwise_kernel_manual_unrollILi128ELi4EZNS0_22gpu_kernel_impl_nocastINS0_13BUnaryFunctorIdddZZZNS0_20copysign_kernel_cudaERNS_18TensorIteratorBaseEENKUlvE_clEvENKUlvE_clEvEUlddE_EEEEvS5_RKT_EUlibE_EEviT1_
		.amdhsa_group_segment_fixed_size 0
		.amdhsa_private_segment_fixed_size 0
		.amdhsa_kernarg_size 368
		.amdhsa_user_sgpr_count 6
		.amdhsa_user_sgpr_private_segment_buffer 1
		.amdhsa_user_sgpr_dispatch_ptr 0
		.amdhsa_user_sgpr_queue_ptr 0
		.amdhsa_user_sgpr_kernarg_segment_ptr 1
		.amdhsa_user_sgpr_dispatch_id 0
		.amdhsa_user_sgpr_flat_scratch_init 0
		.amdhsa_user_sgpr_kernarg_preload_length 0
		.amdhsa_user_sgpr_kernarg_preload_offset 0
		.amdhsa_user_sgpr_private_segment_size 0
		.amdhsa_uses_dynamic_stack 0
		.amdhsa_system_sgpr_private_segment_wavefront_offset 0
		.amdhsa_system_sgpr_workgroup_id_x 1
		.amdhsa_system_sgpr_workgroup_id_y 0
		.amdhsa_system_sgpr_workgroup_id_z 0
		.amdhsa_system_sgpr_workgroup_info 0
		.amdhsa_system_vgpr_workitem_id 0
		.amdhsa_next_free_vgpr 24
		.amdhsa_next_free_sgpr 61
		.amdhsa_accum_offset 24
		.amdhsa_reserve_vcc 1
		.amdhsa_reserve_flat_scratch 0
		.amdhsa_float_round_mode_32 0
		.amdhsa_float_round_mode_16_64 0
		.amdhsa_float_denorm_mode_32 3
		.amdhsa_float_denorm_mode_16_64 3
		.amdhsa_dx10_clamp 1
		.amdhsa_ieee_mode 1
		.amdhsa_fp16_overflow 0
		.amdhsa_tg_split 0
		.amdhsa_exception_fp_ieee_invalid_op 0
		.amdhsa_exception_fp_denorm_src 0
		.amdhsa_exception_fp_ieee_div_zero 0
		.amdhsa_exception_fp_ieee_overflow 0
		.amdhsa_exception_fp_ieee_underflow 0
		.amdhsa_exception_fp_ieee_inexact 0
		.amdhsa_exception_int_div_zero 0
	.end_amdhsa_kernel
	.section	.text._ZN2at6native32elementwise_kernel_manual_unrollILi128ELi4EZNS0_22gpu_kernel_impl_nocastINS0_13BUnaryFunctorIdddZZZNS0_20copysign_kernel_cudaERNS_18TensorIteratorBaseEENKUlvE_clEvENKUlvE_clEvEUlddE_EEEEvS5_RKT_EUlibE_EEviT1_,"axG",@progbits,_ZN2at6native32elementwise_kernel_manual_unrollILi128ELi4EZNS0_22gpu_kernel_impl_nocastINS0_13BUnaryFunctorIdddZZZNS0_20copysign_kernel_cudaERNS_18TensorIteratorBaseEENKUlvE_clEvENKUlvE_clEvEUlddE_EEEEvS5_RKT_EUlibE_EEviT1_,comdat
.Lfunc_end61:
	.size	_ZN2at6native32elementwise_kernel_manual_unrollILi128ELi4EZNS0_22gpu_kernel_impl_nocastINS0_13BUnaryFunctorIdddZZZNS0_20copysign_kernel_cudaERNS_18TensorIteratorBaseEENKUlvE_clEvENKUlvE_clEvEUlddE_EEEEvS5_RKT_EUlibE_EEviT1_, .Lfunc_end61-_ZN2at6native32elementwise_kernel_manual_unrollILi128ELi4EZNS0_22gpu_kernel_impl_nocastINS0_13BUnaryFunctorIdddZZZNS0_20copysign_kernel_cudaERNS_18TensorIteratorBaseEENKUlvE_clEvENKUlvE_clEvEUlddE_EEEEvS5_RKT_EUlibE_EEviT1_
                                        ; -- End function
	.section	.AMDGPU.csdata,"",@progbits
; Kernel info:
; codeLenInByte = 5896
; NumSgprs: 65
; NumVgprs: 24
; NumAgprs: 0
; TotalNumVgprs: 24
; ScratchSize: 0
; MemoryBound: 0
; FloatMode: 240
; IeeeMode: 1
; LDSByteSize: 0 bytes/workgroup (compile time only)
; SGPRBlocks: 8
; VGPRBlocks: 2
; NumSGPRsForWavesPerEU: 65
; NumVGPRsForWavesPerEU: 24
; AccumOffset: 24
; Occupancy: 8
; WaveLimiterHint : 1
; COMPUTE_PGM_RSRC2:SCRATCH_EN: 0
; COMPUTE_PGM_RSRC2:USER_SGPR: 6
; COMPUTE_PGM_RSRC2:TRAP_HANDLER: 0
; COMPUTE_PGM_RSRC2:TGID_X_EN: 1
; COMPUTE_PGM_RSRC2:TGID_Y_EN: 0
; COMPUTE_PGM_RSRC2:TGID_Z_EN: 0
; COMPUTE_PGM_RSRC2:TIDIG_COMP_CNT: 0
; COMPUTE_PGM_RSRC3_GFX90A:ACCUM_OFFSET: 5
; COMPUTE_PGM_RSRC3_GFX90A:TG_SPLIT: 0
	.section	.text._ZN2at6native32elementwise_kernel_manual_unrollILi128ELi4EZNS0_15gpu_kernel_implINS0_13BUnaryFunctorIdddZZZNS0_20copysign_kernel_cudaERNS_18TensorIteratorBaseEENKUlvE_clEvENKUlvE_clEvEUlddE_EEEEvS5_RKT_EUlibE_EEviT1_,"axG",@progbits,_ZN2at6native32elementwise_kernel_manual_unrollILi128ELi4EZNS0_15gpu_kernel_implINS0_13BUnaryFunctorIdddZZZNS0_20copysign_kernel_cudaERNS_18TensorIteratorBaseEENKUlvE_clEvENKUlvE_clEvEUlddE_EEEEvS5_RKT_EUlibE_EEviT1_,comdat
	.globl	_ZN2at6native32elementwise_kernel_manual_unrollILi128ELi4EZNS0_15gpu_kernel_implINS0_13BUnaryFunctorIdddZZZNS0_20copysign_kernel_cudaERNS_18TensorIteratorBaseEENKUlvE_clEvENKUlvE_clEvEUlddE_EEEEvS5_RKT_EUlibE_EEviT1_ ; -- Begin function _ZN2at6native32elementwise_kernel_manual_unrollILi128ELi4EZNS0_15gpu_kernel_implINS0_13BUnaryFunctorIdddZZZNS0_20copysign_kernel_cudaERNS_18TensorIteratorBaseEENKUlvE_clEvENKUlvE_clEvEUlddE_EEEEvS5_RKT_EUlibE_EEviT1_
	.p2align	8
	.type	_ZN2at6native32elementwise_kernel_manual_unrollILi128ELi4EZNS0_15gpu_kernel_implINS0_13BUnaryFunctorIdddZZZNS0_20copysign_kernel_cudaERNS_18TensorIteratorBaseEENKUlvE_clEvENKUlvE_clEvEUlddE_EEEEvS5_RKT_EUlibE_EEviT1_,@function
_ZN2at6native32elementwise_kernel_manual_unrollILi128ELi4EZNS0_15gpu_kernel_implINS0_13BUnaryFunctorIdddZZZNS0_20copysign_kernel_cudaERNS_18TensorIteratorBaseEENKUlvE_clEvENKUlvE_clEvEUlddE_EEEEvS5_RKT_EUlibE_EEviT1_: ; @_ZN2at6native32elementwise_kernel_manual_unrollILi128ELi4EZNS0_15gpu_kernel_implINS0_13BUnaryFunctorIdddZZZNS0_20copysign_kernel_cudaERNS_18TensorIteratorBaseEENKUlvE_clEvENKUlvE_clEvEUlddE_EEEEvS5_RKT_EUlibE_EEviT1_
; %bb.0:
	s_load_dword s33, s[4:5], 0x30
	s_load_dwordx2 s[12:13], s[4:5], 0x18
	s_load_dwordx2 s[2:3], s[4:5], 0x28
	s_waitcnt lgkmcnt(0)
	s_load_dword s2, s[4:5], 0x0
	s_load_dwordx4 s[8:11], s[4:5], 0x8
	v_lshl_or_b32 v8, s6, 9, v0
	v_or_b32_e32 v0, 0x180, v8
	v_lshrrev_b16_e64 v9, 8, s33
	s_waitcnt lgkmcnt(0)
	v_cmp_le_i32_e32 vcc, s2, v0
	s_mov_b64 s[4:5], 0
	s_mov_b64 s[14:15], 0
	s_and_saveexec_b64 s[0:1], vcc
	s_xor_b64 s[6:7], exec, s[0:1]
	s_cbranch_execz .LBB62_1027
; %bb.1:
	v_cmp_gt_i32_e32 vcc, s2, v8
	s_mov_b64 s[20:21], -1
	s_mov_b64 s[22:23], 0
	s_mov_b64 s[16:17], 0
	s_and_saveexec_b64 s[18:19], vcc
	s_cbranch_execz .LBB62_252
; %bb.2:
	v_mul_lo_u32 v0, v8, s13
	v_ashrrev_i32_e32 v1, 31, v0
	v_mov_b32_e32 v3, s11
	v_add_co_u32_e32 v2, vcc, s10, v0
	v_addc_co_u32_e32 v3, vcc, v3, v1, vcc
	v_cmp_gt_i16_e32 vcc, 11, v9
	s_cbranch_vccnz .LBB62_9
; %bb.3:
	v_cmp_lt_i16_e32 vcc, 25, v9
	s_cbranch_vccz .LBB62_18
; %bb.4:
	v_cmp_lt_i16_e32 vcc, 28, v9
	s_cbranch_vccz .LBB62_22
	;; [unrolled: 3-line block ×4, first 2 shown]
; %bb.7:
	v_cmp_eq_u16_e32 vcc, 46, v9
	s_cbranch_vccz .LBB62_28
; %bb.8:
	global_load_dword v0, v[2:3], off
	s_mov_b64 s[0:1], -1
	s_waitcnt vmcnt(0)
	v_lshlrev_b32_e32 v0, 16, v0
	v_cvt_f64_f32_e32 v[0:1], v0
	s_branch .LBB62_30
.LBB62_9:
                                        ; implicit-def: $vgpr0_vgpr1
	s_mov_b64 s[0:1], 0
	s_cbranch_execnz .LBB62_203
.LBB62_10:
	s_andn2_b64 vcc, exec, s[0:1]
	s_cbranch_vccnz .LBB62_250
.LBB62_11:
	s_brev_b32 s0, -2
	v_mov_b32_e32 v2, s3
	s_waitcnt vmcnt(0)
	v_bfi_b32 v1, s0, v1, v2
	v_mul_lo_u32 v2, v8, s12
	v_ashrrev_i32_e32 v3, 31, v2
	v_mov_b32_e32 v5, s9
	v_add_co_u32_e32 v4, vcc, s8, v2
	v_mov_b32_e32 v2, 11
	v_addc_co_u32_e32 v5, vcc, v5, v3, vcc
	v_cmp_lt_i16_sdwa s[0:1], s33, v2 src0_sel:BYTE_0 src1_sel:DWORD
	s_and_b64 vcc, exec, s[0:1]
	s_cbranch_vccnz .LBB62_19
; %bb.12:
	v_mov_b32_e32 v2, 25
	v_cmp_gt_i16_sdwa s[0:1], s33, v2 src0_sel:BYTE_0 src1_sel:DWORD
	s_and_b64 vcc, exec, s[0:1]
	s_cbranch_vccz .LBB62_23
; %bb.13:
	v_mov_b32_e32 v2, 28
	v_cmp_gt_i16_sdwa s[0:1], s33, v2 src0_sel:BYTE_0 src1_sel:DWORD
	s_and_b64 vcc, exec, s[0:1]
	s_cbranch_vccz .LBB62_25
	;; [unrolled: 5-line block ×4, first 2 shown]
; %bb.16:
	v_mov_b32_e32 v2, 46
	v_cmp_eq_u16_sdwa s[14:15], s33, v2 src0_sel:BYTE_0 src1_sel:DWORD
	s_mov_b64 s[20:21], 0
	s_mov_b64 s[0:1], -1
	s_and_b64 vcc, exec, s[14:15]
	s_mov_b64 s[14:15], 0
	s_cbranch_vccz .LBB62_34
; %bb.17:
	v_cvt_f32_f64_e32 v2, v[0:1]
	v_bfe_u32 v3, v2, 16, 1
	s_movk_i32 s0, 0x7fff
	v_add3_u32 v3, v2, v3, s0
	v_lshrrev_b32_e32 v3, 16, v3
	v_mov_b32_e32 v6, 0x7fc0
	v_cmp_o_f32_e32 vcc, v2, v2
	v_cndmask_b32_e32 v2, v6, v3, vcc
	global_store_dword v[4:5], v2, off
	s_mov_b64 s[14:15], -1
	s_mov_b64 s[0:1], 0
	s_branch .LBB62_34
.LBB62_18:
	s_mov_b64 s[0:1], 0
                                        ; implicit-def: $vgpr0_vgpr1
	s_cbranch_execnz .LBB62_168
	s_branch .LBB62_202
.LBB62_19:
	s_mov_b64 s[0:1], 0
	s_mov_b64 s[14:15], 0
	s_cbranch_execnz .LBB62_103
.LBB62_20:
	s_andn2_b64 vcc, exec, s[14:15]
	s_cbranch_vccnz .LBB62_141
.LBB62_21:
	v_add_u32_e32 v8, 0x80, v8
	s_mov_b64 s[20:21], -1
	s_branch .LBB62_251
.LBB62_22:
	s_mov_b64 s[14:15], -1
	s_mov_b64 s[0:1], 0
                                        ; implicit-def: $vgpr0_vgpr1
	s_branch .LBB62_149
.LBB62_23:
	s_mov_b64 s[20:21], -1
	s_mov_b64 s[0:1], 0
	s_mov_b64 s[14:15], 0
	s_branch .LBB62_61
.LBB62_24:
	s_mov_b64 s[14:15], -1
	s_mov_b64 s[0:1], 0
                                        ; implicit-def: $vgpr0_vgpr1
	s_branch .LBB62_144
.LBB62_25:
	s_mov_b64 s[20:21], -1
	s_mov_b64 s[0:1], 0
	s_mov_b64 s[14:15], 0
	s_branch .LBB62_44
.LBB62_26:
	s_mov_b64 s[14:15], -1
	s_branch .LBB62_29
.LBB62_27:
	s_mov_b64 s[20:21], -1
	s_mov_b64 s[0:1], 0
	s_mov_b64 s[14:15], 0
	s_branch .LBB62_40
.LBB62_28:
	s_mov_b64 s[16:17], -1
.LBB62_29:
	s_mov_b64 s[0:1], 0
                                        ; implicit-def: $vgpr0_vgpr1
.LBB62_30:
	s_and_b64 vcc, exec, s[14:15]
	s_cbranch_vccz .LBB62_143
; %bb.31:
	v_cmp_eq_u16_e32 vcc, 44, v9
	s_cbranch_vccz .LBB62_142
; %bb.32:
	global_load_ubyte v4, v[2:3], off
	s_movk_i32 s14, 0xff
	v_bfrev_b32_e32 v5, 4
	v_mov_b32_e32 v6, 0x7ff80000
	v_bfrev_b32_e32 v7, 28
	s_mov_b64 s[0:1], -1
	s_mov_b64 s[16:17], 0
	s_waitcnt vmcnt(0)
	v_lshlrev_b32_e32 v0, 23, v4
	v_cvt_f64_f32_e32 v[0:1], v0
	v_cmp_ne_u32_e32 vcc, s14, v4
	v_cndmask_b32_e32 v0, v5, v0, vcc
	v_cndmask_b32_e32 v1, v6, v1, vcc
	v_cmp_ne_u32_e32 vcc, 0, v4
	v_cndmask_b32_e32 v1, v7, v1, vcc
	v_cndmask_b32_e32 v0, 0, v0, vcc
	s_branch .LBB62_143
.LBB62_33:
	s_mov_b64 s[20:21], -1
	s_mov_b64 s[0:1], 0
	s_mov_b64 s[14:15], 0
.LBB62_34:
	s_and_b64 vcc, exec, s[20:21]
	s_cbranch_vccz .LBB62_39
; %bb.35:
	v_mov_b32_e32 v2, 44
	v_cmp_eq_u16_sdwa s[20:21], s33, v2 src0_sel:BYTE_0 src1_sel:DWORD
	s_mov_b64 s[0:1], -1
	s_and_b64 vcc, exec, s[20:21]
	s_cbranch_vccz .LBB62_39
; %bb.36:
	v_cvt_f32_f64_e32 v2, v[0:1]
	v_bfe_u32 v3, v2, 23, 8
	s_movk_i32 s0, 0xff
	v_cmp_ne_u32_e32 vcc, s0, v3
	v_mov_b32_e32 v6, 0xff
	s_and_saveexec_b64 s[14:15], vcc
; %bb.37:
	s_mov_b32 s0, 0x3fffff
	v_lshrrev_b32_e32 v6, 23, v2
	v_and_b32_e32 v7, 0x400000, v2
	v_and_or_b32 v2, v2, s0, v3
	v_cmp_ne_u32_e32 vcc, 0, v7
	v_cmp_ne_u32_e64 s[0:1], 0, v2
	s_and_b64 s[0:1], vcc, s[0:1]
	v_cndmask_b32_e64 v2, 0, 1, s[0:1]
	v_add_u32_e32 v6, v6, v2
; %bb.38:
	s_or_b64 exec, exec, s[14:15]
	s_mov_b64 s[14:15], -1
	s_mov_b64 s[0:1], 0
	global_store_byte v[4:5], v6, off
.LBB62_39:
	s_mov_b64 s[20:21], 0
.LBB62_40:
	s_and_b64 vcc, exec, s[20:21]
	s_cbranch_vccz .LBB62_43
; %bb.41:
	v_mov_b32_e32 v2, 29
	v_cmp_eq_u16_sdwa s[20:21], s33, v2 src0_sel:BYTE_0 src1_sel:DWORD
	s_mov_b64 s[0:1], -1
	s_and_b64 vcc, exec, s[20:21]
	s_cbranch_vccz .LBB62_43
; %bb.42:
	v_trunc_f64_e32 v[2:3], v[0:1]
	s_movk_i32 s0, 0xffe0
	v_ldexp_f64 v[6:7], v[2:3], s0
	v_floor_f64_e32 v[6:7], v[6:7]
	v_fmac_f64_e32 v[2:3], 0xc1f00000, v[6:7]
	v_cvt_u32_f64_e32 v11, v[6:7]
	v_cvt_u32_f64_e32 v10, v[2:3]
	global_store_dwordx2 v[4:5], v[10:11], off
	s_mov_b64 s[14:15], -1
	s_mov_b64 s[0:1], 0
.LBB62_43:
	s_mov_b64 s[20:21], 0
.LBB62_44:
	s_and_b64 vcc, exec, s[20:21]
	s_cbranch_vccz .LBB62_60
; %bb.45:
	v_mov_b32_e32 v2, 27
	v_cmp_lt_i16_sdwa s[20:21], s33, v2 src0_sel:BYTE_0 src1_sel:DWORD
	s_mov_b64 s[14:15], -1
	s_and_b64 vcc, exec, s[20:21]
	s_cbranch_vccnz .LBB62_51
; %bb.46:
	v_cmp_gt_i16_sdwa s[20:21], s33, v2 src0_sel:BYTE_0 src1_sel:DWORD
	s_and_b64 vcc, exec, s[20:21]
	v_cvt_u32_f64_e32 v2, v[0:1]
	s_cbranch_vccz .LBB62_48
; %bb.47:
	s_mov_b64 s[14:15], 0
	global_store_dword v[4:5], v2, off
.LBB62_48:
	s_andn2_b64 vcc, exec, s[14:15]
	s_cbranch_vccnz .LBB62_50
; %bb.49:
	global_store_short v[4:5], v2, off
.LBB62_50:
	s_mov_b64 s[14:15], 0
.LBB62_51:
	s_andn2_b64 vcc, exec, s[14:15]
	s_cbranch_vccnz .LBB62_59
; %bb.52:
	v_cvt_f32_f64_e32 v2, v[0:1]
	v_and_b32_e32 v3, 0x7fffffff, v2
	s_mov_b32 s14, 0x43800000
	v_cmp_gt_u32_e32 vcc, s14, v3
	v_mov_b32_e32 v6, 0x80
	s_and_saveexec_b64 s[14:15], vcc
	s_cbranch_execz .LBB62_58
; %bb.53:
	s_mov_b32 s20, 0x3bffffff
	v_cmp_lt_u32_e32 vcc, s20, v3
	s_mov_b64 s[20:21], 0
                                        ; implicit-def: $vgpr3
	s_and_saveexec_b64 s[24:25], vcc
	s_xor_b64 s[24:25], exec, s[24:25]
	s_cbranch_execz .LBB62_279
; %bb.54:
	v_bfe_u32 v3, v2, 20, 1
	s_mov_b32 s26, 0x487ffff
	v_add3_u32 v3, v2, v3, s26
	s_mov_b64 s[20:21], exec
	v_lshrrev_b32_e32 v3, 20, v3
	s_or_saveexec_b64 s[24:25], s[24:25]
                                        ; implicit-def: $sgpr26
	s_xor_b64 exec, exec, s[24:25]
	s_cbranch_execnz .LBB62_280
.LBB62_55:
	s_or_b64 exec, exec, s[24:25]
	v_mov_b32_e32 v6, s26
	s_and_saveexec_b64 s[24:25], s[20:21]
.LBB62_56:
	v_lshrrev_b32_e32 v2, 24, v2
	s_movk_i32 s20, 0x80
	v_and_or_b32 v6, v2, s20, v3
.LBB62_57:
	s_or_b64 exec, exec, s[24:25]
.LBB62_58:
	s_or_b64 exec, exec, s[14:15]
	global_store_byte v[4:5], v6, off
.LBB62_59:
	s_mov_b64 s[14:15], -1
.LBB62_60:
	s_mov_b64 s[20:21], 0
.LBB62_61:
	s_and_b64 vcc, exec, s[20:21]
	s_cbranch_vccz .LBB62_102
; %bb.62:
	v_mov_b32_e32 v2, 22
	v_cmp_gt_i16_sdwa s[24:25], s33, v2 src0_sel:BYTE_0 src1_sel:DWORD
	s_mov_b64 s[20:21], -1
	s_and_b64 vcc, exec, s[24:25]
	s_cbranch_vccz .LBB62_94
; %bb.63:
	v_mov_b32_e32 v2, 24
	v_cmp_lt_i16_sdwa s[20:21], s33, v2 src0_sel:BYTE_0 src1_sel:DWORD
	s_mov_b64 s[14:15], -1
	s_and_b64 vcc, exec, s[20:21]
	s_cbranch_vccnz .LBB62_83
; %bb.64:
	v_cmp_gt_i16_sdwa s[20:21], s33, v2 src0_sel:BYTE_0 src1_sel:DWORD
	s_and_b64 vcc, exec, s[20:21]
	s_cbranch_vccz .LBB62_72
; %bb.65:
	v_cvt_f32_f64_e32 v2, v[0:1]
	v_and_b32_e32 v3, 0x7fffffff, v2
	s_mov_b32 s14, 0x47800000
	v_cmp_gt_u32_e32 vcc, s14, v3
	v_mov_b32_e32 v6, 0x80
	s_and_saveexec_b64 s[14:15], vcc
	s_cbranch_execz .LBB62_71
; %bb.66:
	s_mov_b32 s20, 0x37ffffff
	v_cmp_lt_u32_e32 vcc, s20, v3
	s_mov_b64 s[20:21], 0
                                        ; implicit-def: $vgpr3
	s_and_saveexec_b64 s[24:25], vcc
	s_xor_b64 s[24:25], exec, s[24:25]
	s_cbranch_execz .LBB62_283
; %bb.67:
	v_bfe_u32 v3, v2, 21, 1
	s_mov_b32 s26, 0x88fffff
	v_add3_u32 v3, v2, v3, s26
	s_mov_b64 s[20:21], exec
	v_lshrrev_b32_e32 v3, 21, v3
	s_or_saveexec_b64 s[24:25], s[24:25]
                                        ; implicit-def: $sgpr26
	s_xor_b64 exec, exec, s[24:25]
	s_cbranch_execnz .LBB62_284
.LBB62_68:
	s_or_b64 exec, exec, s[24:25]
	v_mov_b32_e32 v6, s26
	s_and_saveexec_b64 s[24:25], s[20:21]
.LBB62_69:
	v_lshrrev_b32_e32 v2, 24, v2
	s_movk_i32 s20, 0x80
	v_and_or_b32 v6, v2, s20, v3
.LBB62_70:
	s_or_b64 exec, exec, s[24:25]
.LBB62_71:
	s_or_b64 exec, exec, s[14:15]
	s_mov_b64 s[14:15], 0
	global_store_byte v[4:5], v6, off
.LBB62_72:
	s_and_b64 vcc, exec, s[14:15]
	s_cbranch_vccz .LBB62_82
; %bb.73:
	v_cvt_f32_f64_e32 v2, v[0:1]
	v_and_b32_e32 v6, 0x7fffffff, v2
	s_mov_b32 s14, 0x43f00000
	v_cmp_gt_u32_e32 vcc, s14, v6
                                        ; implicit-def: $vgpr3
	s_and_saveexec_b64 s[14:15], vcc
	s_xor_b64 s[14:15], exec, s[14:15]
	s_cbranch_execz .LBB62_79
; %bb.74:
	s_mov_b32 s20, 0x3c7fffff
	v_cmp_lt_u32_e32 vcc, s20, v6
                                        ; implicit-def: $vgpr3
	s_and_saveexec_b64 s[20:21], vcc
	s_xor_b64 s[20:21], exec, s[20:21]
; %bb.75:
	v_bfe_u32 v3, v2, 20, 1
	s_mov_b32 s24, 0x407ffff
	v_add3_u32 v3, v2, v3, s24
	v_lshrrev_b32_e32 v6, 20, v3
	v_and_b32_e32 v3, 0xff00000, v3
	s_mov_b32 s24, 0x7f00000
	v_mov_b32_e32 v7, 0x7e
	v_cmp_ne_u32_e32 vcc, s24, v3
	v_cndmask_b32_e32 v3, v7, v6, vcc
; %bb.76:
	s_andn2_saveexec_b64 s[20:21], s[20:21]
; %bb.77:
	s_mov_b32 s24, 0x46800000
	v_add_f32_e64 v3, |v2|, s24
; %bb.78:
	s_or_b64 exec, exec, s[20:21]
                                        ; implicit-def: $vgpr6
.LBB62_79:
	s_andn2_saveexec_b64 s[14:15], s[14:15]
; %bb.80:
	s_mov_b32 s20, 0x7f800000
	v_mov_b32_e32 v3, 0x7e
	v_mov_b32_e32 v7, 0x7f
	v_cmp_lt_u32_e32 vcc, s20, v6
	v_cndmask_b32_e32 v3, v3, v7, vcc
; %bb.81:
	s_or_b64 exec, exec, s[14:15]
	v_lshrrev_b32_e32 v2, 24, v2
	s_movk_i32 s14, 0x80
	v_and_or_b32 v2, v2, s14, v3
	global_store_byte v[4:5], v2, off
.LBB62_82:
	s_mov_b64 s[14:15], 0
.LBB62_83:
	s_andn2_b64 vcc, exec, s[14:15]
	s_cbranch_vccnz .LBB62_93
; %bb.84:
	v_cvt_f32_f64_e32 v2, v[0:1]
	v_and_b32_e32 v6, 0x7fffffff, v2
	s_mov_b32 s14, 0x47800000
	v_cmp_gt_u32_e32 vcc, s14, v6
                                        ; implicit-def: $vgpr3
	s_and_saveexec_b64 s[14:15], vcc
	s_xor_b64 s[14:15], exec, s[14:15]
	s_cbranch_execz .LBB62_90
; %bb.85:
	s_mov_b32 s20, 0x387fffff
	v_cmp_lt_u32_e32 vcc, s20, v6
                                        ; implicit-def: $vgpr3
	s_and_saveexec_b64 s[20:21], vcc
	s_xor_b64 s[20:21], exec, s[20:21]
; %bb.86:
	v_bfe_u32 v3, v2, 21, 1
	s_mov_b32 s24, 0x80fffff
	v_add3_u32 v3, v2, v3, s24
	v_lshrrev_b32_e32 v3, 21, v3
; %bb.87:
	s_andn2_saveexec_b64 s[20:21], s[20:21]
; %bb.88:
	s_mov_b32 s24, 0x43000000
	v_add_f32_e64 v3, |v2|, s24
; %bb.89:
	s_or_b64 exec, exec, s[20:21]
                                        ; implicit-def: $vgpr6
.LBB62_90:
	s_andn2_saveexec_b64 s[14:15], s[14:15]
; %bb.91:
	s_mov_b32 s20, 0x7f800000
	v_mov_b32_e32 v3, 0x7c
	v_mov_b32_e32 v7, 0x7f
	v_cmp_lt_u32_e32 vcc, s20, v6
	v_cndmask_b32_e32 v3, v3, v7, vcc
; %bb.92:
	s_or_b64 exec, exec, s[14:15]
	v_lshrrev_b32_e32 v2, 24, v2
	s_movk_i32 s14, 0x80
	v_and_or_b32 v2, v2, s14, v3
	global_store_byte v[4:5], v2, off
.LBB62_93:
	s_mov_b64 s[20:21], 0
	s_mov_b64 s[14:15], -1
.LBB62_94:
	s_andn2_b64 vcc, exec, s[20:21]
	s_cbranch_vccnz .LBB62_102
; %bb.95:
	v_mov_b32_e32 v2, 14
	v_cmp_gt_i16_sdwa s[24:25], s33, v2 src0_sel:BYTE_0 src1_sel:DWORD
	s_mov_b64 s[20:21], -1
	s_and_b64 vcc, exec, s[24:25]
	s_cbranch_vccz .LBB62_99
; %bb.96:
	v_mov_b32_e32 v2, 15
	v_cmp_eq_u16_sdwa s[20:21], s33, v2 src0_sel:BYTE_0 src1_sel:DWORD
	s_mov_b64 s[0:1], -1
	s_and_b64 vcc, exec, s[20:21]
	s_cbranch_vccz .LBB62_98
; %bb.97:
	v_cvt_f32_f64_e32 v2, v[0:1]
	v_bfe_u32 v3, v2, 16, 1
	s_movk_i32 s0, 0x7fff
	v_add3_u32 v3, v2, v3, s0
	v_lshrrev_b32_e32 v3, 16, v3
	v_mov_b32_e32 v6, 0x7fc0
	v_cmp_o_f32_e32 vcc, v2, v2
	v_cndmask_b32_e32 v2, v6, v3, vcc
	global_store_short v[4:5], v2, off
	s_mov_b64 s[14:15], -1
	s_mov_b64 s[0:1], 0
.LBB62_98:
	s_mov_b64 s[20:21], 0
.LBB62_99:
	s_and_b64 vcc, exec, s[20:21]
	s_cbranch_vccz .LBB62_102
; %bb.100:
	v_mov_b32_e32 v2, 11
	v_cmp_eq_u16_sdwa s[20:21], s33, v2 src0_sel:BYTE_0 src1_sel:DWORD
	s_mov_b64 s[0:1], -1
	s_and_b64 vcc, exec, s[20:21]
	s_cbranch_vccz .LBB62_102
; %bb.101:
	v_cmp_neq_f64_e32 vcc, 0, v[0:1]
	s_mov_b64 s[0:1], 0
	v_cndmask_b32_e64 v2, 0, 1, vcc
	s_mov_b64 s[14:15], -1
	global_store_byte v[4:5], v2, off
.LBB62_102:
	s_branch .LBB62_20
.LBB62_103:
	v_mov_b32_e32 v2, 5
	v_cmp_lt_i16_sdwa s[20:21], s33, v2 src0_sel:BYTE_0 src1_sel:DWORD
	s_mov_b64 s[14:15], -1
	s_and_b64 vcc, exec, s[20:21]
	s_cbranch_vccnz .LBB62_124
; %bb.104:
	v_mov_b32_e32 v2, 8
	v_cmp_lt_i16_sdwa s[20:21], s33, v2 src0_sel:BYTE_0 src1_sel:DWORD
	s_and_b64 vcc, exec, s[20:21]
	s_cbranch_vccnz .LBB62_114
; %bb.105:
	v_mov_b32_e32 v2, 9
	v_cmp_lt_i16_sdwa s[20:21], s33, v2 src0_sel:BYTE_0 src1_sel:DWORD
	s_and_b64 vcc, exec, s[20:21]
	s_cbranch_vccnz .LBB62_111
; %bb.106:
	v_cmp_gt_i16_sdwa s[20:21], s33, v2 src0_sel:BYTE_0 src1_sel:DWORD
	s_and_b64 vcc, exec, s[20:21]
	s_cbranch_vccz .LBB62_108
; %bb.107:
	v_mov_b32_e32 v2, 0
	v_mov_b32_e32 v3, v2
	global_store_dwordx4 v[4:5], v[0:3], off
	s_mov_b64 s[14:15], 0
.LBB62_108:
	s_andn2_b64 vcc, exec, s[14:15]
	s_cbranch_vccnz .LBB62_110
; %bb.109:
	v_cvt_f32_f64_e32 v2, v[0:1]
	v_mov_b32_e32 v3, 0
	global_store_dwordx2 v[4:5], v[2:3], off
.LBB62_110:
	s_mov_b64 s[14:15], 0
.LBB62_111:
	s_andn2_b64 vcc, exec, s[14:15]
	s_cbranch_vccnz .LBB62_113
; %bb.112:
	v_cvt_f32_f64_e32 v2, v[0:1]
	v_cvt_f16_f32_e32 v2, v2
	global_store_dword v[4:5], v2, off
.LBB62_113:
	s_mov_b64 s[14:15], 0
.LBB62_114:
	s_andn2_b64 vcc, exec, s[14:15]
	s_cbranch_vccnz .LBB62_123
; %bb.115:
	v_mov_b32_e32 v2, 6
	v_cmp_lt_i16_sdwa s[20:21], s33, v2 src0_sel:BYTE_0 src1_sel:DWORD
	s_mov_b64 s[14:15], -1
	s_and_b64 vcc, exec, s[20:21]
	s_cbranch_vccnz .LBB62_121
; %bb.116:
	v_cmp_gt_i16_sdwa s[20:21], s33, v2 src0_sel:BYTE_0 src1_sel:DWORD
	s_and_b64 vcc, exec, s[20:21]
	s_cbranch_vccz .LBB62_118
; %bb.117:
	global_store_dwordx2 v[4:5], v[0:1], off
	s_mov_b64 s[14:15], 0
.LBB62_118:
	s_andn2_b64 vcc, exec, s[14:15]
	s_cbranch_vccnz .LBB62_120
; %bb.119:
	v_cvt_f32_f64_e32 v2, v[0:1]
	global_store_dword v[4:5], v2, off
.LBB62_120:
	s_mov_b64 s[14:15], 0
.LBB62_121:
	s_andn2_b64 vcc, exec, s[14:15]
	s_cbranch_vccnz .LBB62_123
; %bb.122:
	v_cvt_f32_f64_e32 v2, v[0:1]
	v_cvt_f16_f32_e32 v2, v2
	global_store_short v[4:5], v2, off
.LBB62_123:
	s_mov_b64 s[14:15], 0
.LBB62_124:
	s_andn2_b64 vcc, exec, s[14:15]
	s_cbranch_vccnz .LBB62_140
; %bb.125:
	v_mov_b32_e32 v2, 2
	v_cmp_lt_i16_sdwa s[20:21], s33, v2 src0_sel:BYTE_0 src1_sel:DWORD
	s_mov_b64 s[14:15], -1
	s_and_b64 vcc, exec, s[20:21]
	s_cbranch_vccnz .LBB62_135
; %bb.126:
	v_mov_b32_e32 v2, 3
	v_cmp_lt_i16_sdwa s[20:21], s33, v2 src0_sel:BYTE_0 src1_sel:DWORD
	s_and_b64 vcc, exec, s[20:21]
	s_cbranch_vccnz .LBB62_132
; %bb.127:
	v_cmp_gt_i16_sdwa s[20:21], s33, v2 src0_sel:BYTE_0 src1_sel:DWORD
	s_and_b64 vcc, exec, s[20:21]
	s_cbranch_vccz .LBB62_129
; %bb.128:
	v_trunc_f64_e32 v[2:3], v[0:1]
	s_movk_i32 s14, 0xffe0
	v_ldexp_f64 v[6:7], v[2:3], s14
	v_floor_f64_e32 v[6:7], v[6:7]
	v_fmac_f64_e32 v[2:3], 0xc1f00000, v[6:7]
	v_cvt_i32_f64_e32 v11, v[6:7]
	v_cvt_u32_f64_e32 v10, v[2:3]
	global_store_dwordx2 v[4:5], v[10:11], off
	s_mov_b64 s[14:15], 0
.LBB62_129:
	s_andn2_b64 vcc, exec, s[14:15]
	s_cbranch_vccnz .LBB62_131
; %bb.130:
	v_cvt_i32_f64_e32 v2, v[0:1]
	global_store_dword v[4:5], v2, off
.LBB62_131:
	s_mov_b64 s[14:15], 0
.LBB62_132:
	s_andn2_b64 vcc, exec, s[14:15]
	s_cbranch_vccnz .LBB62_134
; %bb.133:
	v_cvt_i32_f64_e32 v2, v[0:1]
	global_store_short v[4:5], v2, off
.LBB62_134:
	s_mov_b64 s[14:15], 0
.LBB62_135:
	s_andn2_b64 vcc, exec, s[14:15]
	s_cbranch_vccnz .LBB62_140
; %bb.136:
	v_mov_b32_e32 v2, 0
	v_cmp_gt_i16_sdwa s[20:21], s33, v2 src0_sel:BYTE_0 src1_sel:DWORD
	s_mov_b64 s[14:15], -1
	s_and_b64 vcc, exec, s[20:21]
	s_cbranch_vccz .LBB62_138
; %bb.137:
	v_cvt_i32_f64_e32 v2, v[0:1]
	global_store_byte v[4:5], v2, off
	s_mov_b64 s[14:15], 0
.LBB62_138:
	s_andn2_b64 vcc, exec, s[14:15]
	s_cbranch_vccnz .LBB62_140
; %bb.139:
	v_trunc_f64_e32 v[0:1], v[0:1]
	s_movk_i32 s14, 0xffe0
	v_ldexp_f64 v[2:3], v[0:1], s14
	v_floor_f64_e32 v[2:3], v[2:3]
	v_fmac_f64_e32 v[0:1], 0xc1f00000, v[2:3]
	v_cvt_u32_f64_e32 v0, v[0:1]
	global_store_byte v[4:5], v0, off
.LBB62_140:
	s_branch .LBB62_21
.LBB62_141:
	s_mov_b64 s[20:21], 0
                                        ; implicit-def: $vgpr8
	s_branch .LBB62_251
.LBB62_142:
	s_mov_b64 s[16:17], -1
                                        ; implicit-def: $vgpr0_vgpr1
.LBB62_143:
	s_mov_b64 s[14:15], 0
.LBB62_144:
	s_and_b64 vcc, exec, s[14:15]
	s_cbranch_vccz .LBB62_148
; %bb.145:
	v_cmp_eq_u16_e32 vcc, 29, v9
	s_cbranch_vccz .LBB62_147
; %bb.146:
	global_load_dwordx2 v[0:1], v[2:3], off
	s_mov_b64 s[0:1], -1
	s_mov_b64 s[16:17], 0
	s_mov_b64 s[14:15], 0
	s_waitcnt vmcnt(0)
	v_cvt_f64_u32_e32 v[4:5], v1
	v_cvt_f64_u32_e32 v[0:1], v0
	v_ldexp_f64 v[4:5], v[4:5], 32
	v_add_f64 v[0:1], v[4:5], v[0:1]
	s_branch .LBB62_149
.LBB62_147:
	s_mov_b64 s[16:17], -1
                                        ; implicit-def: $vgpr0_vgpr1
.LBB62_148:
	s_mov_b64 s[14:15], 0
.LBB62_149:
	s_and_b64 vcc, exec, s[14:15]
	s_cbranch_vccz .LBB62_167
; %bb.150:
	v_cmp_gt_i16_e32 vcc, 27, v9
	s_cbranch_vccnz .LBB62_153
; %bb.151:
	v_cmp_lt_i16_e32 vcc, 27, v9
	s_cbranch_vccz .LBB62_154
; %bb.152:
	global_load_dword v0, v[2:3], off
	s_mov_b64 s[0:1], 0
	s_waitcnt vmcnt(0)
	v_cvt_f64_u32_e32 v[0:1], v0
	s_branch .LBB62_155
.LBB62_153:
	s_mov_b64 s[0:1], -1
                                        ; implicit-def: $vgpr0_vgpr1
	s_branch .LBB62_158
.LBB62_154:
	s_mov_b64 s[0:1], -1
                                        ; implicit-def: $vgpr0_vgpr1
.LBB62_155:
	s_andn2_b64 vcc, exec, s[0:1]
	s_cbranch_vccnz .LBB62_157
; %bb.156:
	global_load_ushort v0, v[2:3], off
	s_waitcnt vmcnt(0)
	v_cvt_f64_u32_e32 v[0:1], v0
.LBB62_157:
	s_mov_b64 s[0:1], 0
.LBB62_158:
	s_andn2_b64 vcc, exec, s[0:1]
	s_cbranch_vccnz .LBB62_166
; %bb.159:
	global_load_ubyte v4, v[2:3], off
	s_movk_i32 s0, 0x7f
                                        ; implicit-def: $sgpr14_sgpr15
	s_waitcnt vmcnt(0)
	v_cmp_lt_i16_e32 vcc, s0, v4
	s_mov_b64 s[0:1], 0
	s_and_saveexec_b64 s[20:21], vcc
	s_xor_b64 s[20:21], exec, s[20:21]
	s_cbranch_execz .LBB62_179
; %bb.160:
	s_movk_i32 s0, 0x80
	v_cmp_eq_u16_e32 vcc, s0, v4
	s_mov_b64 s[24:25], -1
                                        ; implicit-def: $sgpr14_sgpr15
	s_and_saveexec_b64 s[0:1], vcc
; %bb.161:
	s_mov_b32 s15, 0x7ff80000
	s_brev_b32 s14, 4
	s_xor_b64 s[24:25], exec, -1
; %bb.162:
	s_or_b64 exec, exec, s[0:1]
	s_and_b64 s[0:1], s[24:25], exec
	s_or_saveexec_b64 s[20:21], s[20:21]
	v_pk_mov_b32 v[0:1], s[14:15], s[14:15] op_sel:[0,1]
	s_xor_b64 exec, exec, s[20:21]
	s_cbranch_execnz .LBB62_180
.LBB62_163:
	s_or_b64 exec, exec, s[20:21]
	s_and_saveexec_b64 s[14:15], s[0:1]
	s_cbranch_execz .LBB62_165
.LBB62_164:
	v_and_b32_e32 v1, 0xffff, v4
	v_lshlrev_b32_e32 v0, 24, v4
	v_and_b32_e32 v4, 7, v1
	v_ffbh_u32_e32 v6, v4
	v_min_u32_e32 v6, 32, v6
	v_subrev_u32_e32 v7, 28, v6
	v_bfe_u32 v5, v1, 3, 4
	v_lshlrev_b32_e32 v1, v7, v1
	v_sub_u32_e32 v6, 29, v6
	v_and_b32_e32 v1, 7, v1
	v_cmp_eq_u32_e32 vcc, 0, v5
	v_cndmask_b32_e32 v5, v5, v6, vcc
	v_cndmask_b32_e32 v1, v4, v1, vcc
	v_mov_b32_e32 v4, 0x3b800000
	v_lshlrev_b32_e32 v1, 20, v1
	v_and_b32_e32 v0, 0x80000000, v0
	v_lshl_add_u32 v4, v5, 23, v4
	v_or3_b32 v0, v0, v4, v1
	v_cvt_f64_f32_e32 v[0:1], v0
.LBB62_165:
	s_or_b64 exec, exec, s[14:15]
.LBB62_166:
	s_mov_b64 s[0:1], -1
.LBB62_167:
	s_branch .LBB62_202
.LBB62_168:
	v_cmp_lt_i16_e32 vcc, 22, v9
	s_cbranch_vccz .LBB62_178
; %bb.169:
	v_cmp_gt_i16_e32 vcc, 24, v9
	s_cbranch_vccnz .LBB62_181
; %bb.170:
	v_cmp_lt_i16_e32 vcc, 24, v9
	s_cbranch_vccz .LBB62_182
; %bb.171:
	global_load_ubyte v4, v[2:3], off
	s_movk_i32 s0, 0x7f
                                        ; implicit-def: $sgpr14_sgpr15
	s_waitcnt vmcnt(0)
	v_cmp_lt_i16_e32 vcc, s0, v4
	s_mov_b64 s[0:1], 0
	s_and_saveexec_b64 s[20:21], vcc
	s_xor_b64 s[20:21], exec, s[20:21]
	s_cbranch_execz .LBB62_194
; %bb.172:
	s_movk_i32 s0, 0x80
	v_cmp_eq_u16_e32 vcc, s0, v4
	s_mov_b64 s[24:25], -1
                                        ; implicit-def: $sgpr14_sgpr15
	s_and_saveexec_b64 s[0:1], vcc
; %bb.173:
	s_mov_b32 s15, 0x7ff80000
	s_brev_b32 s14, 4
	s_xor_b64 s[24:25], exec, -1
; %bb.174:
	s_or_b64 exec, exec, s[0:1]
	s_and_b64 s[0:1], s[24:25], exec
	s_or_saveexec_b64 s[20:21], s[20:21]
	v_pk_mov_b32 v[0:1], s[14:15], s[14:15] op_sel:[0,1]
	s_xor_b64 exec, exec, s[20:21]
	s_cbranch_execnz .LBB62_195
.LBB62_175:
	s_or_b64 exec, exec, s[20:21]
	s_and_saveexec_b64 s[14:15], s[0:1]
	s_cbranch_execz .LBB62_177
.LBB62_176:
	v_and_b32_e32 v1, 0xffff, v4
	v_lshlrev_b32_e32 v0, 24, v4
	v_and_b32_e32 v4, 3, v1
	v_ffbh_u32_e32 v6, v4
	v_min_u32_e32 v6, 32, v6
	v_subrev_u32_e32 v7, 29, v6
	v_bfe_u32 v5, v1, 2, 5
	v_lshlrev_b32_e32 v1, v7, v1
	v_sub_u32_e32 v6, 30, v6
	v_and_b32_e32 v1, 3, v1
	v_cmp_eq_u32_e32 vcc, 0, v5
	v_cndmask_b32_e32 v5, v5, v6, vcc
	v_cndmask_b32_e32 v1, v4, v1, vcc
	v_mov_b32_e32 v4, 0x37800000
	v_lshlrev_b32_e32 v1, 21, v1
	v_and_b32_e32 v0, 0x80000000, v0
	v_lshl_add_u32 v4, v5, 23, v4
	v_or3_b32 v0, v0, v4, v1
	v_cvt_f64_f32_e32 v[0:1], v0
.LBB62_177:
	s_or_b64 exec, exec, s[14:15]
	s_mov_b64 s[0:1], 0
	s_branch .LBB62_183
.LBB62_178:
	s_mov_b64 s[14:15], -1
                                        ; implicit-def: $vgpr0_vgpr1
	s_branch .LBB62_189
.LBB62_179:
	s_or_saveexec_b64 s[20:21], s[20:21]
	v_pk_mov_b32 v[0:1], s[14:15], s[14:15] op_sel:[0,1]
	s_xor_b64 exec, exec, s[20:21]
	s_cbranch_execz .LBB62_163
.LBB62_180:
	v_cmp_ne_u16_e32 vcc, 0, v4
	s_andn2_b64 s[0:1], s[0:1], exec
	s_and_b64 s[14:15], vcc, exec
	v_pk_mov_b32 v[0:1], 0, 0
	s_or_b64 s[0:1], s[0:1], s[14:15]
	s_or_b64 exec, exec, s[20:21]
	s_and_saveexec_b64 s[14:15], s[0:1]
	s_cbranch_execnz .LBB62_164
	s_branch .LBB62_165
.LBB62_181:
	s_mov_b64 s[0:1], -1
                                        ; implicit-def: $vgpr0_vgpr1
	s_branch .LBB62_186
.LBB62_182:
	s_mov_b64 s[0:1], -1
                                        ; implicit-def: $vgpr0_vgpr1
.LBB62_183:
	s_and_b64 vcc, exec, s[0:1]
	s_cbranch_vccz .LBB62_185
; %bb.184:
	global_load_ubyte v0, v[2:3], off
	s_mov_b32 s0, 0x7f800000
	s_waitcnt vmcnt(0)
	v_lshlrev_b32_e32 v0, 24, v0
	v_and_b32_e32 v1, 0x7f000000, v0
	v_ffbh_u32_e32 v4, v1
	v_min_u32_e32 v4, 32, v4
	v_sub_u32_e64 v4, v4, 4 clamp
	v_lshlrev_b32_e32 v6, v4, v1
	v_lshlrev_b32_e32 v4, 23, v4
	v_lshrrev_b32_e32 v6, 4, v6
	v_add_u32_e32 v5, 0x1000000, v1
	v_sub_u32_e32 v4, v6, v4
	v_ashrrev_i32_e32 v5, 8, v5
	v_add_u32_e32 v4, 0x3c000000, v4
	v_and_or_b32 v4, v5, s0, v4
	v_cmp_ne_u32_e32 vcc, 0, v1
	v_cndmask_b32_e32 v1, 0, v4, vcc
	s_brev_b32 s0, 1
	v_and_or_b32 v0, v0, s0, v1
	v_cvt_f64_f32_e32 v[0:1], v0
.LBB62_185:
	s_mov_b64 s[0:1], 0
.LBB62_186:
	s_andn2_b64 vcc, exec, s[0:1]
	s_cbranch_vccnz .LBB62_188
; %bb.187:
	global_load_ubyte v0, v[2:3], off
	s_movk_i32 s0, 0x7f00
	s_brev_b32 s1, 16
	s_waitcnt vmcnt(0)
	v_lshlrev_b16_e32 v1, 8, v0
	v_lshlrev_b32_e32 v0, 25, v0
	v_lshrrev_b32_e32 v4, 4, v0
	v_and_or_b32 v5, v1, s0, 0.5
	v_or_b32_e32 v4, 0x70000000, v4
	v_add_f32_e32 v5, -0.5, v5
	v_mul_f32_e32 v4, 0x7800000, v4
	v_cmp_gt_u32_e32 vcc, s1, v0
	v_bfe_i32 v1, v1, 0, 16
	v_cndmask_b32_e32 v0, v4, v5, vcc
	s_brev_b32 s0, 1
	v_and_or_b32 v0, v1, s0, v0
	v_cvt_f64_f32_e32 v[0:1], v0
.LBB62_188:
	s_mov_b64 s[14:15], 0
	s_mov_b64 s[0:1], -1
.LBB62_189:
	s_andn2_b64 vcc, exec, s[14:15]
	s_cbranch_vccnz .LBB62_202
; %bb.190:
	v_cmp_lt_i16_e32 vcc, 14, v9
	s_cbranch_vccz .LBB62_193
; %bb.191:
	v_cmp_eq_u16_e32 vcc, 15, v9
	s_cbranch_vccz .LBB62_196
; %bb.192:
	global_load_ushort v0, v[2:3], off
	s_mov_b64 s[0:1], -1
	s_mov_b64 s[16:17], 0
	s_waitcnt vmcnt(0)
	v_lshlrev_b32_e32 v0, 16, v0
	v_cvt_f64_f32_e32 v[0:1], v0
	s_branch .LBB62_197
.LBB62_193:
	s_mov_b64 s[14:15], -1
                                        ; implicit-def: $vgpr0_vgpr1
	s_branch .LBB62_198
.LBB62_194:
	s_or_saveexec_b64 s[20:21], s[20:21]
	v_pk_mov_b32 v[0:1], s[14:15], s[14:15] op_sel:[0,1]
	s_xor_b64 exec, exec, s[20:21]
	s_cbranch_execz .LBB62_175
.LBB62_195:
	v_cmp_ne_u16_e32 vcc, 0, v4
	s_andn2_b64 s[0:1], s[0:1], exec
	s_and_b64 s[14:15], vcc, exec
	v_pk_mov_b32 v[0:1], 0, 0
	s_or_b64 s[0:1], s[0:1], s[14:15]
	s_or_b64 exec, exec, s[20:21]
	s_and_saveexec_b64 s[14:15], s[0:1]
	s_cbranch_execnz .LBB62_176
	s_branch .LBB62_177
.LBB62_196:
	s_mov_b64 s[16:17], -1
                                        ; implicit-def: $vgpr0_vgpr1
.LBB62_197:
	s_mov_b64 s[14:15], 0
.LBB62_198:
	s_and_b64 vcc, exec, s[14:15]
	s_cbranch_vccz .LBB62_202
; %bb.199:
	v_cmp_eq_u16_e32 vcc, 11, v9
	s_cbranch_vccz .LBB62_201
; %bb.200:
	global_load_ubyte v1, v[2:3], off
	v_mov_b32_e32 v4, 0x3ff00000
	v_mov_b32_e32 v0, 0
	s_mov_b64 s[0:1], -1
	s_mov_b64 s[16:17], 0
	s_waitcnt vmcnt(0)
	v_cmp_ne_u16_e32 vcc, 0, v1
	v_cndmask_b32_e32 v1, 0, v4, vcc
	s_branch .LBB62_202
.LBB62_201:
	s_mov_b64 s[16:17], -1
                                        ; implicit-def: $vgpr0_vgpr1
.LBB62_202:
	s_branch .LBB62_10
.LBB62_203:
	v_cmp_gt_i16_e32 vcc, 5, v9
	s_cbranch_vccnz .LBB62_208
; %bb.204:
	v_cmp_gt_i16_e32 vcc, 8, v9
	s_cbranch_vccnz .LBB62_209
; %bb.205:
	;; [unrolled: 3-line block ×3, first 2 shown]
	v_cmp_lt_i16_e32 vcc, 9, v9
	s_cbranch_vccz .LBB62_211
; %bb.207:
	global_load_dwordx2 v[0:1], v[2:3], off
	s_mov_b64 s[0:1], 0
	s_branch .LBB62_212
.LBB62_208:
                                        ; implicit-def: $vgpr0_vgpr1
	s_branch .LBB62_230
.LBB62_209:
	s_mov_b64 s[0:1], -1
                                        ; implicit-def: $vgpr0_vgpr1
	s_branch .LBB62_218
.LBB62_210:
	s_mov_b64 s[0:1], -1
                                        ; implicit-def: $vgpr0_vgpr1
	s_branch .LBB62_215
.LBB62_211:
	s_mov_b64 s[0:1], -1
                                        ; implicit-def: $vgpr0_vgpr1
.LBB62_212:
	s_andn2_b64 vcc, exec, s[0:1]
	s_cbranch_vccnz .LBB62_214
; %bb.213:
	global_load_dword v0, v[2:3], off
	s_waitcnt vmcnt(0)
	v_cvt_f64_f32_e32 v[0:1], v0
.LBB62_214:
	s_mov_b64 s[0:1], 0
.LBB62_215:
	s_andn2_b64 vcc, exec, s[0:1]
	s_cbranch_vccnz .LBB62_217
; %bb.216:
	global_load_dword v0, v[2:3], off
	s_waitcnt vmcnt(0)
	v_cvt_f32_f16_e32 v0, v0
	v_cvt_f64_f32_e32 v[0:1], v0
.LBB62_217:
	s_mov_b64 s[0:1], 0
.LBB62_218:
	s_andn2_b64 vcc, exec, s[0:1]
	s_cbranch_vccnz .LBB62_229
; %bb.219:
	v_cmp_gt_i16_e32 vcc, 6, v9
	s_cbranch_vccnz .LBB62_222
; %bb.220:
	v_cmp_lt_i16_e32 vcc, 6, v9
	s_cbranch_vccz .LBB62_223
; %bb.221:
	global_load_dwordx2 v[0:1], v[2:3], off
	s_mov_b64 s[0:1], 0
	s_branch .LBB62_224
.LBB62_222:
	s_mov_b64 s[0:1], -1
                                        ; implicit-def: $vgpr0_vgpr1
	s_branch .LBB62_227
.LBB62_223:
	s_mov_b64 s[0:1], -1
                                        ; implicit-def: $vgpr0_vgpr1
.LBB62_224:
	s_andn2_b64 vcc, exec, s[0:1]
	s_cbranch_vccnz .LBB62_226
; %bb.225:
	global_load_dword v0, v[2:3], off
	s_waitcnt vmcnt(0)
	v_cvt_f64_f32_e32 v[0:1], v0
.LBB62_226:
	s_mov_b64 s[0:1], 0
.LBB62_227:
	s_andn2_b64 vcc, exec, s[0:1]
	s_cbranch_vccnz .LBB62_229
; %bb.228:
	global_load_ushort v0, v[2:3], off
	s_waitcnt vmcnt(0)
	v_cvt_f32_f16_e32 v0, v0
	v_cvt_f64_f32_e32 v[0:1], v0
.LBB62_229:
	s_cbranch_execnz .LBB62_249
.LBB62_230:
	v_cmp_gt_i16_e32 vcc, 2, v9
	s_cbranch_vccnz .LBB62_234
; %bb.231:
	v_cmp_gt_i16_e32 vcc, 3, v9
	s_cbranch_vccnz .LBB62_235
; %bb.232:
	v_cmp_lt_i16_e32 vcc, 3, v9
	s_cbranch_vccz .LBB62_236
; %bb.233:
	global_load_dwordx2 v[0:1], v[2:3], off
	s_mov_b64 s[0:1], 0
	s_waitcnt vmcnt(0)
	v_cvt_f64_i32_e32 v[4:5], v1
	v_cvt_f64_u32_e32 v[0:1], v0
	v_ldexp_f64 v[4:5], v[4:5], 32
	v_add_f64 v[0:1], v[4:5], v[0:1]
	s_branch .LBB62_237
.LBB62_234:
	s_mov_b64 s[0:1], -1
                                        ; implicit-def: $vgpr0_vgpr1
	s_branch .LBB62_243
.LBB62_235:
	s_mov_b64 s[0:1], -1
                                        ; implicit-def: $vgpr0_vgpr1
	s_branch .LBB62_240
.LBB62_236:
	s_mov_b64 s[0:1], -1
                                        ; implicit-def: $vgpr0_vgpr1
.LBB62_237:
	s_andn2_b64 vcc, exec, s[0:1]
	s_cbranch_vccnz .LBB62_239
; %bb.238:
	global_load_dword v0, v[2:3], off
	s_waitcnt vmcnt(0)
	v_cvt_f64_i32_e32 v[0:1], v0
.LBB62_239:
	s_mov_b64 s[0:1], 0
.LBB62_240:
	s_andn2_b64 vcc, exec, s[0:1]
	s_cbranch_vccnz .LBB62_242
; %bb.241:
	global_load_sshort v0, v[2:3], off
	s_waitcnt vmcnt(0)
	v_cvt_f64_i32_e32 v[0:1], v0
.LBB62_242:
	s_mov_b64 s[0:1], 0
.LBB62_243:
	s_andn2_b64 vcc, exec, s[0:1]
	s_cbranch_vccnz .LBB62_249
; %bb.244:
	v_cmp_lt_i16_e32 vcc, 0, v9
	s_cbranch_vccz .LBB62_246
; %bb.245:
	global_load_sbyte v0, v[2:3], off
	s_mov_b64 s[0:1], 0
	s_waitcnt vmcnt(0)
	v_cvt_f64_i32_e32 v[0:1], v0
	s_branch .LBB62_247
.LBB62_246:
	s_mov_b64 s[0:1], -1
                                        ; implicit-def: $vgpr0_vgpr1
.LBB62_247:
	s_andn2_b64 vcc, exec, s[0:1]
	s_cbranch_vccnz .LBB62_249
; %bb.248:
	global_load_ubyte v0, v[2:3], off
	s_waitcnt vmcnt(0)
	v_cvt_f64_u32_e32 v[0:1], v0
.LBB62_249:
	s_branch .LBB62_11
.LBB62_250:
	s_mov_b64 s[0:1], 0
                                        ; implicit-def: $vgpr8
	s_mov_b64 s[20:21], 0
.LBB62_251:
	s_and_b64 s[14:15], s[0:1], exec
	s_and_b64 s[16:17], s[16:17], exec
	s_orn2_b64 s[20:21], s[20:21], exec
.LBB62_252:
	s_or_b64 exec, exec, s[18:19]
	s_mov_b64 s[24:25], 0
	s_mov_b64 s[0:1], 0
                                        ; implicit-def: $vgpr2_vgpr3
                                        ; implicit-def: $vgpr0_vgpr1
	s_and_saveexec_b64 s[18:19], s[20:21]
	s_cbranch_execz .LBB62_261
; %bb.253:
	v_cmp_gt_i32_e32 vcc, s2, v8
	s_mov_b64 s[0:1], -1
	s_mov_b64 s[20:21], s[16:17]
	s_mov_b64 s[22:23], s[14:15]
	s_and_saveexec_b64 s[24:25], vcc
	s_cbranch_execz .LBB62_513
; %bb.254:
	s_waitcnt vmcnt(0)
	v_mul_lo_u32 v0, v8, s13
	v_ashrrev_i32_e32 v1, 31, v0
	v_mov_b32_e32 v3, s11
	v_add_co_u32_e32 v2, vcc, s10, v0
	v_addc_co_u32_e32 v3, vcc, v3, v1, vcc
	v_cmp_gt_i16_e32 vcc, 11, v9
	s_cbranch_vccnz .LBB62_264
; %bb.255:
	v_cmp_lt_i16_e32 vcc, 25, v9
	s_cbranch_vccz .LBB62_273
; %bb.256:
	v_cmp_lt_i16_e32 vcc, 28, v9
	s_cbranch_vccz .LBB62_275
	;; [unrolled: 3-line block ×4, first 2 shown]
; %bb.259:
	v_cmp_eq_u16_e32 vcc, 46, v9
	s_mov_b64 s[22:23], 0
	s_cbranch_vccz .LBB62_285
; %bb.260:
	global_load_dword v0, v[2:3], off
	s_mov_b64 s[20:21], 0
	s_waitcnt vmcnt(0)
	v_lshlrev_b32_e32 v0, 16, v0
	v_cvt_f64_f32_e32 v[0:1], v0
	s_branch .LBB62_286
.LBB62_261:
	s_or_b64 exec, exec, s[18:19]
	s_mov_b64 s[18:19], 0
	s_and_saveexec_b64 s[20:21], s[16:17]
	s_cbranch_execnz .LBB62_859
.LBB62_262:
	s_or_b64 exec, exec, s[20:21]
	s_and_saveexec_b64 s[16:17], s[22:23]
	s_xor_b64 s[16:17], exec, s[16:17]
	s_cbranch_execz .LBB62_860
.LBB62_263:
	global_load_ubyte v1, v[2:3], off
	v_mov_b32_e32 v4, 0x3ff00000
	s_waitcnt vmcnt(1)
	v_mov_b32_e32 v0, 0
	s_or_b64 s[0:1], s[0:1], exec
	s_waitcnt vmcnt(0)
	v_cmp_ne_u16_e32 vcc, 0, v1
	v_cndmask_b32_e32 v1, 0, v4, vcc
	s_or_b64 exec, exec, s[16:17]
	s_and_saveexec_b64 s[16:17], s[24:25]
	s_cbranch_execz .LBB62_906
	s_branch .LBB62_861
.LBB62_264:
	s_mov_b64 s[0:1], 0
                                        ; implicit-def: $vgpr0_vgpr1
	s_mov_b64 s[20:21], s[16:17]
	s_cbranch_execnz .LBB62_463
.LBB62_265:
	s_andn2_b64 vcc, exec, s[0:1]
	s_cbranch_vccnz .LBB62_511
.LBB62_266:
	s_brev_b32 s0, -2
	v_mov_b32_e32 v2, s3
	s_waitcnt vmcnt(0)
	v_bfi_b32 v1, s0, v1, v2
	v_mul_lo_u32 v2, v8, s12
	v_ashrrev_i32_e32 v3, 31, v2
	v_mov_b32_e32 v5, s9
	v_add_co_u32_e32 v4, vcc, s8, v2
	v_mov_b32_e32 v2, 11
	v_addc_co_u32_e32 v5, vcc, v5, v3, vcc
	v_cmp_lt_i16_sdwa s[0:1], s33, v2 src0_sel:BYTE_0 src1_sel:DWORD
	s_and_b64 vcc, exec, s[0:1]
	s_cbranch_vccnz .LBB62_274
; %bb.267:
	v_mov_b32_e32 v2, 25
	v_cmp_gt_i16_sdwa s[0:1], s33, v2 src0_sel:BYTE_0 src1_sel:DWORD
	s_and_b64 vcc, exec, s[0:1]
	s_cbranch_vccz .LBB62_276
; %bb.268:
	v_mov_b32_e32 v2, 28
	v_cmp_gt_i16_sdwa s[0:1], s33, v2 src0_sel:BYTE_0 src1_sel:DWORD
	s_and_b64 vcc, exec, s[0:1]
	s_cbranch_vccz .LBB62_278
	;; [unrolled: 5-line block ×4, first 2 shown]
; %bb.271:
	v_mov_b32_e32 v2, 46
	v_cmp_eq_u16_sdwa s[22:23], s33, v2 src0_sel:BYTE_0 src1_sel:DWORD
	s_mov_b64 s[26:27], 0
	s_mov_b64 s[0:1], -1
	s_and_b64 vcc, exec, s[22:23]
	s_mov_b64 s[22:23], 0
	s_cbranch_vccz .LBB62_290
; %bb.272:
	v_cvt_f32_f64_e32 v2, v[0:1]
	v_bfe_u32 v3, v2, 16, 1
	s_movk_i32 s0, 0x7fff
	v_add3_u32 v3, v2, v3, s0
	v_lshrrev_b32_e32 v3, 16, v3
	v_mov_b32_e32 v6, 0x7fc0
	v_cmp_o_f32_e32 vcc, v2, v2
	v_cndmask_b32_e32 v2, v6, v3, vcc
	global_store_dword v[4:5], v2, off
	s_mov_b64 s[22:23], -1
	s_mov_b64 s[0:1], 0
	s_branch .LBB62_290
.LBB62_273:
	s_mov_b64 s[22:23], -1
	s_mov_b64 s[0:1], 0
	s_mov_b64 s[20:21], s[16:17]
                                        ; implicit-def: $vgpr0_vgpr1
	s_branch .LBB62_427
.LBB62_274:
	s_mov_b64 s[26:27], -1
	s_mov_b64 s[22:23], 0
	s_mov_b64 s[0:1], s[14:15]
	s_branch .LBB62_359
.LBB62_275:
	s_mov_b64 s[22:23], -1
	s_mov_b64 s[0:1], 0
	s_mov_b64 s[20:21], s[16:17]
                                        ; implicit-def: $vgpr0_vgpr1
	s_branch .LBB62_408
.LBB62_276:
	s_mov_b64 s[26:27], -1
	s_mov_b64 s[22:23], 0
	s_mov_b64 s[0:1], s[14:15]
	s_branch .LBB62_317
.LBB62_277:
	s_mov_b64 s[22:23], -1
	s_mov_b64 s[0:1], 0
	s_mov_b64 s[20:21], s[16:17]
                                        ; implicit-def: $vgpr0_vgpr1
	s_branch .LBB62_403
.LBB62_278:
	s_mov_b64 s[26:27], -1
	s_mov_b64 s[22:23], 0
	s_mov_b64 s[0:1], s[14:15]
	s_branch .LBB62_300
.LBB62_279:
	s_or_saveexec_b64 s[24:25], s[24:25]
                                        ; implicit-def: $sgpr26
	s_xor_b64 exec, exec, s[24:25]
	s_cbranch_execz .LBB62_55
.LBB62_280:
	s_mov_b32 s26, 0x46000000
	v_add_f32_e64 v3, |v2|, s26
	v_and_b32_e32 v3, 0xff, v3
	v_cmp_ne_u32_e32 vcc, 0, v3
	s_andn2_b64 s[20:21], s[20:21], exec
	s_and_b64 s[28:29], vcc, exec
	s_mov_b32 s26, 0
	s_or_b64 s[20:21], s[20:21], s[28:29]
	s_or_b64 exec, exec, s[24:25]
	v_mov_b32_e32 v6, s26
	s_and_saveexec_b64 s[24:25], s[20:21]
	s_cbranch_execnz .LBB62_56
	s_branch .LBB62_57
.LBB62_281:
	s_mov_b64 s[22:23], -1
	s_mov_b64 s[0:1], 0
	s_mov_b64 s[20:21], s[16:17]
                                        ; implicit-def: $vgpr0_vgpr1
	s_branch .LBB62_286
.LBB62_282:
	s_mov_b64 s[26:27], -1
	s_mov_b64 s[22:23], 0
	s_mov_b64 s[0:1], s[14:15]
	s_branch .LBB62_296
.LBB62_283:
	s_or_saveexec_b64 s[24:25], s[24:25]
                                        ; implicit-def: $sgpr26
	s_xor_b64 exec, exec, s[24:25]
	s_cbranch_execz .LBB62_68
.LBB62_284:
	s_mov_b32 s26, 0x42800000
	v_add_f32_e64 v3, |v2|, s26
	v_and_b32_e32 v3, 0xff, v3
	v_cmp_ne_u32_e32 vcc, 0, v3
	s_andn2_b64 s[20:21], s[20:21], exec
	s_and_b64 s[28:29], vcc, exec
	s_mov_b32 s26, 0
	s_or_b64 s[20:21], s[20:21], s[28:29]
	s_or_b64 exec, exec, s[24:25]
	v_mov_b32_e32 v6, s26
	s_and_saveexec_b64 s[24:25], s[20:21]
	s_cbranch_execnz .LBB62_69
	s_branch .LBB62_70
.LBB62_285:
	s_mov_b64 s[20:21], -1
                                        ; implicit-def: $vgpr0_vgpr1
	s_mov_b64 s[0:1], 0
.LBB62_286:
	s_and_b64 vcc, exec, s[22:23]
	s_cbranch_vccz .LBB62_402
; %bb.287:
	v_cmp_eq_u16_e32 vcc, 44, v9
	s_cbranch_vccz .LBB62_401
; %bb.288:
	global_load_ubyte v4, v[2:3], off
	s_movk_i32 s20, 0xff
	v_bfrev_b32_e32 v5, 4
	v_mov_b32_e32 v6, 0x7ff80000
	v_bfrev_b32_e32 v7, 28
	s_mov_b64 s[0:1], -1
	s_waitcnt vmcnt(0)
	v_lshlrev_b32_e32 v0, 23, v4
	v_cvt_f64_f32_e32 v[0:1], v0
	v_cmp_ne_u32_e32 vcc, s20, v4
	v_cndmask_b32_e32 v0, v5, v0, vcc
	v_cndmask_b32_e32 v1, v6, v1, vcc
	v_cmp_ne_u32_e32 vcc, 0, v4
	v_cndmask_b32_e32 v1, v7, v1, vcc
	v_cndmask_b32_e32 v0, 0, v0, vcc
	s_mov_b64 s[20:21], 0
	s_branch .LBB62_402
.LBB62_289:
	s_mov_b64 s[26:27], -1
	s_mov_b64 s[22:23], 0
	s_mov_b64 s[0:1], s[14:15]
.LBB62_290:
	s_and_b64 vcc, exec, s[26:27]
	s_cbranch_vccz .LBB62_295
; %bb.291:
	v_mov_b32_e32 v2, 44
	v_cmp_eq_u16_sdwa s[26:27], s33, v2 src0_sel:BYTE_0 src1_sel:DWORD
	s_mov_b64 s[0:1], -1
	s_and_b64 vcc, exec, s[26:27]
	s_cbranch_vccz .LBB62_295
; %bb.292:
	v_cvt_f32_f64_e32 v2, v[0:1]
	v_bfe_u32 v3, v2, 23, 8
	s_movk_i32 s0, 0xff
	v_cmp_ne_u32_e32 vcc, s0, v3
	v_mov_b32_e32 v6, 0xff
	s_and_saveexec_b64 s[22:23], vcc
; %bb.293:
	s_mov_b32 s0, 0x3fffff
	v_lshrrev_b32_e32 v6, 23, v2
	v_and_b32_e32 v7, 0x400000, v2
	v_and_or_b32 v2, v2, s0, v3
	v_cmp_ne_u32_e32 vcc, 0, v7
	v_cmp_ne_u32_e64 s[0:1], 0, v2
	s_and_b64 s[0:1], vcc, s[0:1]
	v_cndmask_b32_e64 v2, 0, 1, s[0:1]
	v_add_u32_e32 v6, v6, v2
; %bb.294:
	s_or_b64 exec, exec, s[22:23]
	s_mov_b64 s[22:23], -1
	s_mov_b64 s[0:1], 0
	global_store_byte v[4:5], v6, off
.LBB62_295:
	s_mov_b64 s[26:27], 0
.LBB62_296:
	s_and_b64 vcc, exec, s[26:27]
	s_cbranch_vccz .LBB62_299
; %bb.297:
	v_mov_b32_e32 v2, 29
	v_cmp_eq_u16_sdwa s[26:27], s33, v2 src0_sel:BYTE_0 src1_sel:DWORD
	s_mov_b64 s[0:1], -1
	s_and_b64 vcc, exec, s[26:27]
	s_cbranch_vccz .LBB62_299
; %bb.298:
	v_trunc_f64_e32 v[2:3], v[0:1]
	s_movk_i32 s0, 0xffe0
	v_ldexp_f64 v[6:7], v[2:3], s0
	v_floor_f64_e32 v[6:7], v[6:7]
	v_fmac_f64_e32 v[2:3], 0xc1f00000, v[6:7]
	v_cvt_u32_f64_e32 v11, v[6:7]
	v_cvt_u32_f64_e32 v10, v[2:3]
	global_store_dwordx2 v[4:5], v[10:11], off
	s_mov_b64 s[22:23], -1
	s_mov_b64 s[0:1], 0
.LBB62_299:
	s_mov_b64 s[26:27], 0
.LBB62_300:
	s_and_b64 vcc, exec, s[26:27]
	s_cbranch_vccz .LBB62_316
; %bb.301:
	v_mov_b32_e32 v2, 27
	v_cmp_lt_i16_sdwa s[26:27], s33, v2 src0_sel:BYTE_0 src1_sel:DWORD
	s_mov_b64 s[22:23], -1
	s_and_b64 vcc, exec, s[26:27]
	s_cbranch_vccnz .LBB62_307
; %bb.302:
	v_cmp_gt_i16_sdwa s[26:27], s33, v2 src0_sel:BYTE_0 src1_sel:DWORD
	s_and_b64 vcc, exec, s[26:27]
	v_cvt_u32_f64_e32 v2, v[0:1]
	s_cbranch_vccz .LBB62_304
; %bb.303:
	s_mov_b64 s[22:23], 0
	global_store_dword v[4:5], v2, off
.LBB62_304:
	s_andn2_b64 vcc, exec, s[22:23]
	s_cbranch_vccnz .LBB62_306
; %bb.305:
	global_store_short v[4:5], v2, off
.LBB62_306:
	s_mov_b64 s[22:23], 0
.LBB62_307:
	s_andn2_b64 vcc, exec, s[22:23]
	s_cbranch_vccnz .LBB62_315
; %bb.308:
	v_cvt_f32_f64_e32 v2, v[0:1]
	v_and_b32_e32 v3, 0x7fffffff, v2
	s_mov_b32 s22, 0x43800000
	v_cmp_gt_u32_e32 vcc, s22, v3
	v_mov_b32_e32 v6, 0x80
	s_and_saveexec_b64 s[22:23], vcc
	s_cbranch_execz .LBB62_314
; %bb.309:
	s_mov_b32 s26, 0x3bffffff
	v_cmp_lt_u32_e32 vcc, s26, v3
	s_mov_b64 s[26:27], 0
                                        ; implicit-def: $vgpr3
	s_and_saveexec_b64 s[28:29], vcc
	s_xor_b64 s[28:29], exec, s[28:29]
	s_cbranch_execz .LBB62_526
; %bb.310:
	v_bfe_u32 v3, v2, 20, 1
	s_mov_b32 s30, 0x487ffff
	v_add3_u32 v3, v2, v3, s30
	s_mov_b64 s[26:27], exec
	v_lshrrev_b32_e32 v3, 20, v3
	s_or_saveexec_b64 s[28:29], s[28:29]
                                        ; implicit-def: $sgpr30
	s_xor_b64 exec, exec, s[28:29]
	s_cbranch_execnz .LBB62_527
.LBB62_311:
	s_or_b64 exec, exec, s[28:29]
	v_mov_b32_e32 v6, s30
	s_and_saveexec_b64 s[28:29], s[26:27]
.LBB62_312:
	v_lshrrev_b32_e32 v2, 24, v2
	s_movk_i32 s26, 0x80
	v_and_or_b32 v6, v2, s26, v3
.LBB62_313:
	s_or_b64 exec, exec, s[28:29]
.LBB62_314:
	s_or_b64 exec, exec, s[22:23]
	global_store_byte v[4:5], v6, off
.LBB62_315:
	s_mov_b64 s[22:23], -1
.LBB62_316:
	s_mov_b64 s[26:27], 0
.LBB62_317:
	s_and_b64 vcc, exec, s[26:27]
	s_cbranch_vccz .LBB62_358
; %bb.318:
	v_mov_b32_e32 v2, 22
	v_cmp_gt_i16_sdwa s[28:29], s33, v2 src0_sel:BYTE_0 src1_sel:DWORD
	s_mov_b64 s[26:27], -1
	s_and_b64 vcc, exec, s[28:29]
	s_cbranch_vccz .LBB62_350
; %bb.319:
	v_mov_b32_e32 v2, 24
	v_cmp_lt_i16_sdwa s[26:27], s33, v2 src0_sel:BYTE_0 src1_sel:DWORD
	s_mov_b64 s[22:23], -1
	s_and_b64 vcc, exec, s[26:27]
	s_cbranch_vccnz .LBB62_339
; %bb.320:
	v_cmp_gt_i16_sdwa s[26:27], s33, v2 src0_sel:BYTE_0 src1_sel:DWORD
	s_and_b64 vcc, exec, s[26:27]
	s_cbranch_vccz .LBB62_328
; %bb.321:
	v_cvt_f32_f64_e32 v2, v[0:1]
	v_and_b32_e32 v3, 0x7fffffff, v2
	s_mov_b32 s22, 0x47800000
	v_cmp_gt_u32_e32 vcc, s22, v3
	v_mov_b32_e32 v6, 0x80
	s_and_saveexec_b64 s[22:23], vcc
	s_cbranch_execz .LBB62_327
; %bb.322:
	s_mov_b32 s26, 0x37ffffff
	v_cmp_lt_u32_e32 vcc, s26, v3
	s_mov_b64 s[26:27], 0
                                        ; implicit-def: $vgpr3
	s_and_saveexec_b64 s[28:29], vcc
	s_xor_b64 s[28:29], exec, s[28:29]
	s_cbranch_execz .LBB62_529
; %bb.323:
	v_bfe_u32 v3, v2, 21, 1
	s_mov_b32 s30, 0x88fffff
	v_add3_u32 v3, v2, v3, s30
	s_mov_b64 s[26:27], exec
	v_lshrrev_b32_e32 v3, 21, v3
	s_or_saveexec_b64 s[28:29], s[28:29]
                                        ; implicit-def: $sgpr30
	s_xor_b64 exec, exec, s[28:29]
	s_cbranch_execnz .LBB62_530
.LBB62_324:
	s_or_b64 exec, exec, s[28:29]
	v_mov_b32_e32 v6, s30
	s_and_saveexec_b64 s[28:29], s[26:27]
.LBB62_325:
	v_lshrrev_b32_e32 v2, 24, v2
	s_movk_i32 s26, 0x80
	v_and_or_b32 v6, v2, s26, v3
.LBB62_326:
	s_or_b64 exec, exec, s[28:29]
.LBB62_327:
	s_or_b64 exec, exec, s[22:23]
	s_mov_b64 s[22:23], 0
	global_store_byte v[4:5], v6, off
.LBB62_328:
	s_and_b64 vcc, exec, s[22:23]
	s_cbranch_vccz .LBB62_338
; %bb.329:
	v_cvt_f32_f64_e32 v2, v[0:1]
	v_and_b32_e32 v6, 0x7fffffff, v2
	s_mov_b32 s22, 0x43f00000
	v_cmp_gt_u32_e32 vcc, s22, v6
                                        ; implicit-def: $vgpr3
	s_and_saveexec_b64 s[22:23], vcc
	s_xor_b64 s[22:23], exec, s[22:23]
	s_cbranch_execz .LBB62_335
; %bb.330:
	s_mov_b32 s26, 0x3c7fffff
	v_cmp_lt_u32_e32 vcc, s26, v6
                                        ; implicit-def: $vgpr3
	s_and_saveexec_b64 s[26:27], vcc
	s_xor_b64 s[26:27], exec, s[26:27]
; %bb.331:
	v_bfe_u32 v3, v2, 20, 1
	s_mov_b32 s28, 0x407ffff
	v_add3_u32 v3, v2, v3, s28
	v_lshrrev_b32_e32 v6, 20, v3
	v_and_b32_e32 v3, 0xff00000, v3
	s_mov_b32 s28, 0x7f00000
	v_mov_b32_e32 v7, 0x7e
	v_cmp_ne_u32_e32 vcc, s28, v3
	v_cndmask_b32_e32 v3, v7, v6, vcc
; %bb.332:
	s_andn2_saveexec_b64 s[26:27], s[26:27]
; %bb.333:
	s_mov_b32 s28, 0x46800000
	v_add_f32_e64 v3, |v2|, s28
; %bb.334:
	s_or_b64 exec, exec, s[26:27]
                                        ; implicit-def: $vgpr6
.LBB62_335:
	s_andn2_saveexec_b64 s[22:23], s[22:23]
; %bb.336:
	s_mov_b32 s26, 0x7f800000
	v_mov_b32_e32 v3, 0x7e
	v_mov_b32_e32 v7, 0x7f
	v_cmp_lt_u32_e32 vcc, s26, v6
	v_cndmask_b32_e32 v3, v3, v7, vcc
; %bb.337:
	s_or_b64 exec, exec, s[22:23]
	v_lshrrev_b32_e32 v2, 24, v2
	s_movk_i32 s22, 0x80
	v_and_or_b32 v2, v2, s22, v3
	global_store_byte v[4:5], v2, off
.LBB62_338:
	s_mov_b64 s[22:23], 0
.LBB62_339:
	s_andn2_b64 vcc, exec, s[22:23]
	s_cbranch_vccnz .LBB62_349
; %bb.340:
	v_cvt_f32_f64_e32 v2, v[0:1]
	v_and_b32_e32 v6, 0x7fffffff, v2
	s_mov_b32 s22, 0x47800000
	v_cmp_gt_u32_e32 vcc, s22, v6
                                        ; implicit-def: $vgpr3
	s_and_saveexec_b64 s[22:23], vcc
	s_xor_b64 s[22:23], exec, s[22:23]
	s_cbranch_execz .LBB62_346
; %bb.341:
	s_mov_b32 s26, 0x387fffff
	v_cmp_lt_u32_e32 vcc, s26, v6
                                        ; implicit-def: $vgpr3
	s_and_saveexec_b64 s[26:27], vcc
	s_xor_b64 s[26:27], exec, s[26:27]
; %bb.342:
	v_bfe_u32 v3, v2, 21, 1
	s_mov_b32 s28, 0x80fffff
	v_add3_u32 v3, v2, v3, s28
	v_lshrrev_b32_e32 v3, 21, v3
; %bb.343:
	s_andn2_saveexec_b64 s[26:27], s[26:27]
; %bb.344:
	s_mov_b32 s28, 0x43000000
	v_add_f32_e64 v3, |v2|, s28
; %bb.345:
	s_or_b64 exec, exec, s[26:27]
                                        ; implicit-def: $vgpr6
.LBB62_346:
	s_andn2_saveexec_b64 s[22:23], s[22:23]
; %bb.347:
	s_mov_b32 s26, 0x7f800000
	v_mov_b32_e32 v3, 0x7c
	v_mov_b32_e32 v7, 0x7f
	v_cmp_lt_u32_e32 vcc, s26, v6
	v_cndmask_b32_e32 v3, v3, v7, vcc
; %bb.348:
	s_or_b64 exec, exec, s[22:23]
	v_lshrrev_b32_e32 v2, 24, v2
	s_movk_i32 s22, 0x80
	v_and_or_b32 v2, v2, s22, v3
	global_store_byte v[4:5], v2, off
.LBB62_349:
	s_mov_b64 s[26:27], 0
	s_mov_b64 s[22:23], -1
.LBB62_350:
	s_andn2_b64 vcc, exec, s[26:27]
	s_cbranch_vccnz .LBB62_358
; %bb.351:
	v_mov_b32_e32 v2, 14
	v_cmp_gt_i16_sdwa s[28:29], s33, v2 src0_sel:BYTE_0 src1_sel:DWORD
	s_mov_b64 s[26:27], -1
	s_and_b64 vcc, exec, s[28:29]
	s_cbranch_vccz .LBB62_355
; %bb.352:
	v_mov_b32_e32 v2, 15
	v_cmp_eq_u16_sdwa s[26:27], s33, v2 src0_sel:BYTE_0 src1_sel:DWORD
	s_mov_b64 s[0:1], -1
	s_and_b64 vcc, exec, s[26:27]
	s_cbranch_vccz .LBB62_354
; %bb.353:
	v_cvt_f32_f64_e32 v2, v[0:1]
	v_bfe_u32 v3, v2, 16, 1
	s_movk_i32 s0, 0x7fff
	v_add3_u32 v3, v2, v3, s0
	v_lshrrev_b32_e32 v3, 16, v3
	v_mov_b32_e32 v6, 0x7fc0
	v_cmp_o_f32_e32 vcc, v2, v2
	v_cndmask_b32_e32 v2, v6, v3, vcc
	global_store_short v[4:5], v2, off
	s_mov_b64 s[22:23], -1
	s_mov_b64 s[0:1], 0
.LBB62_354:
	s_mov_b64 s[26:27], 0
.LBB62_355:
	s_and_b64 vcc, exec, s[26:27]
	s_cbranch_vccz .LBB62_358
; %bb.356:
	v_mov_b32_e32 v2, 11
	v_cmp_eq_u16_sdwa s[26:27], s33, v2 src0_sel:BYTE_0 src1_sel:DWORD
	s_mov_b64 s[0:1], -1
	s_and_b64 vcc, exec, s[26:27]
	s_cbranch_vccz .LBB62_358
; %bb.357:
	v_cmp_neq_f64_e32 vcc, 0, v[0:1]
	s_mov_b64 s[0:1], 0
	v_cndmask_b32_e64 v2, 0, 1, vcc
	s_mov_b64 s[22:23], -1
	global_store_byte v[4:5], v2, off
.LBB62_358:
	s_mov_b64 s[26:27], 0
.LBB62_359:
	s_and_b64 vcc, exec, s[26:27]
	s_cbranch_vccz .LBB62_398
; %bb.360:
	v_mov_b32_e32 v2, 5
	v_cmp_lt_i16_sdwa s[26:27], s33, v2 src0_sel:BYTE_0 src1_sel:DWORD
	s_mov_b64 s[22:23], -1
	s_and_b64 vcc, exec, s[26:27]
	s_cbranch_vccnz .LBB62_381
; %bb.361:
	v_mov_b32_e32 v2, 8
	v_cmp_lt_i16_sdwa s[26:27], s33, v2 src0_sel:BYTE_0 src1_sel:DWORD
	s_and_b64 vcc, exec, s[26:27]
	s_cbranch_vccnz .LBB62_371
; %bb.362:
	v_mov_b32_e32 v2, 9
	v_cmp_lt_i16_sdwa s[26:27], s33, v2 src0_sel:BYTE_0 src1_sel:DWORD
	s_and_b64 vcc, exec, s[26:27]
	s_cbranch_vccnz .LBB62_368
; %bb.363:
	v_cmp_gt_i16_sdwa s[26:27], s33, v2 src0_sel:BYTE_0 src1_sel:DWORD
	s_and_b64 vcc, exec, s[26:27]
	s_cbranch_vccz .LBB62_365
; %bb.364:
	v_mov_b32_e32 v2, 0
	v_mov_b32_e32 v3, v2
	s_mov_b64 s[22:23], 0
	global_store_dwordx4 v[4:5], v[0:3], off
.LBB62_365:
	s_andn2_b64 vcc, exec, s[22:23]
	s_cbranch_vccnz .LBB62_367
; %bb.366:
	v_cvt_f32_f64_e32 v2, v[0:1]
	v_mov_b32_e32 v3, 0
	global_store_dwordx2 v[4:5], v[2:3], off
.LBB62_367:
	s_mov_b64 s[22:23], 0
.LBB62_368:
	s_andn2_b64 vcc, exec, s[22:23]
	s_cbranch_vccnz .LBB62_370
; %bb.369:
	v_cvt_f32_f64_e32 v2, v[0:1]
	v_cvt_f16_f32_e32 v2, v2
	global_store_dword v[4:5], v2, off
.LBB62_370:
	s_mov_b64 s[22:23], 0
.LBB62_371:
	s_andn2_b64 vcc, exec, s[22:23]
	s_cbranch_vccnz .LBB62_380
; %bb.372:
	v_mov_b32_e32 v2, 6
	v_cmp_lt_i16_sdwa s[26:27], s33, v2 src0_sel:BYTE_0 src1_sel:DWORD
	s_mov_b64 s[22:23], -1
	s_and_b64 vcc, exec, s[26:27]
	s_cbranch_vccnz .LBB62_378
; %bb.373:
	v_cmp_gt_i16_sdwa s[26:27], s33, v2 src0_sel:BYTE_0 src1_sel:DWORD
	s_and_b64 vcc, exec, s[26:27]
	s_cbranch_vccz .LBB62_375
; %bb.374:
	s_mov_b64 s[22:23], 0
	global_store_dwordx2 v[4:5], v[0:1], off
.LBB62_375:
	s_andn2_b64 vcc, exec, s[22:23]
	s_cbranch_vccnz .LBB62_377
; %bb.376:
	v_cvt_f32_f64_e32 v2, v[0:1]
	global_store_dword v[4:5], v2, off
.LBB62_377:
	s_mov_b64 s[22:23], 0
.LBB62_378:
	s_andn2_b64 vcc, exec, s[22:23]
	s_cbranch_vccnz .LBB62_380
; %bb.379:
	v_cvt_f32_f64_e32 v2, v[0:1]
	v_cvt_f16_f32_e32 v2, v2
	global_store_short v[4:5], v2, off
.LBB62_380:
	s_mov_b64 s[22:23], 0
.LBB62_381:
	s_andn2_b64 vcc, exec, s[22:23]
	s_cbranch_vccnz .LBB62_397
; %bb.382:
	v_mov_b32_e32 v2, 2
	v_cmp_lt_i16_sdwa s[26:27], s33, v2 src0_sel:BYTE_0 src1_sel:DWORD
	s_mov_b64 s[22:23], -1
	s_and_b64 vcc, exec, s[26:27]
	s_cbranch_vccnz .LBB62_392
; %bb.383:
	v_mov_b32_e32 v2, 3
	v_cmp_lt_i16_sdwa s[26:27], s33, v2 src0_sel:BYTE_0 src1_sel:DWORD
	s_and_b64 vcc, exec, s[26:27]
	s_cbranch_vccnz .LBB62_389
; %bb.384:
	v_cmp_gt_i16_sdwa s[26:27], s33, v2 src0_sel:BYTE_0 src1_sel:DWORD
	s_and_b64 vcc, exec, s[26:27]
	s_cbranch_vccz .LBB62_386
; %bb.385:
	v_trunc_f64_e32 v[2:3], v[0:1]
	s_movk_i32 s22, 0xffe0
	v_ldexp_f64 v[6:7], v[2:3], s22
	v_floor_f64_e32 v[6:7], v[6:7]
	v_fmac_f64_e32 v[2:3], 0xc1f00000, v[6:7]
	v_cvt_i32_f64_e32 v11, v[6:7]
	v_cvt_u32_f64_e32 v10, v[2:3]
	s_mov_b64 s[22:23], 0
	global_store_dwordx2 v[4:5], v[10:11], off
.LBB62_386:
	s_andn2_b64 vcc, exec, s[22:23]
	s_cbranch_vccnz .LBB62_388
; %bb.387:
	v_cvt_i32_f64_e32 v2, v[0:1]
	global_store_dword v[4:5], v2, off
.LBB62_388:
	s_mov_b64 s[22:23], 0
.LBB62_389:
	s_andn2_b64 vcc, exec, s[22:23]
	s_cbranch_vccnz .LBB62_391
; %bb.390:
	v_cvt_i32_f64_e32 v2, v[0:1]
	global_store_short v[4:5], v2, off
.LBB62_391:
	s_mov_b64 s[22:23], 0
.LBB62_392:
	s_andn2_b64 vcc, exec, s[22:23]
	s_cbranch_vccnz .LBB62_397
; %bb.393:
	v_mov_b32_e32 v2, 0
	v_cmp_gt_i16_sdwa s[26:27], s33, v2 src0_sel:BYTE_0 src1_sel:DWORD
	s_mov_b64 s[22:23], -1
	s_and_b64 vcc, exec, s[26:27]
	s_cbranch_vccz .LBB62_395
; %bb.394:
	v_cvt_i32_f64_e32 v2, v[0:1]
	s_mov_b64 s[22:23], 0
	global_store_byte v[4:5], v2, off
.LBB62_395:
	s_andn2_b64 vcc, exec, s[22:23]
	s_cbranch_vccnz .LBB62_397
; %bb.396:
	v_trunc_f64_e32 v[0:1], v[0:1]
	s_movk_i32 s22, 0xffe0
	v_ldexp_f64 v[2:3], v[0:1], s22
	v_floor_f64_e32 v[2:3], v[2:3]
	v_fmac_f64_e32 v[0:1], 0xc1f00000, v[2:3]
	v_cvt_u32_f64_e32 v0, v[0:1]
	global_store_byte v[4:5], v0, off
.LBB62_397:
	s_mov_b64 s[22:23], -1
.LBB62_398:
	s_andn2_b64 vcc, exec, s[22:23]
	s_cbranch_vccnz .LBB62_400
; %bb.399:
	v_add_u32_e32 v8, 0x80, v8
	s_mov_b64 s[26:27], -1
	s_branch .LBB62_512
.LBB62_400:
	s_mov_b64 s[26:27], 0
                                        ; implicit-def: $vgpr8
	s_branch .LBB62_512
.LBB62_401:
	s_mov_b64 s[20:21], -1
                                        ; implicit-def: $vgpr0_vgpr1
.LBB62_402:
	s_mov_b64 s[22:23], 0
.LBB62_403:
	s_and_b64 vcc, exec, s[22:23]
	s_cbranch_vccz .LBB62_407
; %bb.404:
	v_cmp_eq_u16_e32 vcc, 29, v9
	s_cbranch_vccz .LBB62_406
; %bb.405:
	global_load_dwordx2 v[0:1], v[2:3], off
	s_mov_b64 s[0:1], -1
	s_mov_b64 s[20:21], 0
	s_mov_b64 s[22:23], 0
	s_waitcnt vmcnt(0)
	v_cvt_f64_u32_e32 v[4:5], v1
	v_cvt_f64_u32_e32 v[0:1], v0
	v_ldexp_f64 v[4:5], v[4:5], 32
	v_add_f64 v[0:1], v[4:5], v[0:1]
	s_branch .LBB62_408
.LBB62_406:
	s_mov_b64 s[20:21], -1
                                        ; implicit-def: $vgpr0_vgpr1
.LBB62_407:
	s_mov_b64 s[22:23], 0
.LBB62_408:
	s_and_b64 vcc, exec, s[22:23]
	s_cbranch_vccz .LBB62_426
; %bb.409:
	v_cmp_gt_i16_e32 vcc, 27, v9
	s_cbranch_vccnz .LBB62_412
; %bb.410:
	v_cmp_lt_i16_e32 vcc, 27, v9
	s_cbranch_vccz .LBB62_413
; %bb.411:
	global_load_dword v0, v[2:3], off
	s_mov_b64 s[0:1], 0
	s_waitcnt vmcnt(0)
	v_cvt_f64_u32_e32 v[0:1], v0
	s_branch .LBB62_414
.LBB62_412:
	s_mov_b64 s[0:1], -1
                                        ; implicit-def: $vgpr0_vgpr1
	s_branch .LBB62_417
.LBB62_413:
	s_mov_b64 s[0:1], -1
                                        ; implicit-def: $vgpr0_vgpr1
.LBB62_414:
	s_andn2_b64 vcc, exec, s[0:1]
	s_cbranch_vccnz .LBB62_416
; %bb.415:
	global_load_ushort v0, v[2:3], off
	s_waitcnt vmcnt(0)
	v_cvt_f64_u32_e32 v[0:1], v0
.LBB62_416:
	s_mov_b64 s[0:1], 0
.LBB62_417:
	s_andn2_b64 vcc, exec, s[0:1]
	s_cbranch_vccnz .LBB62_425
; %bb.418:
	global_load_ubyte v4, v[2:3], off
	s_movk_i32 s0, 0x7f
                                        ; implicit-def: $sgpr22_sgpr23
	s_waitcnt vmcnt(0)
	v_cmp_lt_i16_e32 vcc, s0, v4
	s_mov_b64 s[0:1], 0
	s_and_saveexec_b64 s[26:27], vcc
	s_xor_b64 s[26:27], exec, s[26:27]
	s_cbranch_execz .LBB62_439
; %bb.419:
	s_movk_i32 s0, 0x80
	v_cmp_eq_u16_e32 vcc, s0, v4
	s_mov_b64 s[28:29], -1
                                        ; implicit-def: $sgpr22_sgpr23
	s_and_saveexec_b64 s[0:1], vcc
; %bb.420:
	s_mov_b32 s23, 0x7ff80000
	s_brev_b32 s22, 4
	s_xor_b64 s[28:29], exec, -1
; %bb.421:
	s_or_b64 exec, exec, s[0:1]
	s_and_b64 s[0:1], s[28:29], exec
	s_or_saveexec_b64 s[26:27], s[26:27]
	v_pk_mov_b32 v[0:1], s[22:23], s[22:23] op_sel:[0,1]
	s_xor_b64 exec, exec, s[26:27]
	s_cbranch_execnz .LBB62_440
.LBB62_422:
	s_or_b64 exec, exec, s[26:27]
	s_and_saveexec_b64 s[22:23], s[0:1]
	s_cbranch_execz .LBB62_424
.LBB62_423:
	v_and_b32_e32 v1, 0xffff, v4
	v_lshlrev_b32_e32 v0, 24, v4
	v_and_b32_e32 v4, 7, v1
	v_ffbh_u32_e32 v6, v4
	v_min_u32_e32 v6, 32, v6
	v_subrev_u32_e32 v7, 28, v6
	v_bfe_u32 v5, v1, 3, 4
	v_lshlrev_b32_e32 v1, v7, v1
	v_sub_u32_e32 v6, 29, v6
	v_and_b32_e32 v1, 7, v1
	v_cmp_eq_u32_e32 vcc, 0, v5
	v_cndmask_b32_e32 v5, v5, v6, vcc
	v_cndmask_b32_e32 v1, v4, v1, vcc
	v_mov_b32_e32 v4, 0x3b800000
	v_lshlrev_b32_e32 v1, 20, v1
	v_and_b32_e32 v0, 0x80000000, v0
	v_lshl_add_u32 v4, v5, 23, v4
	v_or3_b32 v0, v0, v4, v1
	v_cvt_f64_f32_e32 v[0:1], v0
.LBB62_424:
	s_or_b64 exec, exec, s[22:23]
.LBB62_425:
	s_mov_b64 s[0:1], -1
.LBB62_426:
	s_mov_b64 s[22:23], 0
.LBB62_427:
	s_and_b64 vcc, exec, s[22:23]
	s_cbranch_vccz .LBB62_462
; %bb.428:
	v_cmp_lt_i16_e32 vcc, 22, v9
	s_cbranch_vccz .LBB62_438
; %bb.429:
	v_cmp_gt_i16_e32 vcc, 24, v9
	s_cbranch_vccnz .LBB62_441
; %bb.430:
	v_cmp_lt_i16_e32 vcc, 24, v9
	s_cbranch_vccz .LBB62_442
; %bb.431:
	global_load_ubyte v4, v[2:3], off
	s_movk_i32 s0, 0x7f
                                        ; implicit-def: $sgpr22_sgpr23
	s_waitcnt vmcnt(0)
	v_cmp_lt_i16_e32 vcc, s0, v4
	s_mov_b64 s[0:1], 0
	s_and_saveexec_b64 s[26:27], vcc
	s_xor_b64 s[26:27], exec, s[26:27]
	s_cbranch_execz .LBB62_454
; %bb.432:
	s_movk_i32 s0, 0x80
	v_cmp_eq_u16_e32 vcc, s0, v4
	s_mov_b64 s[28:29], -1
                                        ; implicit-def: $sgpr22_sgpr23
	s_and_saveexec_b64 s[0:1], vcc
; %bb.433:
	s_mov_b32 s23, 0x7ff80000
	s_brev_b32 s22, 4
	s_xor_b64 s[28:29], exec, -1
; %bb.434:
	s_or_b64 exec, exec, s[0:1]
	s_and_b64 s[0:1], s[28:29], exec
	s_or_saveexec_b64 s[26:27], s[26:27]
	v_pk_mov_b32 v[0:1], s[22:23], s[22:23] op_sel:[0,1]
	s_xor_b64 exec, exec, s[26:27]
	s_cbranch_execnz .LBB62_455
.LBB62_435:
	s_or_b64 exec, exec, s[26:27]
	s_and_saveexec_b64 s[22:23], s[0:1]
	s_cbranch_execz .LBB62_437
.LBB62_436:
	v_and_b32_e32 v1, 0xffff, v4
	v_lshlrev_b32_e32 v0, 24, v4
	v_and_b32_e32 v4, 3, v1
	v_ffbh_u32_e32 v6, v4
	v_min_u32_e32 v6, 32, v6
	v_subrev_u32_e32 v7, 29, v6
	v_bfe_u32 v5, v1, 2, 5
	v_lshlrev_b32_e32 v1, v7, v1
	v_sub_u32_e32 v6, 30, v6
	v_and_b32_e32 v1, 3, v1
	v_cmp_eq_u32_e32 vcc, 0, v5
	v_cndmask_b32_e32 v5, v5, v6, vcc
	v_cndmask_b32_e32 v1, v4, v1, vcc
	v_mov_b32_e32 v4, 0x37800000
	v_lshlrev_b32_e32 v1, 21, v1
	v_and_b32_e32 v0, 0x80000000, v0
	v_lshl_add_u32 v4, v5, 23, v4
	v_or3_b32 v0, v0, v4, v1
	v_cvt_f64_f32_e32 v[0:1], v0
.LBB62_437:
	s_or_b64 exec, exec, s[22:23]
	s_mov_b64 s[0:1], 0
	s_branch .LBB62_443
.LBB62_438:
	s_mov_b64 s[22:23], -1
                                        ; implicit-def: $vgpr0_vgpr1
	s_branch .LBB62_449
.LBB62_439:
	s_or_saveexec_b64 s[26:27], s[26:27]
	v_pk_mov_b32 v[0:1], s[22:23], s[22:23] op_sel:[0,1]
	s_xor_b64 exec, exec, s[26:27]
	s_cbranch_execz .LBB62_422
.LBB62_440:
	v_cmp_ne_u16_e32 vcc, 0, v4
	s_andn2_b64 s[0:1], s[0:1], exec
	s_and_b64 s[22:23], vcc, exec
	v_pk_mov_b32 v[0:1], 0, 0
	s_or_b64 s[0:1], s[0:1], s[22:23]
	s_or_b64 exec, exec, s[26:27]
	s_and_saveexec_b64 s[22:23], s[0:1]
	s_cbranch_execnz .LBB62_423
	s_branch .LBB62_424
.LBB62_441:
	s_mov_b64 s[0:1], -1
                                        ; implicit-def: $vgpr0_vgpr1
	s_branch .LBB62_446
.LBB62_442:
	s_mov_b64 s[0:1], -1
                                        ; implicit-def: $vgpr0_vgpr1
.LBB62_443:
	s_and_b64 vcc, exec, s[0:1]
	s_cbranch_vccz .LBB62_445
; %bb.444:
	global_load_ubyte v0, v[2:3], off
	s_mov_b32 s0, 0x7f800000
	s_waitcnt vmcnt(0)
	v_lshlrev_b32_e32 v0, 24, v0
	v_and_b32_e32 v1, 0x7f000000, v0
	v_ffbh_u32_e32 v4, v1
	v_min_u32_e32 v4, 32, v4
	v_sub_u32_e64 v4, v4, 4 clamp
	v_lshlrev_b32_e32 v6, v4, v1
	v_lshlrev_b32_e32 v4, 23, v4
	v_lshrrev_b32_e32 v6, 4, v6
	v_add_u32_e32 v5, 0x1000000, v1
	v_sub_u32_e32 v4, v6, v4
	v_ashrrev_i32_e32 v5, 8, v5
	v_add_u32_e32 v4, 0x3c000000, v4
	v_and_or_b32 v4, v5, s0, v4
	v_cmp_ne_u32_e32 vcc, 0, v1
	v_cndmask_b32_e32 v1, 0, v4, vcc
	s_brev_b32 s0, 1
	v_and_or_b32 v0, v0, s0, v1
	v_cvt_f64_f32_e32 v[0:1], v0
.LBB62_445:
	s_mov_b64 s[0:1], 0
.LBB62_446:
	s_andn2_b64 vcc, exec, s[0:1]
	s_cbranch_vccnz .LBB62_448
; %bb.447:
	global_load_ubyte v0, v[2:3], off
	s_movk_i32 s0, 0x7f00
	s_brev_b32 s1, 16
	s_waitcnt vmcnt(0)
	v_lshlrev_b16_e32 v1, 8, v0
	v_lshlrev_b32_e32 v0, 25, v0
	v_lshrrev_b32_e32 v4, 4, v0
	v_and_or_b32 v5, v1, s0, 0.5
	v_or_b32_e32 v4, 0x70000000, v4
	v_add_f32_e32 v5, -0.5, v5
	v_mul_f32_e32 v4, 0x7800000, v4
	v_cmp_gt_u32_e32 vcc, s1, v0
	v_bfe_i32 v1, v1, 0, 16
	v_cndmask_b32_e32 v0, v4, v5, vcc
	s_brev_b32 s0, 1
	v_and_or_b32 v0, v1, s0, v0
	v_cvt_f64_f32_e32 v[0:1], v0
.LBB62_448:
	s_mov_b64 s[22:23], 0
	s_mov_b64 s[0:1], -1
.LBB62_449:
	s_andn2_b64 vcc, exec, s[22:23]
	s_cbranch_vccnz .LBB62_462
; %bb.450:
	v_cmp_lt_i16_e32 vcc, 14, v9
	s_cbranch_vccz .LBB62_453
; %bb.451:
	v_cmp_eq_u16_e32 vcc, 15, v9
	s_cbranch_vccz .LBB62_456
; %bb.452:
	global_load_ushort v0, v[2:3], off
	s_mov_b64 s[0:1], -1
	s_mov_b64 s[20:21], 0
	s_waitcnt vmcnt(0)
	v_lshlrev_b32_e32 v0, 16, v0
	v_cvt_f64_f32_e32 v[0:1], v0
	s_branch .LBB62_457
.LBB62_453:
	s_mov_b64 s[22:23], -1
                                        ; implicit-def: $vgpr0_vgpr1
	s_branch .LBB62_458
.LBB62_454:
	s_or_saveexec_b64 s[26:27], s[26:27]
	v_pk_mov_b32 v[0:1], s[22:23], s[22:23] op_sel:[0,1]
	s_xor_b64 exec, exec, s[26:27]
	s_cbranch_execz .LBB62_435
.LBB62_455:
	v_cmp_ne_u16_e32 vcc, 0, v4
	s_andn2_b64 s[0:1], s[0:1], exec
	s_and_b64 s[22:23], vcc, exec
	v_pk_mov_b32 v[0:1], 0, 0
	s_or_b64 s[0:1], s[0:1], s[22:23]
	s_or_b64 exec, exec, s[26:27]
	s_and_saveexec_b64 s[22:23], s[0:1]
	s_cbranch_execnz .LBB62_436
	s_branch .LBB62_437
.LBB62_456:
	s_mov_b64 s[20:21], -1
                                        ; implicit-def: $vgpr0_vgpr1
.LBB62_457:
	s_mov_b64 s[22:23], 0
.LBB62_458:
	s_and_b64 vcc, exec, s[22:23]
	s_cbranch_vccz .LBB62_462
; %bb.459:
	v_cmp_eq_u16_e32 vcc, 11, v9
	s_cbranch_vccz .LBB62_461
; %bb.460:
	global_load_ubyte v1, v[2:3], off
	v_mov_b32_e32 v4, 0x3ff00000
	v_mov_b32_e32 v0, 0
	s_mov_b64 s[0:1], -1
	s_mov_b64 s[20:21], 0
	s_waitcnt vmcnt(0)
	v_cmp_ne_u16_e32 vcc, 0, v1
	v_cndmask_b32_e32 v1, 0, v4, vcc
	s_branch .LBB62_462
.LBB62_461:
	s_mov_b64 s[20:21], -1
                                        ; implicit-def: $vgpr0_vgpr1
.LBB62_462:
	s_branch .LBB62_265
.LBB62_463:
	v_cmp_gt_i16_e32 vcc, 5, v9
	s_cbranch_vccnz .LBB62_468
; %bb.464:
	v_cmp_gt_i16_e32 vcc, 8, v9
	s_cbranch_vccnz .LBB62_469
; %bb.465:
	;; [unrolled: 3-line block ×3, first 2 shown]
	v_cmp_lt_i16_e32 vcc, 9, v9
	s_cbranch_vccz .LBB62_471
; %bb.467:
	global_load_dwordx2 v[0:1], v[2:3], off
	s_mov_b64 s[0:1], 0
	s_branch .LBB62_472
.LBB62_468:
	s_mov_b64 s[0:1], -1
                                        ; implicit-def: $vgpr0_vgpr1
	s_branch .LBB62_490
.LBB62_469:
	s_mov_b64 s[0:1], -1
                                        ; implicit-def: $vgpr0_vgpr1
	s_branch .LBB62_478
.LBB62_470:
	s_mov_b64 s[0:1], -1
                                        ; implicit-def: $vgpr0_vgpr1
	s_branch .LBB62_475
.LBB62_471:
	s_mov_b64 s[0:1], -1
                                        ; implicit-def: $vgpr0_vgpr1
.LBB62_472:
	s_andn2_b64 vcc, exec, s[0:1]
	s_cbranch_vccnz .LBB62_474
; %bb.473:
	global_load_dword v0, v[2:3], off
	s_waitcnt vmcnt(0)
	v_cvt_f64_f32_e32 v[0:1], v0
.LBB62_474:
	s_mov_b64 s[0:1], 0
.LBB62_475:
	s_andn2_b64 vcc, exec, s[0:1]
	s_cbranch_vccnz .LBB62_477
; %bb.476:
	global_load_dword v0, v[2:3], off
	s_waitcnt vmcnt(0)
	v_cvt_f32_f16_e32 v0, v0
	v_cvt_f64_f32_e32 v[0:1], v0
.LBB62_477:
	s_mov_b64 s[0:1], 0
.LBB62_478:
	s_andn2_b64 vcc, exec, s[0:1]
	s_cbranch_vccnz .LBB62_489
; %bb.479:
	v_cmp_gt_i16_e32 vcc, 6, v9
	s_cbranch_vccnz .LBB62_482
; %bb.480:
	v_cmp_lt_i16_e32 vcc, 6, v9
	s_cbranch_vccz .LBB62_483
; %bb.481:
	global_load_dwordx2 v[0:1], v[2:3], off
	s_mov_b64 s[0:1], 0
	s_branch .LBB62_484
.LBB62_482:
	s_mov_b64 s[0:1], -1
                                        ; implicit-def: $vgpr0_vgpr1
	s_branch .LBB62_487
.LBB62_483:
	s_mov_b64 s[0:1], -1
                                        ; implicit-def: $vgpr0_vgpr1
.LBB62_484:
	s_andn2_b64 vcc, exec, s[0:1]
	s_cbranch_vccnz .LBB62_486
; %bb.485:
	global_load_dword v0, v[2:3], off
	s_waitcnt vmcnt(0)
	v_cvt_f64_f32_e32 v[0:1], v0
.LBB62_486:
	s_mov_b64 s[0:1], 0
.LBB62_487:
	s_andn2_b64 vcc, exec, s[0:1]
	s_cbranch_vccnz .LBB62_489
; %bb.488:
	global_load_ushort v0, v[2:3], off
	s_waitcnt vmcnt(0)
	v_cvt_f32_f16_e32 v0, v0
	v_cvt_f64_f32_e32 v[0:1], v0
.LBB62_489:
	s_mov_b64 s[0:1], 0
.LBB62_490:
	s_andn2_b64 vcc, exec, s[0:1]
	s_cbranch_vccnz .LBB62_510
; %bb.491:
	v_cmp_gt_i16_e32 vcc, 2, v9
	s_cbranch_vccnz .LBB62_495
; %bb.492:
	v_cmp_gt_i16_e32 vcc, 3, v9
	s_cbranch_vccnz .LBB62_496
; %bb.493:
	v_cmp_lt_i16_e32 vcc, 3, v9
	s_cbranch_vccz .LBB62_497
; %bb.494:
	global_load_dwordx2 v[0:1], v[2:3], off
	s_mov_b64 s[0:1], 0
	s_waitcnt vmcnt(0)
	v_cvt_f64_i32_e32 v[4:5], v1
	v_cvt_f64_u32_e32 v[0:1], v0
	v_ldexp_f64 v[4:5], v[4:5], 32
	v_add_f64 v[0:1], v[4:5], v[0:1]
	s_branch .LBB62_498
.LBB62_495:
	s_mov_b64 s[0:1], -1
                                        ; implicit-def: $vgpr0_vgpr1
	s_branch .LBB62_504
.LBB62_496:
	s_mov_b64 s[0:1], -1
                                        ; implicit-def: $vgpr0_vgpr1
	s_branch .LBB62_501
.LBB62_497:
	s_mov_b64 s[0:1], -1
                                        ; implicit-def: $vgpr0_vgpr1
.LBB62_498:
	s_andn2_b64 vcc, exec, s[0:1]
	s_cbranch_vccnz .LBB62_500
; %bb.499:
	global_load_dword v0, v[2:3], off
	s_waitcnt vmcnt(0)
	v_cvt_f64_i32_e32 v[0:1], v0
.LBB62_500:
	s_mov_b64 s[0:1], 0
.LBB62_501:
	s_andn2_b64 vcc, exec, s[0:1]
	s_cbranch_vccnz .LBB62_503
; %bb.502:
	global_load_sshort v0, v[2:3], off
	s_waitcnt vmcnt(0)
	v_cvt_f64_i32_e32 v[0:1], v0
.LBB62_503:
	s_mov_b64 s[0:1], 0
.LBB62_504:
	s_andn2_b64 vcc, exec, s[0:1]
	s_cbranch_vccnz .LBB62_510
; %bb.505:
	v_cmp_lt_i16_e32 vcc, 0, v9
	s_cbranch_vccz .LBB62_507
; %bb.506:
	global_load_sbyte v0, v[2:3], off
	s_mov_b64 s[0:1], 0
	s_waitcnt vmcnt(0)
	v_cvt_f64_i32_e32 v[0:1], v0
	s_branch .LBB62_508
.LBB62_507:
	s_mov_b64 s[0:1], -1
                                        ; implicit-def: $vgpr0_vgpr1
.LBB62_508:
	s_andn2_b64 vcc, exec, s[0:1]
	s_cbranch_vccnz .LBB62_510
; %bb.509:
	global_load_ubyte v0, v[2:3], off
	s_waitcnt vmcnt(0)
	v_cvt_f64_u32_e32 v[0:1], v0
.LBB62_510:
	s_branch .LBB62_266
.LBB62_511:
	s_mov_b64 s[26:27], 0
                                        ; implicit-def: $vgpr8
	s_mov_b64 s[0:1], s[14:15]
.LBB62_512:
	s_andn2_b64 s[22:23], s[14:15], exec
	s_and_b64 s[0:1], s[0:1], exec
	s_or_b64 s[22:23], s[22:23], s[0:1]
	s_andn2_b64 s[0:1], s[16:17], exec
	s_and_b64 s[20:21], s[20:21], exec
	s_or_b64 s[20:21], s[0:1], s[20:21]
	s_orn2_b64 s[0:1], s[26:27], exec
.LBB62_513:
	s_or_b64 exec, exec, s[24:25]
	s_mov_b64 s[26:27], 0
	s_mov_b64 s[28:29], 0
	;; [unrolled: 1-line block ×3, first 2 shown]
                                        ; implicit-def: $vgpr2_vgpr3
                                        ; implicit-def: $vgpr0_vgpr1
	s_and_saveexec_b64 s[24:25], s[0:1]
	s_cbranch_execz .LBB62_858
; %bb.514:
	v_cmp_gt_i32_e32 vcc, s2, v8
	s_mov_b64 s[36:37], -1
	s_mov_b64 s[0:1], s[20:21]
	s_mov_b64 s[30:31], s[22:23]
	s_and_saveexec_b64 s[26:27], vcc
	s_cbranch_execz .LBB62_772
; %bb.515:
	s_waitcnt vmcnt(0)
	v_mul_lo_u32 v0, v8, s13
	v_ashrrev_i32_e32 v1, 31, v0
	v_mov_b32_e32 v3, s11
	v_add_co_u32_e32 v2, vcc, s10, v0
	v_addc_co_u32_e32 v3, vcc, v3, v1, vcc
	v_cmp_gt_i16_e32 vcc, 11, v9
	s_cbranch_vccnz .LBB62_522
; %bb.516:
	v_cmp_lt_i16_e32 vcc, 25, v9
	s_cbranch_vccz .LBB62_523
; %bb.517:
	v_cmp_lt_i16_e32 vcc, 28, v9
	s_cbranch_vccz .LBB62_524
	;; [unrolled: 3-line block ×4, first 2 shown]
; %bb.520:
	v_cmp_eq_u16_e32 vcc, 46, v9
	s_mov_b64 s[30:31], 0
	s_cbranch_vccz .LBB62_531
; %bb.521:
	global_load_dword v0, v[2:3], off
	s_mov_b64 s[0:1], -1
	s_waitcnt vmcnt(0)
	v_lshlrev_b32_e32 v0, 16, v0
	v_cvt_f64_f32_e32 v[0:1], v0
	s_branch .LBB62_532
.LBB62_522:
	s_mov_b64 s[30:31], -1
	s_mov_b64 s[0:1], 0
                                        ; implicit-def: $vgpr0_vgpr1
	s_mov_b64 s[28:29], s[20:21]
	s_branch .LBB62_597
.LBB62_523:
	s_mov_b64 s[30:31], -1
	s_mov_b64 s[0:1], 0
	s_mov_b64 s[28:29], s[20:21]
                                        ; implicit-def: $vgpr0_vgpr1
	s_branch .LBB62_561
.LBB62_524:
	s_mov_b64 s[30:31], -1
	s_mov_b64 s[0:1], 0
	s_mov_b64 s[28:29], s[20:21]
                                        ; implicit-def: $vgpr0_vgpr1
	s_branch .LBB62_542
.LBB62_525:
	s_mov_b64 s[30:31], -1
	s_mov_b64 s[0:1], 0
	s_mov_b64 s[28:29], s[20:21]
                                        ; implicit-def: $vgpr0_vgpr1
	s_branch .LBB62_537
.LBB62_526:
	s_or_saveexec_b64 s[28:29], s[28:29]
                                        ; implicit-def: $sgpr30
	s_xor_b64 exec, exec, s[28:29]
	s_cbranch_execz .LBB62_311
.LBB62_527:
	s_mov_b32 s30, 0x46000000
	v_add_f32_e64 v3, |v2|, s30
	v_and_b32_e32 v3, 0xff, v3
	v_cmp_ne_u32_e32 vcc, 0, v3
	s_andn2_b64 s[26:27], s[26:27], exec
	s_and_b64 s[34:35], vcc, exec
	s_mov_b32 s30, 0
	s_or_b64 s[26:27], s[26:27], s[34:35]
	s_or_b64 exec, exec, s[28:29]
	v_mov_b32_e32 v6, s30
	s_and_saveexec_b64 s[28:29], s[26:27]
	s_cbranch_execnz .LBB62_312
	s_branch .LBB62_313
.LBB62_528:
	s_mov_b64 s[30:31], -1
	s_mov_b64 s[0:1], 0
	s_mov_b64 s[28:29], s[20:21]
                                        ; implicit-def: $vgpr0_vgpr1
	s_branch .LBB62_532
.LBB62_529:
	s_or_saveexec_b64 s[28:29], s[28:29]
                                        ; implicit-def: $sgpr30
	s_xor_b64 exec, exec, s[28:29]
	s_cbranch_execz .LBB62_324
.LBB62_530:
	s_mov_b32 s30, 0x42800000
	v_add_f32_e64 v3, |v2|, s30
	v_and_b32_e32 v3, 0xff, v3
	v_cmp_ne_u32_e32 vcc, 0, v3
	s_andn2_b64 s[26:27], s[26:27], exec
	s_and_b64 s[34:35], vcc, exec
	s_mov_b32 s30, 0
	s_or_b64 s[26:27], s[26:27], s[34:35]
	s_or_b64 exec, exec, s[28:29]
	v_mov_b32_e32 v6, s30
	s_and_saveexec_b64 s[28:29], s[26:27]
	s_cbranch_execnz .LBB62_325
	s_branch .LBB62_326
.LBB62_531:
	s_mov_b64 s[28:29], -1
                                        ; implicit-def: $vgpr0_vgpr1
	s_mov_b64 s[0:1], 0
.LBB62_532:
	s_and_b64 vcc, exec, s[30:31]
	s_cbranch_vccz .LBB62_536
; %bb.533:
	v_cmp_eq_u16_e32 vcc, 44, v9
	s_cbranch_vccz .LBB62_535
; %bb.534:
	global_load_ubyte v4, v[2:3], off
	s_movk_i32 s28, 0xff
	v_bfrev_b32_e32 v5, 4
	v_mov_b32_e32 v6, 0x7ff80000
	v_bfrev_b32_e32 v7, 28
	s_mov_b64 s[0:1], -1
	s_waitcnt vmcnt(0)
	v_lshlrev_b32_e32 v0, 23, v4
	v_cvt_f64_f32_e32 v[0:1], v0
	v_cmp_ne_u32_e32 vcc, s28, v4
	v_cndmask_b32_e32 v0, v5, v0, vcc
	v_cndmask_b32_e32 v1, v6, v1, vcc
	v_cmp_ne_u32_e32 vcc, 0, v4
	v_cndmask_b32_e32 v1, v7, v1, vcc
	v_cndmask_b32_e32 v0, 0, v0, vcc
	s_mov_b64 s[28:29], 0
	s_branch .LBB62_536
.LBB62_535:
	s_mov_b64 s[28:29], -1
                                        ; implicit-def: $vgpr0_vgpr1
.LBB62_536:
	s_mov_b64 s[30:31], 0
.LBB62_537:
	s_and_b64 vcc, exec, s[30:31]
	s_cbranch_vccz .LBB62_541
; %bb.538:
	v_cmp_eq_u16_e32 vcc, 29, v9
	s_cbranch_vccz .LBB62_540
; %bb.539:
	global_load_dwordx2 v[0:1], v[2:3], off
	s_mov_b64 s[0:1], -1
	s_mov_b64 s[28:29], 0
	s_mov_b64 s[30:31], 0
	s_waitcnt vmcnt(0)
	v_cvt_f64_u32_e32 v[4:5], v1
	v_cvt_f64_u32_e32 v[0:1], v0
	v_ldexp_f64 v[4:5], v[4:5], 32
	v_add_f64 v[0:1], v[4:5], v[0:1]
	s_branch .LBB62_542
.LBB62_540:
	s_mov_b64 s[28:29], -1
                                        ; implicit-def: $vgpr0_vgpr1
.LBB62_541:
	s_mov_b64 s[30:31], 0
.LBB62_542:
	s_and_b64 vcc, exec, s[30:31]
	s_cbranch_vccz .LBB62_560
; %bb.543:
	v_cmp_gt_i16_e32 vcc, 27, v9
	s_cbranch_vccnz .LBB62_546
; %bb.544:
	v_cmp_lt_i16_e32 vcc, 27, v9
	s_cbranch_vccz .LBB62_547
; %bb.545:
	global_load_dword v0, v[2:3], off
	s_mov_b64 s[0:1], 0
	s_waitcnt vmcnt(0)
	v_cvt_f64_u32_e32 v[0:1], v0
	s_branch .LBB62_548
.LBB62_546:
	s_mov_b64 s[0:1], -1
                                        ; implicit-def: $vgpr0_vgpr1
	s_branch .LBB62_551
.LBB62_547:
	s_mov_b64 s[0:1], -1
                                        ; implicit-def: $vgpr0_vgpr1
.LBB62_548:
	s_andn2_b64 vcc, exec, s[0:1]
	s_cbranch_vccnz .LBB62_550
; %bb.549:
	global_load_ushort v0, v[2:3], off
	s_waitcnt vmcnt(0)
	v_cvt_f64_u32_e32 v[0:1], v0
.LBB62_550:
	s_mov_b64 s[0:1], 0
.LBB62_551:
	s_andn2_b64 vcc, exec, s[0:1]
	s_cbranch_vccnz .LBB62_559
; %bb.552:
	global_load_ubyte v4, v[2:3], off
	s_movk_i32 s0, 0x7f
                                        ; implicit-def: $sgpr30_sgpr31
	s_waitcnt vmcnt(0)
	v_cmp_lt_i16_e32 vcc, s0, v4
	s_mov_b64 s[0:1], 0
	s_and_saveexec_b64 s[34:35], vcc
	s_xor_b64 s[34:35], exec, s[34:35]
	s_cbranch_execz .LBB62_573
; %bb.553:
	s_movk_i32 s0, 0x80
	v_cmp_eq_u16_e32 vcc, s0, v4
                                        ; implicit-def: $sgpr30_sgpr31
	s_and_saveexec_b64 s[0:1], vcc
; %bb.554:
	s_mov_b32 s31, 0x7ff80000
	s_brev_b32 s30, 4
	s_xor_b64 s[36:37], exec, -1
; %bb.555:
	s_or_b64 exec, exec, s[0:1]
	s_and_b64 s[0:1], s[36:37], exec
	s_or_saveexec_b64 s[34:35], s[34:35]
	v_pk_mov_b32 v[0:1], s[30:31], s[30:31] op_sel:[0,1]
	s_xor_b64 exec, exec, s[34:35]
	s_cbranch_execnz .LBB62_574
.LBB62_556:
	s_or_b64 exec, exec, s[34:35]
	s_and_saveexec_b64 s[30:31], s[0:1]
	s_cbranch_execz .LBB62_558
.LBB62_557:
	v_and_b32_e32 v1, 0xffff, v4
	v_lshlrev_b32_e32 v0, 24, v4
	v_and_b32_e32 v4, 7, v1
	v_ffbh_u32_e32 v6, v4
	v_min_u32_e32 v6, 32, v6
	v_subrev_u32_e32 v7, 28, v6
	v_bfe_u32 v5, v1, 3, 4
	v_lshlrev_b32_e32 v1, v7, v1
	v_sub_u32_e32 v6, 29, v6
	v_and_b32_e32 v1, 7, v1
	v_cmp_eq_u32_e32 vcc, 0, v5
	v_cndmask_b32_e32 v5, v5, v6, vcc
	v_cndmask_b32_e32 v1, v4, v1, vcc
	v_mov_b32_e32 v4, 0x3b800000
	v_lshlrev_b32_e32 v1, 20, v1
	v_and_b32_e32 v0, 0x80000000, v0
	v_lshl_add_u32 v4, v5, 23, v4
	v_or3_b32 v0, v0, v4, v1
	v_cvt_f64_f32_e32 v[0:1], v0
.LBB62_558:
	s_or_b64 exec, exec, s[30:31]
.LBB62_559:
	s_mov_b64 s[0:1], -1
.LBB62_560:
	s_mov_b64 s[30:31], 0
.LBB62_561:
	s_and_b64 vcc, exec, s[30:31]
	s_cbranch_vccz .LBB62_596
; %bb.562:
	v_cmp_lt_i16_e32 vcc, 22, v9
	s_cbranch_vccz .LBB62_572
; %bb.563:
	v_cmp_gt_i16_e32 vcc, 24, v9
	s_cbranch_vccnz .LBB62_575
; %bb.564:
	v_cmp_lt_i16_e32 vcc, 24, v9
	s_cbranch_vccz .LBB62_576
; %bb.565:
	global_load_ubyte v4, v[2:3], off
	s_movk_i32 s0, 0x7f
                                        ; implicit-def: $sgpr30_sgpr31
	s_waitcnt vmcnt(0)
	v_cmp_lt_i16_e32 vcc, s0, v4
	s_mov_b64 s[0:1], 0
	s_and_saveexec_b64 s[34:35], vcc
	s_xor_b64 s[34:35], exec, s[34:35]
	s_cbranch_execz .LBB62_588
; %bb.566:
	s_movk_i32 s0, 0x80
	v_cmp_eq_u16_e32 vcc, s0, v4
	s_mov_b64 s[36:37], -1
                                        ; implicit-def: $sgpr30_sgpr31
	s_and_saveexec_b64 s[0:1], vcc
; %bb.567:
	s_mov_b32 s31, 0x7ff80000
	s_brev_b32 s30, 4
	s_xor_b64 s[36:37], exec, -1
; %bb.568:
	s_or_b64 exec, exec, s[0:1]
	s_and_b64 s[0:1], s[36:37], exec
	s_or_saveexec_b64 s[34:35], s[34:35]
	v_pk_mov_b32 v[0:1], s[30:31], s[30:31] op_sel:[0,1]
	s_xor_b64 exec, exec, s[34:35]
	s_cbranch_execnz .LBB62_589
.LBB62_569:
	s_or_b64 exec, exec, s[34:35]
	s_and_saveexec_b64 s[30:31], s[0:1]
	s_cbranch_execz .LBB62_571
.LBB62_570:
	v_and_b32_e32 v1, 0xffff, v4
	v_lshlrev_b32_e32 v0, 24, v4
	v_and_b32_e32 v4, 3, v1
	v_ffbh_u32_e32 v6, v4
	v_min_u32_e32 v6, 32, v6
	v_subrev_u32_e32 v7, 29, v6
	v_bfe_u32 v5, v1, 2, 5
	v_lshlrev_b32_e32 v1, v7, v1
	v_sub_u32_e32 v6, 30, v6
	v_and_b32_e32 v1, 3, v1
	v_cmp_eq_u32_e32 vcc, 0, v5
	v_cndmask_b32_e32 v5, v5, v6, vcc
	v_cndmask_b32_e32 v1, v4, v1, vcc
	v_mov_b32_e32 v4, 0x37800000
	v_lshlrev_b32_e32 v1, 21, v1
	v_and_b32_e32 v0, 0x80000000, v0
	v_lshl_add_u32 v4, v5, 23, v4
	v_or3_b32 v0, v0, v4, v1
	v_cvt_f64_f32_e32 v[0:1], v0
.LBB62_571:
	s_or_b64 exec, exec, s[30:31]
	s_mov_b64 s[0:1], 0
	s_branch .LBB62_577
.LBB62_572:
	s_mov_b64 s[30:31], -1
                                        ; implicit-def: $vgpr0_vgpr1
	s_branch .LBB62_583
.LBB62_573:
	s_or_saveexec_b64 s[34:35], s[34:35]
	v_pk_mov_b32 v[0:1], s[30:31], s[30:31] op_sel:[0,1]
	s_xor_b64 exec, exec, s[34:35]
	s_cbranch_execz .LBB62_556
.LBB62_574:
	v_cmp_ne_u16_e32 vcc, 0, v4
	s_andn2_b64 s[0:1], s[0:1], exec
	s_and_b64 s[30:31], vcc, exec
	v_pk_mov_b32 v[0:1], 0, 0
	s_or_b64 s[0:1], s[0:1], s[30:31]
	s_or_b64 exec, exec, s[34:35]
	s_and_saveexec_b64 s[30:31], s[0:1]
	s_cbranch_execnz .LBB62_557
	s_branch .LBB62_558
.LBB62_575:
	s_mov_b64 s[0:1], -1
                                        ; implicit-def: $vgpr0_vgpr1
	s_branch .LBB62_580
.LBB62_576:
	s_mov_b64 s[0:1], -1
                                        ; implicit-def: $vgpr0_vgpr1
.LBB62_577:
	s_and_b64 vcc, exec, s[0:1]
	s_cbranch_vccz .LBB62_579
; %bb.578:
	global_load_ubyte v0, v[2:3], off
	s_mov_b32 s0, 0x7f800000
	s_waitcnt vmcnt(0)
	v_lshlrev_b32_e32 v0, 24, v0
	v_and_b32_e32 v1, 0x7f000000, v0
	v_ffbh_u32_e32 v4, v1
	v_min_u32_e32 v4, 32, v4
	v_sub_u32_e64 v4, v4, 4 clamp
	v_lshlrev_b32_e32 v6, v4, v1
	v_lshlrev_b32_e32 v4, 23, v4
	v_lshrrev_b32_e32 v6, 4, v6
	v_add_u32_e32 v5, 0x1000000, v1
	v_sub_u32_e32 v4, v6, v4
	v_ashrrev_i32_e32 v5, 8, v5
	v_add_u32_e32 v4, 0x3c000000, v4
	v_and_or_b32 v4, v5, s0, v4
	v_cmp_ne_u32_e32 vcc, 0, v1
	v_cndmask_b32_e32 v1, 0, v4, vcc
	s_brev_b32 s0, 1
	v_and_or_b32 v0, v0, s0, v1
	v_cvt_f64_f32_e32 v[0:1], v0
.LBB62_579:
	s_mov_b64 s[0:1], 0
.LBB62_580:
	s_andn2_b64 vcc, exec, s[0:1]
	s_cbranch_vccnz .LBB62_582
; %bb.581:
	global_load_ubyte v0, v[2:3], off
	s_movk_i32 s0, 0x7f00
	s_brev_b32 s1, 16
	s_waitcnt vmcnt(0)
	v_lshlrev_b16_e32 v1, 8, v0
	v_lshlrev_b32_e32 v0, 25, v0
	v_lshrrev_b32_e32 v4, 4, v0
	v_and_or_b32 v5, v1, s0, 0.5
	v_or_b32_e32 v4, 0x70000000, v4
	v_add_f32_e32 v5, -0.5, v5
	v_mul_f32_e32 v4, 0x7800000, v4
	v_cmp_gt_u32_e32 vcc, s1, v0
	v_bfe_i32 v1, v1, 0, 16
	v_cndmask_b32_e32 v0, v4, v5, vcc
	s_brev_b32 s0, 1
	v_and_or_b32 v0, v1, s0, v0
	v_cvt_f64_f32_e32 v[0:1], v0
.LBB62_582:
	s_mov_b64 s[30:31], 0
	s_mov_b64 s[0:1], -1
.LBB62_583:
	s_andn2_b64 vcc, exec, s[30:31]
	s_cbranch_vccnz .LBB62_596
; %bb.584:
	v_cmp_lt_i16_e32 vcc, 14, v9
	s_cbranch_vccz .LBB62_587
; %bb.585:
	v_cmp_eq_u16_e32 vcc, 15, v9
	s_cbranch_vccz .LBB62_590
; %bb.586:
	global_load_ushort v0, v[2:3], off
	s_mov_b64 s[0:1], -1
	s_mov_b64 s[28:29], 0
	s_waitcnt vmcnt(0)
	v_lshlrev_b32_e32 v0, 16, v0
	v_cvt_f64_f32_e32 v[0:1], v0
	s_branch .LBB62_591
.LBB62_587:
	s_mov_b64 s[30:31], -1
                                        ; implicit-def: $vgpr0_vgpr1
	s_branch .LBB62_592
.LBB62_588:
	s_or_saveexec_b64 s[34:35], s[34:35]
	v_pk_mov_b32 v[0:1], s[30:31], s[30:31] op_sel:[0,1]
	s_xor_b64 exec, exec, s[34:35]
	s_cbranch_execz .LBB62_569
.LBB62_589:
	v_cmp_ne_u16_e32 vcc, 0, v4
	s_andn2_b64 s[0:1], s[0:1], exec
	s_and_b64 s[30:31], vcc, exec
	v_pk_mov_b32 v[0:1], 0, 0
	s_or_b64 s[0:1], s[0:1], s[30:31]
	s_or_b64 exec, exec, s[34:35]
	s_and_saveexec_b64 s[30:31], s[0:1]
	s_cbranch_execnz .LBB62_570
	s_branch .LBB62_571
.LBB62_590:
	s_mov_b64 s[28:29], -1
                                        ; implicit-def: $vgpr0_vgpr1
.LBB62_591:
	s_mov_b64 s[30:31], 0
.LBB62_592:
	s_and_b64 vcc, exec, s[30:31]
	s_cbranch_vccz .LBB62_596
; %bb.593:
	v_cmp_eq_u16_e32 vcc, 11, v9
	s_cbranch_vccz .LBB62_595
; %bb.594:
	global_load_ubyte v1, v[2:3], off
	v_mov_b32_e32 v4, 0x3ff00000
	v_mov_b32_e32 v0, 0
	s_mov_b64 s[0:1], -1
	s_mov_b64 s[28:29], 0
	s_waitcnt vmcnt(0)
	v_cmp_ne_u16_e32 vcc, 0, v1
	v_cndmask_b32_e32 v1, 0, v4, vcc
	s_branch .LBB62_596
.LBB62_595:
	s_mov_b64 s[28:29], -1
                                        ; implicit-def: $vgpr0_vgpr1
.LBB62_596:
	s_mov_b64 s[30:31], 0
.LBB62_597:
	s_and_b64 vcc, exec, s[30:31]
	s_cbranch_vccz .LBB62_646
; %bb.598:
	v_cmp_gt_i16_e32 vcc, 5, v9
	s_cbranch_vccnz .LBB62_603
; %bb.599:
	v_cmp_gt_i16_e32 vcc, 8, v9
	s_cbranch_vccnz .LBB62_604
	;; [unrolled: 3-line block ×3, first 2 shown]
; %bb.601:
	v_cmp_lt_i16_e32 vcc, 9, v9
	s_cbranch_vccz .LBB62_606
; %bb.602:
	global_load_dwordx2 v[0:1], v[2:3], off
	s_mov_b64 s[0:1], 0
	s_branch .LBB62_607
.LBB62_603:
	s_mov_b64 s[0:1], -1
                                        ; implicit-def: $vgpr0_vgpr1
	s_branch .LBB62_625
.LBB62_604:
	s_mov_b64 s[0:1], -1
                                        ; implicit-def: $vgpr0_vgpr1
	s_branch .LBB62_613
.LBB62_605:
	s_mov_b64 s[0:1], -1
                                        ; implicit-def: $vgpr0_vgpr1
	s_branch .LBB62_610
.LBB62_606:
	s_mov_b64 s[0:1], -1
                                        ; implicit-def: $vgpr0_vgpr1
.LBB62_607:
	s_andn2_b64 vcc, exec, s[0:1]
	s_cbranch_vccnz .LBB62_609
; %bb.608:
	global_load_dword v0, v[2:3], off
	s_waitcnt vmcnt(0)
	v_cvt_f64_f32_e32 v[0:1], v0
.LBB62_609:
	s_mov_b64 s[0:1], 0
.LBB62_610:
	s_andn2_b64 vcc, exec, s[0:1]
	s_cbranch_vccnz .LBB62_612
; %bb.611:
	global_load_dword v0, v[2:3], off
	s_waitcnt vmcnt(0)
	v_cvt_f32_f16_e32 v0, v0
	v_cvt_f64_f32_e32 v[0:1], v0
.LBB62_612:
	s_mov_b64 s[0:1], 0
.LBB62_613:
	s_andn2_b64 vcc, exec, s[0:1]
	s_cbranch_vccnz .LBB62_624
; %bb.614:
	v_cmp_gt_i16_e32 vcc, 6, v9
	s_cbranch_vccnz .LBB62_617
; %bb.615:
	v_cmp_lt_i16_e32 vcc, 6, v9
	s_cbranch_vccz .LBB62_618
; %bb.616:
	global_load_dwordx2 v[0:1], v[2:3], off
	s_mov_b64 s[0:1], 0
	s_branch .LBB62_619
.LBB62_617:
	s_mov_b64 s[0:1], -1
                                        ; implicit-def: $vgpr0_vgpr1
	s_branch .LBB62_622
.LBB62_618:
	s_mov_b64 s[0:1], -1
                                        ; implicit-def: $vgpr0_vgpr1
.LBB62_619:
	s_andn2_b64 vcc, exec, s[0:1]
	s_cbranch_vccnz .LBB62_621
; %bb.620:
	global_load_dword v0, v[2:3], off
	s_waitcnt vmcnt(0)
	v_cvt_f64_f32_e32 v[0:1], v0
.LBB62_621:
	s_mov_b64 s[0:1], 0
.LBB62_622:
	s_andn2_b64 vcc, exec, s[0:1]
	s_cbranch_vccnz .LBB62_624
; %bb.623:
	global_load_ushort v0, v[2:3], off
	s_waitcnt vmcnt(0)
	v_cvt_f32_f16_e32 v0, v0
	v_cvt_f64_f32_e32 v[0:1], v0
.LBB62_624:
	s_mov_b64 s[0:1], 0
.LBB62_625:
	s_andn2_b64 vcc, exec, s[0:1]
	s_cbranch_vccnz .LBB62_645
; %bb.626:
	v_cmp_gt_i16_e32 vcc, 2, v9
	s_cbranch_vccnz .LBB62_630
; %bb.627:
	v_cmp_gt_i16_e32 vcc, 3, v9
	s_cbranch_vccnz .LBB62_631
; %bb.628:
	v_cmp_lt_i16_e32 vcc, 3, v9
	s_cbranch_vccz .LBB62_632
; %bb.629:
	global_load_dwordx2 v[0:1], v[2:3], off
	s_mov_b64 s[0:1], 0
	s_waitcnt vmcnt(0)
	v_cvt_f64_i32_e32 v[4:5], v1
	v_cvt_f64_u32_e32 v[0:1], v0
	v_ldexp_f64 v[4:5], v[4:5], 32
	v_add_f64 v[0:1], v[4:5], v[0:1]
	s_branch .LBB62_633
.LBB62_630:
	s_mov_b64 s[0:1], -1
                                        ; implicit-def: $vgpr0_vgpr1
	s_branch .LBB62_639
.LBB62_631:
	s_mov_b64 s[0:1], -1
                                        ; implicit-def: $vgpr0_vgpr1
	s_branch .LBB62_636
.LBB62_632:
	s_mov_b64 s[0:1], -1
                                        ; implicit-def: $vgpr0_vgpr1
.LBB62_633:
	s_andn2_b64 vcc, exec, s[0:1]
	s_cbranch_vccnz .LBB62_635
; %bb.634:
	global_load_dword v0, v[2:3], off
	s_waitcnt vmcnt(0)
	v_cvt_f64_i32_e32 v[0:1], v0
.LBB62_635:
	s_mov_b64 s[0:1], 0
.LBB62_636:
	s_andn2_b64 vcc, exec, s[0:1]
	s_cbranch_vccnz .LBB62_638
; %bb.637:
	global_load_sshort v0, v[2:3], off
	s_waitcnt vmcnt(0)
	v_cvt_f64_i32_e32 v[0:1], v0
.LBB62_638:
	s_mov_b64 s[0:1], 0
.LBB62_639:
	s_andn2_b64 vcc, exec, s[0:1]
	s_cbranch_vccnz .LBB62_645
; %bb.640:
	v_cmp_lt_i16_e32 vcc, 0, v9
	s_cbranch_vccz .LBB62_642
; %bb.641:
	global_load_sbyte v0, v[2:3], off
	s_mov_b64 s[0:1], 0
	s_waitcnt vmcnt(0)
	v_cvt_f64_i32_e32 v[0:1], v0
	s_branch .LBB62_643
.LBB62_642:
	s_mov_b64 s[0:1], -1
                                        ; implicit-def: $vgpr0_vgpr1
.LBB62_643:
	s_andn2_b64 vcc, exec, s[0:1]
	s_cbranch_vccnz .LBB62_645
; %bb.644:
	global_load_ubyte v0, v[2:3], off
	s_waitcnt vmcnt(0)
	v_cvt_f64_u32_e32 v[0:1], v0
.LBB62_645:
	s_mov_b64 s[0:1], -1
.LBB62_646:
	s_andn2_b64 vcc, exec, s[0:1]
	s_cbranch_vccnz .LBB62_654
; %bb.647:
	s_brev_b32 s0, -2
	v_mov_b32_e32 v2, s3
	s_waitcnt vmcnt(0)
	v_bfi_b32 v1, s0, v1, v2
	v_mul_lo_u32 v2, v8, s12
	v_ashrrev_i32_e32 v3, 31, v2
	v_mov_b32_e32 v5, s9
	v_add_co_u32_e32 v4, vcc, s8, v2
	v_mov_b32_e32 v2, 11
	v_addc_co_u32_e32 v5, vcc, v5, v3, vcc
	v_cmp_lt_i16_sdwa s[0:1], s33, v2 src0_sel:BYTE_0 src1_sel:DWORD
	s_and_b64 vcc, exec, s[0:1]
	s_cbranch_vccnz .LBB62_655
; %bb.648:
	v_mov_b32_e32 v2, 25
	v_cmp_gt_i16_sdwa s[0:1], s33, v2 src0_sel:BYTE_0 src1_sel:DWORD
	s_and_b64 vcc, exec, s[0:1]
	s_cbranch_vccz .LBB62_656
; %bb.649:
	v_mov_b32_e32 v2, 28
	v_cmp_gt_i16_sdwa s[0:1], s33, v2 src0_sel:BYTE_0 src1_sel:DWORD
	s_and_b64 vcc, exec, s[0:1]
	s_cbranch_vccz .LBB62_657
	;; [unrolled: 5-line block ×4, first 2 shown]
; %bb.652:
	v_mov_b32_e32 v2, 46
	v_cmp_eq_u16_sdwa s[30:31], s33, v2 src0_sel:BYTE_0 src1_sel:DWORD
	s_mov_b64 s[34:35], 0
	s_mov_b64 s[0:1], -1
	s_and_b64 vcc, exec, s[30:31]
	s_mov_b64 s[30:31], 0
	s_cbranch_vccz .LBB62_660
; %bb.653:
	v_cvt_f32_f64_e32 v2, v[0:1]
	v_bfe_u32 v3, v2, 16, 1
	s_movk_i32 s0, 0x7fff
	v_add3_u32 v3, v2, v3, s0
	v_lshrrev_b32_e32 v3, 16, v3
	v_mov_b32_e32 v6, 0x7fc0
	v_cmp_o_f32_e32 vcc, v2, v2
	v_cndmask_b32_e32 v2, v6, v3, vcc
	global_store_dword v[4:5], v2, off
	s_mov_b64 s[30:31], -1
	s_mov_b64 s[0:1], 0
	s_branch .LBB62_660
.LBB62_654:
	s_mov_b64 s[34:35], 0
                                        ; implicit-def: $vgpr8
	s_mov_b64 s[0:1], s[22:23]
	s_branch .LBB62_771
.LBB62_655:
	s_mov_b64 s[34:35], -1
	s_mov_b64 s[30:31], 0
	s_mov_b64 s[0:1], s[22:23]
	s_branch .LBB62_729
.LBB62_656:
	s_mov_b64 s[34:35], -1
	s_mov_b64 s[30:31], 0
	s_mov_b64 s[0:1], s[22:23]
	s_branch .LBB62_687
.LBB62_657:
	s_mov_b64 s[34:35], -1
	s_mov_b64 s[30:31], 0
	s_mov_b64 s[0:1], s[22:23]
	s_branch .LBB62_670
.LBB62_658:
	s_mov_b64 s[34:35], -1
	s_mov_b64 s[30:31], 0
	s_mov_b64 s[0:1], s[22:23]
	s_branch .LBB62_666
.LBB62_659:
	s_mov_b64 s[34:35], -1
	s_mov_b64 s[30:31], 0
	s_mov_b64 s[0:1], s[22:23]
.LBB62_660:
	s_and_b64 vcc, exec, s[34:35]
	s_cbranch_vccz .LBB62_665
; %bb.661:
	v_mov_b32_e32 v2, 44
	v_cmp_eq_u16_sdwa s[34:35], s33, v2 src0_sel:BYTE_0 src1_sel:DWORD
	s_mov_b64 s[0:1], -1
	s_and_b64 vcc, exec, s[34:35]
	s_cbranch_vccz .LBB62_665
; %bb.662:
	v_cvt_f32_f64_e32 v2, v[0:1]
	v_bfe_u32 v3, v2, 23, 8
	s_movk_i32 s0, 0xff
	v_cmp_ne_u32_e32 vcc, s0, v3
	v_mov_b32_e32 v6, 0xff
	s_and_saveexec_b64 s[30:31], vcc
; %bb.663:
	s_mov_b32 s0, 0x3fffff
	v_lshrrev_b32_e32 v6, 23, v2
	v_and_b32_e32 v7, 0x400000, v2
	v_and_or_b32 v2, v2, s0, v3
	v_cmp_ne_u32_e32 vcc, 0, v7
	v_cmp_ne_u32_e64 s[0:1], 0, v2
	s_and_b64 s[0:1], vcc, s[0:1]
	v_cndmask_b32_e64 v2, 0, 1, s[0:1]
	v_add_u32_e32 v6, v6, v2
; %bb.664:
	s_or_b64 exec, exec, s[30:31]
	s_mov_b64 s[30:31], -1
	s_mov_b64 s[0:1], 0
	global_store_byte v[4:5], v6, off
.LBB62_665:
	s_mov_b64 s[34:35], 0
.LBB62_666:
	s_and_b64 vcc, exec, s[34:35]
	s_cbranch_vccz .LBB62_669
; %bb.667:
	v_mov_b32_e32 v2, 29
	v_cmp_eq_u16_sdwa s[34:35], s33, v2 src0_sel:BYTE_0 src1_sel:DWORD
	s_mov_b64 s[0:1], -1
	s_and_b64 vcc, exec, s[34:35]
	s_cbranch_vccz .LBB62_669
; %bb.668:
	v_trunc_f64_e32 v[2:3], v[0:1]
	s_movk_i32 s0, 0xffe0
	v_ldexp_f64 v[6:7], v[2:3], s0
	v_floor_f64_e32 v[6:7], v[6:7]
	v_fmac_f64_e32 v[2:3], 0xc1f00000, v[6:7]
	v_cvt_u32_f64_e32 v11, v[6:7]
	v_cvt_u32_f64_e32 v10, v[2:3]
	global_store_dwordx2 v[4:5], v[10:11], off
	s_mov_b64 s[30:31], -1
	s_mov_b64 s[0:1], 0
.LBB62_669:
	s_mov_b64 s[34:35], 0
.LBB62_670:
	s_and_b64 vcc, exec, s[34:35]
	s_cbranch_vccz .LBB62_686
; %bb.671:
	v_mov_b32_e32 v2, 27
	v_cmp_lt_i16_sdwa s[34:35], s33, v2 src0_sel:BYTE_0 src1_sel:DWORD
	s_mov_b64 s[30:31], -1
	s_and_b64 vcc, exec, s[34:35]
	s_cbranch_vccnz .LBB62_677
; %bb.672:
	v_cmp_gt_i16_sdwa s[34:35], s33, v2 src0_sel:BYTE_0 src1_sel:DWORD
	s_and_b64 vcc, exec, s[34:35]
	v_cvt_u32_f64_e32 v2, v[0:1]
	s_cbranch_vccz .LBB62_674
; %bb.673:
	s_mov_b64 s[30:31], 0
	global_store_dword v[4:5], v2, off
.LBB62_674:
	s_andn2_b64 vcc, exec, s[30:31]
	s_cbranch_vccnz .LBB62_676
; %bb.675:
	global_store_short v[4:5], v2, off
.LBB62_676:
	s_mov_b64 s[30:31], 0
.LBB62_677:
	s_andn2_b64 vcc, exec, s[30:31]
	s_cbranch_vccnz .LBB62_685
; %bb.678:
	v_cvt_f32_f64_e32 v2, v[0:1]
	v_and_b32_e32 v3, 0x7fffffff, v2
	s_mov_b32 s30, 0x43800000
	v_cmp_gt_u32_e32 vcc, s30, v3
	v_mov_b32_e32 v6, 0x80
	s_and_saveexec_b64 s[30:31], vcc
	s_cbranch_execz .LBB62_684
; %bb.679:
	s_mov_b32 s34, 0x3bffffff
	v_cmp_lt_u32_e32 vcc, s34, v3
	s_mov_b64 s[34:35], 0
                                        ; implicit-def: $vgpr3
	s_and_saveexec_b64 s[36:37], vcc
	s_xor_b64 s[36:37], exec, s[36:37]
	s_cbranch_execz .LBB62_785
; %bb.680:
	v_bfe_u32 v3, v2, 20, 1
	s_mov_b32 s38, 0x487ffff
	v_add3_u32 v3, v2, v3, s38
	s_mov_b64 s[34:35], exec
	v_lshrrev_b32_e32 v3, 20, v3
	s_or_saveexec_b64 s[36:37], s[36:37]
                                        ; implicit-def: $sgpr38
	s_xor_b64 exec, exec, s[36:37]
	s_cbranch_execnz .LBB62_786
.LBB62_681:
	s_or_b64 exec, exec, s[36:37]
	v_mov_b32_e32 v6, s38
	s_and_saveexec_b64 s[36:37], s[34:35]
.LBB62_682:
	v_lshrrev_b32_e32 v2, 24, v2
	s_movk_i32 s34, 0x80
	v_and_or_b32 v6, v2, s34, v3
.LBB62_683:
	s_or_b64 exec, exec, s[36:37]
.LBB62_684:
	s_or_b64 exec, exec, s[30:31]
	global_store_byte v[4:5], v6, off
.LBB62_685:
	s_mov_b64 s[30:31], -1
.LBB62_686:
	s_mov_b64 s[34:35], 0
.LBB62_687:
	s_and_b64 vcc, exec, s[34:35]
	s_cbranch_vccz .LBB62_728
; %bb.688:
	v_mov_b32_e32 v2, 22
	v_cmp_gt_i16_sdwa s[36:37], s33, v2 src0_sel:BYTE_0 src1_sel:DWORD
	s_mov_b64 s[34:35], -1
	s_and_b64 vcc, exec, s[36:37]
	s_cbranch_vccz .LBB62_720
; %bb.689:
	v_mov_b32_e32 v2, 24
	v_cmp_lt_i16_sdwa s[34:35], s33, v2 src0_sel:BYTE_0 src1_sel:DWORD
	s_mov_b64 s[30:31], -1
	s_and_b64 vcc, exec, s[34:35]
	s_cbranch_vccnz .LBB62_709
; %bb.690:
	v_cmp_gt_i16_sdwa s[34:35], s33, v2 src0_sel:BYTE_0 src1_sel:DWORD
	s_and_b64 vcc, exec, s[34:35]
	s_cbranch_vccz .LBB62_698
; %bb.691:
	v_cvt_f32_f64_e32 v2, v[0:1]
	v_and_b32_e32 v3, 0x7fffffff, v2
	s_mov_b32 s30, 0x47800000
	v_cmp_gt_u32_e32 vcc, s30, v3
	v_mov_b32_e32 v6, 0x80
	s_and_saveexec_b64 s[30:31], vcc
	s_cbranch_execz .LBB62_697
; %bb.692:
	s_mov_b32 s34, 0x37ffffff
	v_cmp_lt_u32_e32 vcc, s34, v3
	s_mov_b64 s[34:35], 0
                                        ; implicit-def: $vgpr3
	s_and_saveexec_b64 s[36:37], vcc
	s_xor_b64 s[36:37], exec, s[36:37]
	s_cbranch_execz .LBB62_788
; %bb.693:
	v_bfe_u32 v3, v2, 21, 1
	s_mov_b32 s38, 0x88fffff
	v_add3_u32 v3, v2, v3, s38
	s_mov_b64 s[34:35], exec
	v_lshrrev_b32_e32 v3, 21, v3
	s_or_saveexec_b64 s[36:37], s[36:37]
                                        ; implicit-def: $sgpr38
	s_xor_b64 exec, exec, s[36:37]
	s_cbranch_execnz .LBB62_789
.LBB62_694:
	s_or_b64 exec, exec, s[36:37]
	v_mov_b32_e32 v6, s38
	s_and_saveexec_b64 s[36:37], s[34:35]
.LBB62_695:
	v_lshrrev_b32_e32 v2, 24, v2
	s_movk_i32 s34, 0x80
	v_and_or_b32 v6, v2, s34, v3
.LBB62_696:
	s_or_b64 exec, exec, s[36:37]
.LBB62_697:
	s_or_b64 exec, exec, s[30:31]
	s_mov_b64 s[30:31], 0
	global_store_byte v[4:5], v6, off
.LBB62_698:
	s_and_b64 vcc, exec, s[30:31]
	s_cbranch_vccz .LBB62_708
; %bb.699:
	v_cvt_f32_f64_e32 v2, v[0:1]
	v_and_b32_e32 v6, 0x7fffffff, v2
	s_mov_b32 s30, 0x43f00000
	v_cmp_gt_u32_e32 vcc, s30, v6
                                        ; implicit-def: $vgpr3
	s_and_saveexec_b64 s[30:31], vcc
	s_xor_b64 s[30:31], exec, s[30:31]
	s_cbranch_execz .LBB62_705
; %bb.700:
	s_mov_b32 s34, 0x3c7fffff
	v_cmp_lt_u32_e32 vcc, s34, v6
                                        ; implicit-def: $vgpr3
	s_and_saveexec_b64 s[34:35], vcc
	s_xor_b64 s[34:35], exec, s[34:35]
; %bb.701:
	v_bfe_u32 v3, v2, 20, 1
	s_mov_b32 s36, 0x407ffff
	v_add3_u32 v3, v2, v3, s36
	v_lshrrev_b32_e32 v6, 20, v3
	v_and_b32_e32 v3, 0xff00000, v3
	s_mov_b32 s36, 0x7f00000
	v_mov_b32_e32 v7, 0x7e
	v_cmp_ne_u32_e32 vcc, s36, v3
	v_cndmask_b32_e32 v3, v7, v6, vcc
; %bb.702:
	s_andn2_saveexec_b64 s[34:35], s[34:35]
; %bb.703:
	s_mov_b32 s36, 0x46800000
	v_add_f32_e64 v3, |v2|, s36
; %bb.704:
	s_or_b64 exec, exec, s[34:35]
                                        ; implicit-def: $vgpr6
.LBB62_705:
	s_andn2_saveexec_b64 s[30:31], s[30:31]
; %bb.706:
	s_mov_b32 s34, 0x7f800000
	v_mov_b32_e32 v3, 0x7e
	v_mov_b32_e32 v7, 0x7f
	v_cmp_lt_u32_e32 vcc, s34, v6
	v_cndmask_b32_e32 v3, v3, v7, vcc
; %bb.707:
	s_or_b64 exec, exec, s[30:31]
	v_lshrrev_b32_e32 v2, 24, v2
	s_movk_i32 s30, 0x80
	v_and_or_b32 v2, v2, s30, v3
	global_store_byte v[4:5], v2, off
.LBB62_708:
	s_mov_b64 s[30:31], 0
.LBB62_709:
	s_andn2_b64 vcc, exec, s[30:31]
	s_cbranch_vccnz .LBB62_719
; %bb.710:
	v_cvt_f32_f64_e32 v2, v[0:1]
	v_and_b32_e32 v6, 0x7fffffff, v2
	s_mov_b32 s30, 0x47800000
	v_cmp_gt_u32_e32 vcc, s30, v6
                                        ; implicit-def: $vgpr3
	s_and_saveexec_b64 s[30:31], vcc
	s_xor_b64 s[30:31], exec, s[30:31]
	s_cbranch_execz .LBB62_716
; %bb.711:
	s_mov_b32 s34, 0x387fffff
	v_cmp_lt_u32_e32 vcc, s34, v6
                                        ; implicit-def: $vgpr3
	s_and_saveexec_b64 s[34:35], vcc
	s_xor_b64 s[34:35], exec, s[34:35]
; %bb.712:
	v_bfe_u32 v3, v2, 21, 1
	s_mov_b32 s36, 0x80fffff
	v_add3_u32 v3, v2, v3, s36
	v_lshrrev_b32_e32 v3, 21, v3
; %bb.713:
	s_andn2_saveexec_b64 s[34:35], s[34:35]
; %bb.714:
	s_mov_b32 s36, 0x43000000
	v_add_f32_e64 v3, |v2|, s36
; %bb.715:
	s_or_b64 exec, exec, s[34:35]
                                        ; implicit-def: $vgpr6
.LBB62_716:
	s_andn2_saveexec_b64 s[30:31], s[30:31]
; %bb.717:
	s_mov_b32 s34, 0x7f800000
	v_mov_b32_e32 v3, 0x7c
	v_mov_b32_e32 v7, 0x7f
	v_cmp_lt_u32_e32 vcc, s34, v6
	v_cndmask_b32_e32 v3, v3, v7, vcc
; %bb.718:
	s_or_b64 exec, exec, s[30:31]
	v_lshrrev_b32_e32 v2, 24, v2
	s_movk_i32 s30, 0x80
	v_and_or_b32 v2, v2, s30, v3
	global_store_byte v[4:5], v2, off
.LBB62_719:
	s_mov_b64 s[34:35], 0
	s_mov_b64 s[30:31], -1
.LBB62_720:
	s_andn2_b64 vcc, exec, s[34:35]
	s_cbranch_vccnz .LBB62_728
; %bb.721:
	v_mov_b32_e32 v2, 14
	v_cmp_gt_i16_sdwa s[36:37], s33, v2 src0_sel:BYTE_0 src1_sel:DWORD
	s_mov_b64 s[34:35], -1
	s_and_b64 vcc, exec, s[36:37]
	s_cbranch_vccz .LBB62_725
; %bb.722:
	v_mov_b32_e32 v2, 15
	v_cmp_eq_u16_sdwa s[34:35], s33, v2 src0_sel:BYTE_0 src1_sel:DWORD
	s_mov_b64 s[0:1], -1
	s_and_b64 vcc, exec, s[34:35]
	s_cbranch_vccz .LBB62_724
; %bb.723:
	v_cvt_f32_f64_e32 v2, v[0:1]
	v_bfe_u32 v3, v2, 16, 1
	s_movk_i32 s0, 0x7fff
	v_add3_u32 v3, v2, v3, s0
	v_lshrrev_b32_e32 v3, 16, v3
	v_mov_b32_e32 v6, 0x7fc0
	v_cmp_o_f32_e32 vcc, v2, v2
	v_cndmask_b32_e32 v2, v6, v3, vcc
	global_store_short v[4:5], v2, off
	s_mov_b64 s[30:31], -1
	s_mov_b64 s[0:1], 0
.LBB62_724:
	s_mov_b64 s[34:35], 0
.LBB62_725:
	s_and_b64 vcc, exec, s[34:35]
	s_cbranch_vccz .LBB62_728
; %bb.726:
	v_mov_b32_e32 v2, 11
	v_cmp_eq_u16_sdwa s[34:35], s33, v2 src0_sel:BYTE_0 src1_sel:DWORD
	s_mov_b64 s[0:1], -1
	s_and_b64 vcc, exec, s[34:35]
	s_cbranch_vccz .LBB62_728
; %bb.727:
	v_cmp_neq_f64_e32 vcc, 0, v[0:1]
	s_mov_b64 s[0:1], 0
	v_cndmask_b32_e64 v2, 0, 1, vcc
	s_mov_b64 s[30:31], -1
	global_store_byte v[4:5], v2, off
.LBB62_728:
	s_mov_b64 s[34:35], 0
.LBB62_729:
	s_and_b64 vcc, exec, s[34:35]
	s_cbranch_vccz .LBB62_768
; %bb.730:
	v_mov_b32_e32 v2, 5
	v_cmp_lt_i16_sdwa s[34:35], s33, v2 src0_sel:BYTE_0 src1_sel:DWORD
	s_mov_b64 s[30:31], -1
	s_and_b64 vcc, exec, s[34:35]
	s_cbranch_vccnz .LBB62_751
; %bb.731:
	v_mov_b32_e32 v2, 8
	v_cmp_lt_i16_sdwa s[34:35], s33, v2 src0_sel:BYTE_0 src1_sel:DWORD
	s_and_b64 vcc, exec, s[34:35]
	s_cbranch_vccnz .LBB62_741
; %bb.732:
	v_mov_b32_e32 v2, 9
	v_cmp_lt_i16_sdwa s[34:35], s33, v2 src0_sel:BYTE_0 src1_sel:DWORD
	s_and_b64 vcc, exec, s[34:35]
	s_cbranch_vccnz .LBB62_738
; %bb.733:
	v_cmp_gt_i16_sdwa s[34:35], s33, v2 src0_sel:BYTE_0 src1_sel:DWORD
	s_and_b64 vcc, exec, s[34:35]
	s_cbranch_vccz .LBB62_735
; %bb.734:
	v_mov_b32_e32 v2, 0
	v_mov_b32_e32 v3, v2
	s_mov_b64 s[30:31], 0
	global_store_dwordx4 v[4:5], v[0:3], off
.LBB62_735:
	s_andn2_b64 vcc, exec, s[30:31]
	s_cbranch_vccnz .LBB62_737
; %bb.736:
	v_cvt_f32_f64_e32 v2, v[0:1]
	v_mov_b32_e32 v3, 0
	global_store_dwordx2 v[4:5], v[2:3], off
.LBB62_737:
	s_mov_b64 s[30:31], 0
.LBB62_738:
	s_andn2_b64 vcc, exec, s[30:31]
	s_cbranch_vccnz .LBB62_740
; %bb.739:
	v_cvt_f32_f64_e32 v2, v[0:1]
	v_cvt_f16_f32_e32 v2, v2
	global_store_dword v[4:5], v2, off
.LBB62_740:
	s_mov_b64 s[30:31], 0
.LBB62_741:
	s_andn2_b64 vcc, exec, s[30:31]
	s_cbranch_vccnz .LBB62_750
; %bb.742:
	v_mov_b32_e32 v2, 6
	v_cmp_lt_i16_sdwa s[34:35], s33, v2 src0_sel:BYTE_0 src1_sel:DWORD
	s_mov_b64 s[30:31], -1
	s_and_b64 vcc, exec, s[34:35]
	s_cbranch_vccnz .LBB62_748
; %bb.743:
	v_cmp_gt_i16_sdwa s[34:35], s33, v2 src0_sel:BYTE_0 src1_sel:DWORD
	s_and_b64 vcc, exec, s[34:35]
	s_cbranch_vccz .LBB62_745
; %bb.744:
	s_mov_b64 s[30:31], 0
	global_store_dwordx2 v[4:5], v[0:1], off
.LBB62_745:
	s_andn2_b64 vcc, exec, s[30:31]
	s_cbranch_vccnz .LBB62_747
; %bb.746:
	v_cvt_f32_f64_e32 v2, v[0:1]
	global_store_dword v[4:5], v2, off
.LBB62_747:
	s_mov_b64 s[30:31], 0
.LBB62_748:
	s_andn2_b64 vcc, exec, s[30:31]
	s_cbranch_vccnz .LBB62_750
; %bb.749:
	v_cvt_f32_f64_e32 v2, v[0:1]
	v_cvt_f16_f32_e32 v2, v2
	global_store_short v[4:5], v2, off
.LBB62_750:
	s_mov_b64 s[30:31], 0
.LBB62_751:
	s_andn2_b64 vcc, exec, s[30:31]
	s_cbranch_vccnz .LBB62_767
; %bb.752:
	v_mov_b32_e32 v2, 2
	v_cmp_lt_i16_sdwa s[34:35], s33, v2 src0_sel:BYTE_0 src1_sel:DWORD
	s_mov_b64 s[30:31], -1
	s_and_b64 vcc, exec, s[34:35]
	s_cbranch_vccnz .LBB62_762
; %bb.753:
	v_mov_b32_e32 v2, 3
	v_cmp_lt_i16_sdwa s[34:35], s33, v2 src0_sel:BYTE_0 src1_sel:DWORD
	s_and_b64 vcc, exec, s[34:35]
	s_cbranch_vccnz .LBB62_759
; %bb.754:
	v_cmp_gt_i16_sdwa s[34:35], s33, v2 src0_sel:BYTE_0 src1_sel:DWORD
	s_and_b64 vcc, exec, s[34:35]
	s_cbranch_vccz .LBB62_756
; %bb.755:
	v_trunc_f64_e32 v[2:3], v[0:1]
	s_movk_i32 s30, 0xffe0
	v_ldexp_f64 v[6:7], v[2:3], s30
	v_floor_f64_e32 v[6:7], v[6:7]
	v_fmac_f64_e32 v[2:3], 0xc1f00000, v[6:7]
	v_cvt_i32_f64_e32 v11, v[6:7]
	v_cvt_u32_f64_e32 v10, v[2:3]
	s_mov_b64 s[30:31], 0
	global_store_dwordx2 v[4:5], v[10:11], off
.LBB62_756:
	s_andn2_b64 vcc, exec, s[30:31]
	s_cbranch_vccnz .LBB62_758
; %bb.757:
	v_cvt_i32_f64_e32 v2, v[0:1]
	global_store_dword v[4:5], v2, off
.LBB62_758:
	s_mov_b64 s[30:31], 0
.LBB62_759:
	s_andn2_b64 vcc, exec, s[30:31]
	s_cbranch_vccnz .LBB62_761
; %bb.760:
	v_cvt_i32_f64_e32 v2, v[0:1]
	global_store_short v[4:5], v2, off
.LBB62_761:
	s_mov_b64 s[30:31], 0
.LBB62_762:
	s_andn2_b64 vcc, exec, s[30:31]
	s_cbranch_vccnz .LBB62_767
; %bb.763:
	v_mov_b32_e32 v2, 0
	v_cmp_gt_i16_sdwa s[34:35], s33, v2 src0_sel:BYTE_0 src1_sel:DWORD
	s_mov_b64 s[30:31], -1
	s_and_b64 vcc, exec, s[34:35]
	s_cbranch_vccz .LBB62_765
; %bb.764:
	v_cvt_i32_f64_e32 v2, v[0:1]
	s_mov_b64 s[30:31], 0
	global_store_byte v[4:5], v2, off
.LBB62_765:
	s_andn2_b64 vcc, exec, s[30:31]
	s_cbranch_vccnz .LBB62_767
; %bb.766:
	v_trunc_f64_e32 v[0:1], v[0:1]
	s_movk_i32 s30, 0xffe0
	v_ldexp_f64 v[2:3], v[0:1], s30
	v_floor_f64_e32 v[2:3], v[2:3]
	v_fmac_f64_e32 v[0:1], 0xc1f00000, v[2:3]
	v_cvt_u32_f64_e32 v0, v[0:1]
	global_store_byte v[4:5], v0, off
.LBB62_767:
	s_mov_b64 s[30:31], -1
.LBB62_768:
	s_andn2_b64 vcc, exec, s[30:31]
	s_cbranch_vccnz .LBB62_770
; %bb.769:
	v_add_u32_e32 v8, 0x80, v8
	s_mov_b64 s[34:35], -1
	s_branch .LBB62_771
.LBB62_770:
	s_mov_b64 s[34:35], 0
                                        ; implicit-def: $vgpr8
.LBB62_771:
	s_andn2_b64 s[30:31], s[22:23], exec
	s_and_b64 s[0:1], s[0:1], exec
	s_or_b64 s[30:31], s[30:31], s[0:1]
	s_andn2_b64 s[0:1], s[20:21], exec
	s_and_b64 s[28:29], s[28:29], exec
	s_or_b64 s[0:1], s[0:1], s[28:29]
	s_orn2_b64 s[36:37], s[34:35], exec
.LBB62_772:
	s_or_b64 exec, exec, s[26:27]
	s_mov_b64 s[34:35], 0
	s_mov_b64 s[28:29], 0
	s_mov_b64 s[38:39], 0
                                        ; implicit-def: $vgpr2_vgpr3
                                        ; implicit-def: $vgpr0_vgpr1
	s_and_saveexec_b64 s[26:27], s[36:37]
	s_cbranch_execz .LBB62_857
; %bb.773:
	v_cmp_gt_i32_e32 vcc, s2, v8
	s_mov_b64 s[36:37], 0
	s_mov_b64 s[40:41], s[0:1]
	;; [unrolled: 1-line block ×3, first 2 shown]
                                        ; implicit-def: $vgpr2_vgpr3
                                        ; implicit-def: $vgpr0_vgpr1
	s_and_saveexec_b64 s[28:29], vcc
	s_cbranch_execz .LBB62_856
; %bb.774:
	s_waitcnt vmcnt(0)
	v_mul_lo_u32 v0, v8, s13
	v_ashrrev_i32_e32 v1, 31, v0
	v_mov_b32_e32 v3, s11
	v_add_co_u32_e32 v2, vcc, s10, v0
	v_addc_co_u32_e32 v3, vcc, v3, v1, vcc
	v_cmp_gt_i16_e32 vcc, 11, v9
	s_cbranch_vccnz .LBB62_781
; %bb.775:
	v_cmp_lt_i16_e32 vcc, 25, v9
	s_cbranch_vccz .LBB62_782
; %bb.776:
	v_cmp_lt_i16_e32 vcc, 28, v9
	s_cbranch_vccz .LBB62_783
; %bb.777:
	v_cmp_lt_i16_e32 vcc, 43, v9
	s_cbranch_vccz .LBB62_784
; %bb.778:
	v_cmp_lt_i16_e32 vcc, 45, v9
	s_cbranch_vccz .LBB62_787
; %bb.779:
	v_cmp_eq_u16_e32 vcc, 46, v9
	s_mov_b64 s[40:41], 0
	s_cbranch_vccz .LBB62_790
; %bb.780:
	global_load_dword v0, v[2:3], off
	s_mov_b64 s[38:39], -1
	s_waitcnt vmcnt(0)
	v_lshlrev_b32_e32 v0, 16, v0
	v_cvt_f64_f32_e32 v[0:1], v0
	s_branch .LBB62_792
.LBB62_781:
	s_mov_b64 s[40:41], -1
                                        ; implicit-def: $vgpr0_vgpr1
	s_mov_b64 s[34:35], s[0:1]
	s_branch .LBB62_855
.LBB62_782:
	s_mov_b64 s[40:41], -1
	s_mov_b64 s[34:35], s[0:1]
                                        ; implicit-def: $vgpr0_vgpr1
	s_branch .LBB62_821
.LBB62_783:
	s_mov_b64 s[40:41], -1
	s_mov_b64 s[34:35], s[0:1]
                                        ; implicit-def: $vgpr0_vgpr1
	s_branch .LBB62_802
.LBB62_784:
	s_mov_b64 s[40:41], -1
	s_mov_b64 s[34:35], s[0:1]
                                        ; implicit-def: $vgpr0_vgpr1
	s_branch .LBB62_797
.LBB62_785:
	s_or_saveexec_b64 s[36:37], s[36:37]
                                        ; implicit-def: $sgpr38
	s_xor_b64 exec, exec, s[36:37]
	s_cbranch_execz .LBB62_681
.LBB62_786:
	s_mov_b32 s38, 0x46000000
	v_add_f32_e64 v3, |v2|, s38
	v_and_b32_e32 v3, 0xff, v3
	v_cmp_ne_u32_e32 vcc, 0, v3
	s_andn2_b64 s[34:35], s[34:35], exec
	s_and_b64 s[40:41], vcc, exec
	s_mov_b32 s38, 0
	s_or_b64 s[34:35], s[34:35], s[40:41]
	s_or_b64 exec, exec, s[36:37]
	v_mov_b32_e32 v6, s38
	s_and_saveexec_b64 s[36:37], s[34:35]
	s_cbranch_execnz .LBB62_682
	s_branch .LBB62_683
.LBB62_787:
	s_mov_b64 s[40:41], -1
	s_mov_b64 s[34:35], s[0:1]
	s_branch .LBB62_791
.LBB62_788:
	s_or_saveexec_b64 s[36:37], s[36:37]
                                        ; implicit-def: $sgpr38
	s_xor_b64 exec, exec, s[36:37]
	s_cbranch_execz .LBB62_694
.LBB62_789:
	s_mov_b32 s38, 0x42800000
	v_add_f32_e64 v3, |v2|, s38
	v_and_b32_e32 v3, 0xff, v3
	v_cmp_ne_u32_e32 vcc, 0, v3
	s_andn2_b64 s[34:35], s[34:35], exec
	s_and_b64 s[40:41], vcc, exec
	s_mov_b32 s38, 0
	s_or_b64 s[34:35], s[34:35], s[40:41]
	s_or_b64 exec, exec, s[36:37]
	v_mov_b32_e32 v6, s38
	s_and_saveexec_b64 s[36:37], s[34:35]
	s_cbranch_execnz .LBB62_695
	s_branch .LBB62_696
.LBB62_790:
	s_mov_b64 s[34:35], -1
.LBB62_791:
                                        ; implicit-def: $vgpr0_vgpr1
.LBB62_792:
	s_and_b64 vcc, exec, s[40:41]
	s_cbranch_vccz .LBB62_796
; %bb.793:
	v_cmp_eq_u16_e32 vcc, 44, v9
	s_cbranch_vccz .LBB62_795
; %bb.794:
	global_load_ubyte v4, v[2:3], off
	s_movk_i32 s2, 0xff
	v_bfrev_b32_e32 v5, 4
	v_mov_b32_e32 v6, 0x7ff80000
	v_bfrev_b32_e32 v7, 28
	s_mov_b64 s[34:35], 0
	s_mov_b64 s[38:39], -1
	s_waitcnt vmcnt(0)
	v_lshlrev_b32_e32 v0, 23, v4
	v_cvt_f64_f32_e32 v[0:1], v0
	v_cmp_ne_u32_e32 vcc, s2, v4
	v_cndmask_b32_e32 v0, v5, v0, vcc
	v_cndmask_b32_e32 v1, v6, v1, vcc
	v_cmp_ne_u32_e32 vcc, 0, v4
	v_cndmask_b32_e32 v1, v7, v1, vcc
	v_cndmask_b32_e32 v0, 0, v0, vcc
	s_branch .LBB62_796
.LBB62_795:
	s_mov_b64 s[34:35], -1
                                        ; implicit-def: $vgpr0_vgpr1
.LBB62_796:
	s_mov_b64 s[40:41], 0
.LBB62_797:
	s_and_b64 vcc, exec, s[40:41]
	s_cbranch_vccz .LBB62_801
; %bb.798:
	v_cmp_eq_u16_e32 vcc, 29, v9
	s_cbranch_vccz .LBB62_800
; %bb.799:
	global_load_dwordx2 v[0:1], v[2:3], off
	s_mov_b64 s[34:35], 0
	s_mov_b64 s[38:39], -1
	s_mov_b64 s[40:41], 0
	s_waitcnt vmcnt(0)
	v_cvt_f64_u32_e32 v[4:5], v1
	v_cvt_f64_u32_e32 v[0:1], v0
	v_ldexp_f64 v[4:5], v[4:5], 32
	v_add_f64 v[0:1], v[4:5], v[0:1]
	s_branch .LBB62_802
.LBB62_800:
	s_mov_b64 s[34:35], -1
                                        ; implicit-def: $vgpr0_vgpr1
.LBB62_801:
	s_mov_b64 s[40:41], 0
.LBB62_802:
	s_and_b64 vcc, exec, s[40:41]
	s_cbranch_vccz .LBB62_820
; %bb.803:
	v_cmp_gt_i16_e32 vcc, 27, v9
	s_cbranch_vccnz .LBB62_806
; %bb.804:
	v_cmp_lt_i16_e32 vcc, 27, v9
	s_cbranch_vccz .LBB62_807
; %bb.805:
	global_load_dword v0, v[2:3], off
	s_mov_b64 s[38:39], 0
	s_waitcnt vmcnt(0)
	v_cvt_f64_u32_e32 v[0:1], v0
	s_branch .LBB62_808
.LBB62_806:
	s_mov_b64 s[38:39], -1
                                        ; implicit-def: $vgpr0_vgpr1
	s_branch .LBB62_811
.LBB62_807:
	s_mov_b64 s[38:39], -1
                                        ; implicit-def: $vgpr0_vgpr1
.LBB62_808:
	s_andn2_b64 vcc, exec, s[38:39]
	s_cbranch_vccnz .LBB62_810
; %bb.809:
	global_load_ushort v0, v[2:3], off
	s_waitcnt vmcnt(0)
	v_cvt_f64_u32_e32 v[0:1], v0
.LBB62_810:
	s_mov_b64 s[38:39], 0
.LBB62_811:
	s_andn2_b64 vcc, exec, s[38:39]
	s_cbranch_vccnz .LBB62_819
; %bb.812:
	global_load_ubyte v4, v[2:3], off
	s_movk_i32 s2, 0x7f
	s_mov_b64 s[38:39], 0
                                        ; implicit-def: $sgpr40_sgpr41
	s_waitcnt vmcnt(0)
	v_cmp_lt_i16_e32 vcc, s2, v4
	s_and_saveexec_b64 s[42:43], vcc
	s_xor_b64 s[42:43], exec, s[42:43]
	s_cbranch_execz .LBB62_833
; %bb.813:
	s_movk_i32 s2, 0x80
	v_cmp_eq_u16_e32 vcc, s2, v4
	s_mov_b64 s[44:45], -1
                                        ; implicit-def: $sgpr40_sgpr41
	s_and_saveexec_b64 s[38:39], vcc
; %bb.814:
	s_mov_b32 s41, 0x7ff80000
	s_brev_b32 s40, 4
	s_xor_b64 s[44:45], exec, -1
; %bb.815:
	s_or_b64 exec, exec, s[38:39]
	s_and_b64 s[38:39], s[44:45], exec
	s_or_saveexec_b64 s[42:43], s[42:43]
	v_pk_mov_b32 v[0:1], s[40:41], s[40:41] op_sel:[0,1]
	s_xor_b64 exec, exec, s[42:43]
	s_cbranch_execnz .LBB62_834
.LBB62_816:
	s_or_b64 exec, exec, s[42:43]
	s_and_saveexec_b64 s[40:41], s[38:39]
	s_cbranch_execz .LBB62_818
.LBB62_817:
	v_and_b32_e32 v1, 0xffff, v4
	v_lshlrev_b32_e32 v0, 24, v4
	v_and_b32_e32 v4, 7, v1
	v_ffbh_u32_e32 v6, v4
	v_min_u32_e32 v6, 32, v6
	v_subrev_u32_e32 v7, 28, v6
	v_bfe_u32 v5, v1, 3, 4
	v_lshlrev_b32_e32 v1, v7, v1
	v_sub_u32_e32 v6, 29, v6
	v_and_b32_e32 v1, 7, v1
	v_cmp_eq_u32_e32 vcc, 0, v5
	v_cndmask_b32_e32 v5, v5, v6, vcc
	v_cndmask_b32_e32 v1, v4, v1, vcc
	v_mov_b32_e32 v4, 0x3b800000
	v_lshlrev_b32_e32 v1, 20, v1
	v_and_b32_e32 v0, 0x80000000, v0
	v_lshl_add_u32 v4, v5, 23, v4
	v_or3_b32 v0, v0, v4, v1
	v_cvt_f64_f32_e32 v[0:1], v0
.LBB62_818:
	s_or_b64 exec, exec, s[40:41]
.LBB62_819:
	s_mov_b64 s[38:39], -1
.LBB62_820:
	s_mov_b64 s[40:41], 0
.LBB62_821:
	s_and_b64 vcc, exec, s[40:41]
	s_cbranch_vccz .LBB62_854
; %bb.822:
	v_cmp_lt_i16_e32 vcc, 22, v9
	s_cbranch_vccz .LBB62_832
; %bb.823:
	v_cmp_gt_i16_e32 vcc, 24, v9
	s_cbranch_vccnz .LBB62_835
; %bb.824:
	v_cmp_lt_i16_e32 vcc, 24, v9
	s_cbranch_vccz .LBB62_836
; %bb.825:
	global_load_ubyte v4, v[2:3], off
	s_movk_i32 s2, 0x7f
                                        ; implicit-def: $sgpr38_sgpr39
	s_waitcnt vmcnt(0)
	v_cmp_lt_i16_e32 vcc, s2, v4
	s_and_saveexec_b64 s[40:41], vcc
	s_xor_b64 s[40:41], exec, s[40:41]
	s_cbranch_execz .LBB62_848
; %bb.826:
	s_movk_i32 s2, 0x80
	v_cmp_eq_u16_e32 vcc, s2, v4
	s_mov_b64 s[42:43], -1
                                        ; implicit-def: $sgpr38_sgpr39
	s_and_saveexec_b64 s[36:37], vcc
; %bb.827:
	s_mov_b32 s39, 0x7ff80000
	s_brev_b32 s38, 4
	s_xor_b64 s[42:43], exec, -1
; %bb.828:
	s_or_b64 exec, exec, s[36:37]
	s_and_b64 s[36:37], s[42:43], exec
	s_or_saveexec_b64 s[40:41], s[40:41]
	v_pk_mov_b32 v[0:1], s[38:39], s[38:39] op_sel:[0,1]
	s_xor_b64 exec, exec, s[40:41]
	s_cbranch_execnz .LBB62_849
.LBB62_829:
	s_or_b64 exec, exec, s[40:41]
	s_and_saveexec_b64 s[38:39], s[36:37]
	s_cbranch_execz .LBB62_831
.LBB62_830:
	v_and_b32_e32 v1, 0xffff, v4
	v_lshlrev_b32_e32 v0, 24, v4
	v_and_b32_e32 v4, 3, v1
	v_ffbh_u32_e32 v6, v4
	v_min_u32_e32 v6, 32, v6
	v_subrev_u32_e32 v7, 29, v6
	v_bfe_u32 v5, v1, 2, 5
	v_lshlrev_b32_e32 v1, v7, v1
	v_sub_u32_e32 v6, 30, v6
	v_and_b32_e32 v1, 3, v1
	v_cmp_eq_u32_e32 vcc, 0, v5
	v_cndmask_b32_e32 v5, v5, v6, vcc
	v_cndmask_b32_e32 v1, v4, v1, vcc
	v_mov_b32_e32 v4, 0x37800000
	v_lshlrev_b32_e32 v1, 21, v1
	v_and_b32_e32 v0, 0x80000000, v0
	v_lshl_add_u32 v4, v5, 23, v4
	v_or3_b32 v0, v0, v4, v1
	v_cvt_f64_f32_e32 v[0:1], v0
.LBB62_831:
	s_or_b64 exec, exec, s[38:39]
	s_mov_b64 s[36:37], 0
	s_branch .LBB62_837
.LBB62_832:
	s_mov_b64 s[36:37], -1
                                        ; implicit-def: $vgpr0_vgpr1
	s_branch .LBB62_843
.LBB62_833:
	s_or_saveexec_b64 s[42:43], s[42:43]
	v_pk_mov_b32 v[0:1], s[40:41], s[40:41] op_sel:[0,1]
	s_xor_b64 exec, exec, s[42:43]
	s_cbranch_execz .LBB62_816
.LBB62_834:
	v_cmp_ne_u16_e32 vcc, 0, v4
	s_andn2_b64 s[38:39], s[38:39], exec
	s_and_b64 s[40:41], vcc, exec
	v_pk_mov_b32 v[0:1], 0, 0
	s_or_b64 s[38:39], s[38:39], s[40:41]
	s_or_b64 exec, exec, s[42:43]
	s_and_saveexec_b64 s[40:41], s[38:39]
	s_cbranch_execnz .LBB62_817
	s_branch .LBB62_818
.LBB62_835:
	s_mov_b64 s[36:37], -1
                                        ; implicit-def: $vgpr0_vgpr1
	s_branch .LBB62_840
.LBB62_836:
	s_mov_b64 s[36:37], -1
                                        ; implicit-def: $vgpr0_vgpr1
.LBB62_837:
	s_and_b64 vcc, exec, s[36:37]
	s_cbranch_vccz .LBB62_839
; %bb.838:
	global_load_ubyte v0, v[2:3], off
	s_mov_b32 s2, 0x7f800000
	s_waitcnt vmcnt(0)
	v_lshlrev_b32_e32 v0, 24, v0
	v_and_b32_e32 v1, 0x7f000000, v0
	v_ffbh_u32_e32 v4, v1
	v_min_u32_e32 v4, 32, v4
	v_sub_u32_e64 v4, v4, 4 clamp
	v_lshlrev_b32_e32 v6, v4, v1
	v_lshlrev_b32_e32 v4, 23, v4
	v_lshrrev_b32_e32 v6, 4, v6
	v_add_u32_e32 v5, 0x1000000, v1
	v_sub_u32_e32 v4, v6, v4
	v_ashrrev_i32_e32 v5, 8, v5
	v_add_u32_e32 v4, 0x3c000000, v4
	v_and_or_b32 v4, v5, s2, v4
	v_cmp_ne_u32_e32 vcc, 0, v1
	v_cndmask_b32_e32 v1, 0, v4, vcc
	s_brev_b32 s2, 1
	v_and_or_b32 v0, v0, s2, v1
	v_cvt_f64_f32_e32 v[0:1], v0
.LBB62_839:
	s_mov_b64 s[36:37], 0
.LBB62_840:
	s_andn2_b64 vcc, exec, s[36:37]
	s_cbranch_vccnz .LBB62_842
; %bb.841:
	global_load_ubyte v0, v[2:3], off
	s_movk_i32 s2, 0x7f00
	s_brev_b32 s36, 16
	s_waitcnt vmcnt(0)
	v_lshlrev_b16_e32 v1, 8, v0
	v_lshlrev_b32_e32 v0, 25, v0
	v_lshrrev_b32_e32 v4, 4, v0
	v_and_or_b32 v5, v1, s2, 0.5
	v_or_b32_e32 v4, 0x70000000, v4
	v_add_f32_e32 v5, -0.5, v5
	v_mul_f32_e32 v4, 0x7800000, v4
	v_cmp_gt_u32_e32 vcc, s36, v0
	v_bfe_i32 v1, v1, 0, 16
	v_cndmask_b32_e32 v0, v4, v5, vcc
	s_brev_b32 s2, 1
	v_and_or_b32 v0, v1, s2, v0
	v_cvt_f64_f32_e32 v[0:1], v0
.LBB62_842:
	s_mov_b64 s[36:37], 0
	s_mov_b64 s[38:39], -1
.LBB62_843:
	s_andn2_b64 vcc, exec, s[36:37]
	s_mov_b64 s[36:37], 0
	s_cbranch_vccnz .LBB62_854
; %bb.844:
	v_cmp_lt_i16_e32 vcc, 14, v9
	s_cbranch_vccz .LBB62_847
; %bb.845:
	v_cmp_eq_u16_e32 vcc, 15, v9
	s_cbranch_vccz .LBB62_850
; %bb.846:
	global_load_ushort v0, v[2:3], off
	s_mov_b64 s[34:35], 0
	s_mov_b64 s[38:39], -1
	s_waitcnt vmcnt(0)
	v_lshlrev_b32_e32 v0, 16, v0
	v_cvt_f64_f32_e32 v[0:1], v0
	s_branch .LBB62_851
.LBB62_847:
	s_mov_b64 s[40:41], -1
                                        ; implicit-def: $vgpr0_vgpr1
	s_branch .LBB62_852
.LBB62_848:
	s_or_saveexec_b64 s[40:41], s[40:41]
	v_pk_mov_b32 v[0:1], s[38:39], s[38:39] op_sel:[0,1]
	s_xor_b64 exec, exec, s[40:41]
	s_cbranch_execz .LBB62_829
.LBB62_849:
	v_cmp_ne_u16_e32 vcc, 0, v4
	s_andn2_b64 s[36:37], s[36:37], exec
	s_and_b64 s[38:39], vcc, exec
	v_pk_mov_b32 v[0:1], 0, 0
	s_or_b64 s[36:37], s[36:37], s[38:39]
	s_or_b64 exec, exec, s[40:41]
	s_and_saveexec_b64 s[38:39], s[36:37]
	s_cbranch_execnz .LBB62_830
	s_branch .LBB62_831
.LBB62_850:
	s_mov_b64 s[34:35], -1
                                        ; implicit-def: $vgpr0_vgpr1
.LBB62_851:
	s_mov_b64 s[40:41], 0
.LBB62_852:
	s_and_b64 vcc, exec, s[40:41]
	s_cbranch_vccz .LBB62_854
; %bb.853:
	v_cmp_ne_u16_e32 vcc, 11, v9
	s_andn2_b64 s[34:35], s[34:35], exec
	s_and_b64 s[40:41], vcc, exec
	s_mov_b64 s[36:37], -1
	s_or_b64 s[34:35], s[34:35], s[40:41]
                                        ; implicit-def: $vgpr0_vgpr1
.LBB62_854:
	s_mov_b64 s[40:41], 0
.LBB62_855:
	s_and_b64 s[42:43], s[40:41], exec
	s_andn2_b64 s[40:41], s[0:1], exec
	s_and_b64 s[34:35], s[34:35], exec
	s_and_b64 s[38:39], s[38:39], exec
	;; [unrolled: 1-line block ×3, first 2 shown]
	s_or_b64 s[40:41], s[40:41], s[34:35]
.LBB62_856:
	s_or_b64 exec, exec, s[28:29]
	s_and_b64 s[34:35], s[36:37], exec
	s_andn2_b64 s[0:1], s[0:1], exec
	s_and_b64 s[36:37], s[40:41], exec
	s_and_b64 s[38:39], s[38:39], exec
	;; [unrolled: 1-line block ×3, first 2 shown]
	s_or_b64 s[0:1], s[0:1], s[36:37]
.LBB62_857:
	s_or_b64 exec, exec, s[26:27]
	s_andn2_b64 s[22:23], s[22:23], exec
	s_and_b64 s[26:27], s[30:31], exec
	s_andn2_b64 s[20:21], s[20:21], exec
	s_and_b64 s[0:1], s[0:1], exec
	s_or_b64 s[22:23], s[22:23], s[26:27]
	s_and_b64 s[30:31], s[38:39], exec
	s_and_b64 s[28:29], s[28:29], exec
	;; [unrolled: 1-line block ×3, first 2 shown]
	s_or_b64 s[20:21], s[20:21], s[0:1]
.LBB62_858:
	s_or_b64 exec, exec, s[24:25]
	s_andn2_b64 s[0:1], s[14:15], exec
	s_and_b64 s[14:15], s[22:23], exec
	s_andn2_b64 s[16:17], s[16:17], exec
	s_and_b64 s[20:21], s[20:21], exec
	s_or_b64 s[14:15], s[0:1], s[14:15]
	s_and_b64 s[0:1], s[30:31], exec
	s_and_b64 s[24:25], s[28:29], exec
	;; [unrolled: 1-line block ×3, first 2 shown]
	s_or_b64 s[16:17], s[16:17], s[20:21]
	s_or_b64 exec, exec, s[18:19]
	s_mov_b64 s[18:19], 0
	s_and_saveexec_b64 s[20:21], s[16:17]
	s_cbranch_execz .LBB62_262
.LBB62_859:
	s_mov_b64 s[18:19], exec
	s_andn2_b64 s[22:23], s[22:23], exec
	s_trap 2
                                        ; implicit-def: $vgpr0_vgpr1
	s_or_b64 exec, exec, s[20:21]
	s_and_saveexec_b64 s[16:17], s[22:23]
	s_xor_b64 s[16:17], exec, s[16:17]
	s_cbranch_execnz .LBB62_263
.LBB62_860:
	s_or_b64 exec, exec, s[16:17]
	s_and_saveexec_b64 s[16:17], s[24:25]
	s_cbranch_execz .LBB62_906
.LBB62_861:
	v_cmp_gt_i16_e32 vcc, 5, v9
	s_cbranch_vccnz .LBB62_866
; %bb.862:
	v_cmp_gt_i16_e32 vcc, 8, v9
	s_cbranch_vccnz .LBB62_867
; %bb.863:
	;; [unrolled: 3-line block ×3, first 2 shown]
	v_cmp_lt_i16_e32 vcc, 9, v9
	s_cbranch_vccz .LBB62_869
; %bb.865:
	global_load_dwordx2 v[0:1], v[2:3], off
	s_mov_b64 s[20:21], 0
	s_branch .LBB62_870
.LBB62_866:
                                        ; implicit-def: $vgpr0_vgpr1
	s_branch .LBB62_887
.LBB62_867:
                                        ; implicit-def: $vgpr0_vgpr1
	s_branch .LBB62_876
.LBB62_868:
	s_mov_b64 s[20:21], -1
                                        ; implicit-def: $vgpr0_vgpr1
	s_branch .LBB62_873
.LBB62_869:
	s_mov_b64 s[20:21], -1
                                        ; implicit-def: $vgpr0_vgpr1
.LBB62_870:
	s_andn2_b64 vcc, exec, s[20:21]
	s_cbranch_vccnz .LBB62_872
; %bb.871:
	global_load_dword v0, v[2:3], off
	s_waitcnt vmcnt(0)
	v_cvt_f64_f32_e32 v[0:1], v0
.LBB62_872:
	s_mov_b64 s[20:21], 0
.LBB62_873:
	s_andn2_b64 vcc, exec, s[20:21]
	s_cbranch_vccnz .LBB62_875
; %bb.874:
	global_load_dword v0, v[2:3], off
	s_waitcnt vmcnt(0)
	v_cvt_f32_f16_e32 v0, v0
	v_cvt_f64_f32_e32 v[0:1], v0
.LBB62_875:
	s_cbranch_execnz .LBB62_886
.LBB62_876:
	v_cmp_gt_i16_e32 vcc, 6, v9
	s_cbranch_vccnz .LBB62_879
; %bb.877:
	v_cmp_lt_i16_e32 vcc, 6, v9
	s_cbranch_vccz .LBB62_880
; %bb.878:
	global_load_dwordx2 v[0:1], v[2:3], off
	s_mov_b64 s[20:21], 0
	s_branch .LBB62_881
.LBB62_879:
	s_mov_b64 s[20:21], -1
                                        ; implicit-def: $vgpr0_vgpr1
	s_branch .LBB62_884
.LBB62_880:
	s_mov_b64 s[20:21], -1
                                        ; implicit-def: $vgpr0_vgpr1
.LBB62_881:
	s_andn2_b64 vcc, exec, s[20:21]
	s_cbranch_vccnz .LBB62_883
; %bb.882:
	global_load_dword v0, v[2:3], off
	s_waitcnt vmcnt(0)
	v_cvt_f64_f32_e32 v[0:1], v0
.LBB62_883:
	s_mov_b64 s[20:21], 0
.LBB62_884:
	s_andn2_b64 vcc, exec, s[20:21]
	s_cbranch_vccnz .LBB62_886
; %bb.885:
	global_load_ushort v0, v[2:3], off
	s_waitcnt vmcnt(0)
	v_cvt_f32_f16_e32 v0, v0
	v_cvt_f64_f32_e32 v[0:1], v0
.LBB62_886:
	s_cbranch_execnz .LBB62_905
.LBB62_887:
	v_cmp_gt_i16_e32 vcc, 2, v9
	s_cbranch_vccnz .LBB62_891
; %bb.888:
	v_cmp_gt_i16_e32 vcc, 3, v9
	s_cbranch_vccnz .LBB62_892
; %bb.889:
	v_cmp_lt_i16_e32 vcc, 3, v9
	s_cbranch_vccz .LBB62_893
; %bb.890:
	global_load_dwordx2 v[0:1], v[2:3], off
	s_mov_b64 s[20:21], 0
	s_waitcnt vmcnt(0)
	v_cvt_f64_i32_e32 v[4:5], v1
	v_cvt_f64_u32_e32 v[0:1], v0
	v_ldexp_f64 v[4:5], v[4:5], 32
	v_add_f64 v[0:1], v[4:5], v[0:1]
	s_branch .LBB62_894
.LBB62_891:
                                        ; implicit-def: $vgpr0_vgpr1
	s_branch .LBB62_900
.LBB62_892:
	s_mov_b64 s[20:21], -1
                                        ; implicit-def: $vgpr0_vgpr1
	s_branch .LBB62_897
.LBB62_893:
	s_mov_b64 s[20:21], -1
                                        ; implicit-def: $vgpr0_vgpr1
.LBB62_894:
	s_andn2_b64 vcc, exec, s[20:21]
	s_cbranch_vccnz .LBB62_896
; %bb.895:
	global_load_dword v0, v[2:3], off
	s_waitcnt vmcnt(0)
	v_cvt_f64_i32_e32 v[0:1], v0
.LBB62_896:
	s_mov_b64 s[20:21], 0
.LBB62_897:
	s_andn2_b64 vcc, exec, s[20:21]
	s_cbranch_vccnz .LBB62_899
; %bb.898:
	global_load_sshort v0, v[2:3], off
	s_waitcnt vmcnt(0)
	v_cvt_f64_i32_e32 v[0:1], v0
.LBB62_899:
	s_cbranch_execnz .LBB62_905
.LBB62_900:
	v_cmp_lt_i16_e32 vcc, 0, v9
	s_cbranch_vccz .LBB62_902
; %bb.901:
	global_load_sbyte v0, v[2:3], off
	s_mov_b64 s[20:21], 0
	s_waitcnt vmcnt(0)
	v_cvt_f64_i32_e32 v[0:1], v0
	s_branch .LBB62_903
.LBB62_902:
	s_mov_b64 s[20:21], -1
                                        ; implicit-def: $vgpr0_vgpr1
.LBB62_903:
	s_andn2_b64 vcc, exec, s[20:21]
	s_cbranch_vccnz .LBB62_905
; %bb.904:
	global_load_ubyte v0, v[2:3], off
	s_waitcnt vmcnt(0)
	v_cvt_f64_u32_e32 v[0:1], v0
.LBB62_905:
	s_or_b64 s[0:1], s[0:1], exec
.LBB62_906:
	s_or_b64 exec, exec, s[16:17]
	s_mov_b64 s[22:23], 0
	s_mov_b64 s[20:21], 0
                                        ; implicit-def: $vgpr6
                                        ; implicit-def: $vgpr4_vgpr5
	s_and_saveexec_b64 s[16:17], s[0:1]
	s_cbranch_execz .LBB62_981
; %bb.907:
	s_brev_b32 s0, -2
	v_mov_b32_e32 v2, s3
	s_waitcnt vmcnt(0)
	v_bfi_b32 v1, s0, v1, v2
	v_mul_lo_u32 v2, v8, s12
	v_ashrrev_i32_e32 v3, 31, v2
	v_mov_b32_e32 v5, s9
	v_add_co_u32_e32 v4, vcc, s8, v2
	v_mov_b32_e32 v2, 0xff
	v_addc_co_u32_e32 v5, vcc, v5, v3, vcc
	v_and_b32_e32 v6, s33, v2
	v_cmp_gt_i16_e32 vcc, 11, v6
	s_cbranch_vccnz .LBB62_984
; %bb.908:
	v_cmp_lt_i16_e32 vcc, 25, v6
	s_mov_b64 s[22:23], -1
	s_mov_b64 s[0:1], s[14:15]
	s_cbranch_vccz .LBB62_941
; %bb.909:
	v_cmp_lt_i16_e32 vcc, 28, v6
	s_mov_b64 s[20:21], -1
	s_mov_b64 s[0:1], s[14:15]
	s_cbranch_vccz .LBB62_925
; %bb.910:
	v_cmp_lt_i16_e32 vcc, 43, v6
	s_mov_b64 s[0:1], s[14:15]
	s_cbranch_vccz .LBB62_921
; %bb.911:
	v_cmp_lt_i16_e32 vcc, 45, v6
	s_mov_b64 s[0:1], s[14:15]
	s_cbranch_vccz .LBB62_915
; %bb.912:
	v_cmp_eq_u16_e32 vcc, 46, v6
	s_mov_b64 s[0:1], -1
	s_cbranch_vccz .LBB62_914
; %bb.913:
	v_cvt_f32_f64_e32 v2, v[0:1]
	v_bfe_u32 v3, v2, 16, 1
	s_movk_i32 s0, 0x7fff
	v_add3_u32 v3, v2, v3, s0
	v_lshrrev_b32_e32 v3, 16, v3
	v_mov_b32_e32 v7, 0x7fc0
	v_cmp_o_f32_e32 vcc, v2, v2
	v_cndmask_b32_e32 v2, v7, v3, vcc
	global_store_dword v[4:5], v2, off
	s_mov_b64 s[0:1], 0
.LBB62_914:
	s_mov_b64 s[20:21], 0
.LBB62_915:
	s_and_b64 vcc, exec, s[20:21]
	s_cbranch_vccz .LBB62_920
; %bb.916:
	v_cmp_eq_u16_e32 vcc, 44, v6
	s_mov_b64 s[0:1], -1
	s_cbranch_vccz .LBB62_920
; %bb.917:
	v_cvt_f32_f64_e32 v2, v[0:1]
	v_bfe_u32 v3, v2, 23, 8
	s_movk_i32 s0, 0xff
	v_cmp_ne_u32_e32 vcc, s0, v3
	v_mov_b32_e32 v7, 0xff
	s_and_saveexec_b64 s[20:21], vcc
; %bb.918:
	s_mov_b32 s0, 0x3fffff
	v_lshrrev_b32_e32 v7, 23, v2
	v_and_b32_e32 v8, 0x400000, v2
	v_and_or_b32 v2, v2, s0, v3
	v_cmp_ne_u32_e32 vcc, 0, v8
	v_cmp_ne_u32_e64 s[0:1], 0, v2
	s_and_b64 s[0:1], vcc, s[0:1]
	v_cndmask_b32_e64 v2, 0, 1, s[0:1]
	v_add_u32_e32 v7, v7, v2
; %bb.919:
	s_or_b64 exec, exec, s[20:21]
	s_mov_b64 s[0:1], 0
	global_store_byte v[4:5], v7, off
.LBB62_920:
	s_mov_b64 s[20:21], 0
.LBB62_921:
	s_and_b64 vcc, exec, s[20:21]
	s_cbranch_vccz .LBB62_924
; %bb.922:
	v_cmp_eq_u16_e32 vcc, 29, v6
	s_mov_b64 s[0:1], -1
	s_cbranch_vccz .LBB62_924
; %bb.923:
	v_trunc_f64_e32 v[2:3], v[0:1]
	s_movk_i32 s0, 0xffe0
	v_ldexp_f64 v[8:9], v[2:3], s0
	v_floor_f64_e32 v[8:9], v[8:9]
	v_fmac_f64_e32 v[2:3], 0xc1f00000, v[8:9]
	v_cvt_u32_f64_e32 v11, v[8:9]
	v_cvt_u32_f64_e32 v10, v[2:3]
	global_store_dwordx2 v[4:5], v[10:11], off
	s_mov_b64 s[0:1], 0
.LBB62_924:
	s_mov_b64 s[20:21], 0
.LBB62_925:
	s_and_b64 vcc, exec, s[20:21]
	s_cbranch_vccz .LBB62_940
; %bb.926:
	v_cmp_gt_i16_e32 vcc, 27, v6
	s_mov_b64 s[20:21], -1
	s_cbranch_vccnz .LBB62_932
; %bb.927:
	v_cmp_lt_i16_e32 vcc, 27, v6
	v_cvt_u32_f64_e32 v2, v[0:1]
	s_cbranch_vccz .LBB62_929
; %bb.928:
	s_mov_b64 s[20:21], 0
	global_store_dword v[4:5], v2, off
.LBB62_929:
	s_andn2_b64 vcc, exec, s[20:21]
	s_cbranch_vccnz .LBB62_931
; %bb.930:
	global_store_short v[4:5], v2, off
.LBB62_931:
	s_mov_b64 s[20:21], 0
.LBB62_932:
	s_andn2_b64 vcc, exec, s[20:21]
	s_cbranch_vccnz .LBB62_940
; %bb.933:
	v_cvt_f32_f64_e32 v2, v[0:1]
	v_and_b32_e32 v3, 0x7fffffff, v2
	s_mov_b32 s2, 0x43800000
	v_cmp_gt_u32_e32 vcc, s2, v3
	v_mov_b32_e32 v7, 0x80
	s_and_saveexec_b64 s[20:21], vcc
	s_cbranch_execz .LBB62_939
; %bb.934:
	s_mov_b32 s2, 0x3bffffff
	v_cmp_lt_u32_e32 vcc, s2, v3
	s_mov_b64 s[22:23], 0
                                        ; implicit-def: $vgpr3
	s_and_saveexec_b64 s[24:25], vcc
	s_xor_b64 s[24:25], exec, s[24:25]
	s_cbranch_execz .LBB62_1041
; %bb.935:
	v_bfe_u32 v3, v2, 20, 1
	s_mov_b32 s2, 0x487ffff
	v_add3_u32 v3, v2, v3, s2
	s_mov_b64 s[22:23], exec
	v_lshrrev_b32_e32 v3, 20, v3
	s_or_saveexec_b64 s[24:25], s[24:25]
                                        ; implicit-def: $sgpr2
	s_xor_b64 exec, exec, s[24:25]
	s_cbranch_execnz .LBB62_1042
.LBB62_936:
	s_or_b64 exec, exec, s[24:25]
	v_mov_b32_e32 v7, s2
	s_and_saveexec_b64 s[24:25], s[22:23]
.LBB62_937:
	v_lshrrev_b32_e32 v2, 24, v2
	s_movk_i32 s2, 0x80
	v_and_or_b32 v7, v2, s2, v3
.LBB62_938:
	s_or_b64 exec, exec, s[24:25]
.LBB62_939:
	s_or_b64 exec, exec, s[20:21]
	global_store_byte v[4:5], v7, off
.LBB62_940:
	s_mov_b64 s[22:23], 0
.LBB62_941:
	s_mov_b64 s[20:21], 0
	s_and_b64 vcc, exec, s[22:23]
	s_cbranch_vccz .LBB62_985
; %bb.942:
	v_cmp_lt_i16_e32 vcc, 22, v6
	s_mov_b64 s[22:23], -1
	s_cbranch_vccz .LBB62_974
; %bb.943:
	v_cmp_gt_i16_e32 vcc, 24, v6
	s_cbranch_vccnz .LBB62_963
; %bb.944:
	v_cmp_lt_i16_e32 vcc, 24, v6
	s_cbranch_vccz .LBB62_952
; %bb.945:
	v_cvt_f32_f64_e32 v2, v[0:1]
	v_and_b32_e32 v3, 0x7fffffff, v2
	s_mov_b32 s2, 0x47800000
	v_cmp_gt_u32_e32 vcc, s2, v3
	v_mov_b32_e32 v7, 0x80
	s_and_saveexec_b64 s[22:23], vcc
	s_cbranch_execz .LBB62_951
; %bb.946:
	s_mov_b32 s2, 0x37ffffff
	v_cmp_lt_u32_e32 vcc, s2, v3
	s_mov_b64 s[24:25], 0
                                        ; implicit-def: $vgpr3
	s_and_saveexec_b64 s[26:27], vcc
	s_xor_b64 s[26:27], exec, s[26:27]
	s_cbranch_execz .LBB62_1166
; %bb.947:
	v_bfe_u32 v3, v2, 21, 1
	s_mov_b32 s2, 0x88fffff
	v_add3_u32 v3, v2, v3, s2
	s_mov_b64 s[24:25], exec
	v_lshrrev_b32_e32 v3, 21, v3
	s_or_saveexec_b64 s[26:27], s[26:27]
                                        ; implicit-def: $sgpr2
	s_xor_b64 exec, exec, s[26:27]
	s_cbranch_execnz .LBB62_1167
.LBB62_948:
	s_or_b64 exec, exec, s[26:27]
	v_mov_b32_e32 v7, s2
	s_and_saveexec_b64 s[26:27], s[24:25]
.LBB62_949:
	v_lshrrev_b32_e32 v2, 24, v2
	s_movk_i32 s2, 0x80
	v_and_or_b32 v7, v2, s2, v3
.LBB62_950:
	s_or_b64 exec, exec, s[26:27]
.LBB62_951:
	s_or_b64 exec, exec, s[22:23]
	s_mov_b64 s[22:23], 0
	global_store_byte v[4:5], v7, off
.LBB62_952:
	s_and_b64 vcc, exec, s[22:23]
	s_cbranch_vccz .LBB62_962
; %bb.953:
	v_cvt_f32_f64_e32 v2, v[0:1]
	v_and_b32_e32 v7, 0x7fffffff, v2
	s_mov_b32 s2, 0x43f00000
	v_cmp_gt_u32_e32 vcc, s2, v7
                                        ; implicit-def: $vgpr3
	s_and_saveexec_b64 s[22:23], vcc
	s_xor_b64 s[22:23], exec, s[22:23]
	s_cbranch_execz .LBB62_959
; %bb.954:
	s_mov_b32 s2, 0x3c7fffff
	v_cmp_lt_u32_e32 vcc, s2, v7
                                        ; implicit-def: $vgpr3
	s_and_saveexec_b64 s[24:25], vcc
	s_xor_b64 s[24:25], exec, s[24:25]
; %bb.955:
	v_bfe_u32 v3, v2, 20, 1
	s_mov_b32 s2, 0x407ffff
	v_add3_u32 v3, v2, v3, s2
	v_lshrrev_b32_e32 v7, 20, v3
	v_and_b32_e32 v3, 0xff00000, v3
	s_mov_b32 s2, 0x7f00000
	v_mov_b32_e32 v8, 0x7e
	v_cmp_ne_u32_e32 vcc, s2, v3
	v_cndmask_b32_e32 v3, v8, v7, vcc
; %bb.956:
	s_andn2_saveexec_b64 s[24:25], s[24:25]
; %bb.957:
	s_mov_b32 s2, 0x46800000
	v_add_f32_e64 v3, |v2|, s2
; %bb.958:
	s_or_b64 exec, exec, s[24:25]
                                        ; implicit-def: $vgpr7
.LBB62_959:
	s_andn2_saveexec_b64 s[22:23], s[22:23]
; %bb.960:
	s_mov_b32 s2, 0x7f800000
	v_mov_b32_e32 v3, 0x7e
	v_mov_b32_e32 v8, 0x7f
	v_cmp_lt_u32_e32 vcc, s2, v7
	v_cndmask_b32_e32 v3, v3, v8, vcc
; %bb.961:
	s_or_b64 exec, exec, s[22:23]
	v_lshrrev_b32_e32 v2, 24, v2
	s_movk_i32 s2, 0x80
	v_and_or_b32 v2, v2, s2, v3
	global_store_byte v[4:5], v2, off
.LBB62_962:
	s_mov_b64 s[22:23], 0
.LBB62_963:
	s_andn2_b64 vcc, exec, s[22:23]
	s_cbranch_vccnz .LBB62_973
; %bb.964:
	v_cvt_f32_f64_e32 v2, v[0:1]
	v_and_b32_e32 v7, 0x7fffffff, v2
	s_mov_b32 s2, 0x47800000
	v_cmp_gt_u32_e32 vcc, s2, v7
                                        ; implicit-def: $vgpr3
	s_and_saveexec_b64 s[22:23], vcc
	s_xor_b64 s[22:23], exec, s[22:23]
	s_cbranch_execz .LBB62_970
; %bb.965:
	s_mov_b32 s2, 0x387fffff
	v_cmp_lt_u32_e32 vcc, s2, v7
                                        ; implicit-def: $vgpr3
	s_and_saveexec_b64 s[24:25], vcc
	s_xor_b64 s[24:25], exec, s[24:25]
; %bb.966:
	v_bfe_u32 v3, v2, 21, 1
	s_mov_b32 s2, 0x80fffff
	v_add3_u32 v3, v2, v3, s2
	v_lshrrev_b32_e32 v3, 21, v3
; %bb.967:
	s_andn2_saveexec_b64 s[24:25], s[24:25]
; %bb.968:
	s_mov_b32 s2, 0x43000000
	v_add_f32_e64 v3, |v2|, s2
; %bb.969:
	s_or_b64 exec, exec, s[24:25]
                                        ; implicit-def: $vgpr7
.LBB62_970:
	s_andn2_saveexec_b64 s[22:23], s[22:23]
; %bb.971:
	s_mov_b32 s2, 0x7f800000
	v_mov_b32_e32 v3, 0x7c
	v_mov_b32_e32 v8, 0x7f
	v_cmp_lt_u32_e32 vcc, s2, v7
	v_cndmask_b32_e32 v3, v3, v8, vcc
; %bb.972:
	s_or_b64 exec, exec, s[22:23]
	v_lshrrev_b32_e32 v2, 24, v2
	s_movk_i32 s2, 0x80
	v_and_or_b32 v2, v2, s2, v3
	global_store_byte v[4:5], v2, off
.LBB62_973:
	s_mov_b64 s[22:23], 0
.LBB62_974:
	s_andn2_b64 vcc, exec, s[22:23]
	s_mov_b64 s[22:23], 0
	s_cbranch_vccnz .LBB62_986
; %bb.975:
	v_cmp_lt_i16_e32 vcc, 14, v6
	s_mov_b64 s[24:25], -1
	s_cbranch_vccz .LBB62_979
; %bb.976:
	v_cmp_eq_u16_e32 vcc, 15, v6
	s_mov_b64 s[0:1], -1
	s_cbranch_vccz .LBB62_978
; %bb.977:
	v_cvt_f32_f64_e32 v2, v[0:1]
	v_bfe_u32 v3, v2, 16, 1
	s_movk_i32 s0, 0x7fff
	v_add3_u32 v3, v2, v3, s0
	v_lshrrev_b32_e32 v3, 16, v3
	v_mov_b32_e32 v7, 0x7fc0
	v_cmp_o_f32_e32 vcc, v2, v2
	v_cndmask_b32_e32 v2, v7, v3, vcc
	global_store_short v[4:5], v2, off
	s_mov_b64 s[0:1], 0
.LBB62_978:
	s_mov_b64 s[24:25], 0
.LBB62_979:
	s_and_b64 vcc, exec, s[24:25]
	s_cbranch_vccz .LBB62_986
; %bb.980:
	v_cmp_ne_u16_e32 vcc, 11, v6
	s_andn2_b64 s[0:1], s[0:1], exec
	s_and_b64 s[24:25], vcc, exec
	s_mov_b64 s[22:23], -1
	s_or_b64 s[0:1], s[0:1], s[24:25]
	s_branch .LBB62_986
.LBB62_981:
	s_or_b64 exec, exec, s[16:17]
	s_and_saveexec_b64 s[0:1], s[14:15]
	s_cbranch_execnz .LBB62_987
.LBB62_982:
	s_or_b64 exec, exec, s[0:1]
	s_and_saveexec_b64 s[0:1], s[22:23]
	s_xor_b64 s[0:1], exec, s[0:1]
	s_cbranch_execz .LBB62_988
.LBB62_983:
	s_waitcnt vmcnt(0)
	v_cmp_neq_f64_e32 vcc, 0, v[0:1]
	v_cndmask_b32_e64 v2, 0, 1, vcc
	global_store_byte v[4:5], v2, off
	s_or_b64 exec, exec, s[0:1]
	s_and_saveexec_b64 s[0:1], s[20:21]
	s_xor_b64 s[0:1], exec, s[0:1]
	s_cbranch_execz .LBB62_1026
	s_branch .LBB62_989
.LBB62_984:
	s_mov_b64 s[20:21], -1
	s_mov_b64 s[0:1], s[14:15]
	s_branch .LBB62_986
.LBB62_985:
	s_mov_b64 s[22:23], 0
.LBB62_986:
	s_andn2_b64 s[14:15], s[14:15], exec
	s_and_b64 s[0:1], s[0:1], exec
	s_and_b64 s[20:21], s[20:21], exec
	s_and_b64 s[22:23], s[22:23], exec
	s_or_b64 s[14:15], s[14:15], s[0:1]
	s_or_b64 exec, exec, s[16:17]
	s_and_saveexec_b64 s[0:1], s[14:15]
	s_cbranch_execz .LBB62_982
.LBB62_987:
	s_or_b64 s[18:19], s[18:19], exec
	s_andn2_b64 s[22:23], s[22:23], exec
	s_trap 2
	s_or_b64 exec, exec, s[0:1]
	s_and_saveexec_b64 s[0:1], s[22:23]
	s_xor_b64 s[0:1], exec, s[0:1]
	s_cbranch_execnz .LBB62_983
.LBB62_988:
	s_or_b64 exec, exec, s[0:1]
	s_and_saveexec_b64 s[0:1], s[20:21]
	s_xor_b64 s[0:1], exec, s[0:1]
	s_cbranch_execz .LBB62_1026
.LBB62_989:
	v_cmp_gt_i16_e32 vcc, 5, v6
	s_mov_b64 s[14:15], -1
	s_cbranch_vccnz .LBB62_1010
; %bb.990:
	v_cmp_gt_i16_e32 vcc, 8, v6
	s_cbranch_vccnz .LBB62_1000
; %bb.991:
	v_cmp_gt_i16_e32 vcc, 9, v6
	s_cbranch_vccnz .LBB62_997
; %bb.992:
	v_cmp_lt_i16_e32 vcc, 9, v6
	s_cbranch_vccz .LBB62_994
; %bb.993:
	v_mov_b32_e32 v2, 0
	v_mov_b32_e32 v3, v2
	s_mov_b64 s[14:15], 0
	s_waitcnt vmcnt(0)
	global_store_dwordx4 v[4:5], v[0:3], off
.LBB62_994:
	s_andn2_b64 vcc, exec, s[14:15]
	s_cbranch_vccnz .LBB62_996
; %bb.995:
	s_waitcnt vmcnt(0)
	v_cvt_f32_f64_e32 v2, v[0:1]
	v_mov_b32_e32 v3, 0
	global_store_dwordx2 v[4:5], v[2:3], off
.LBB62_996:
	s_mov_b64 s[14:15], 0
.LBB62_997:
	s_andn2_b64 vcc, exec, s[14:15]
	s_cbranch_vccnz .LBB62_999
; %bb.998:
	s_waitcnt vmcnt(0)
	v_cvt_f32_f64_e32 v2, v[0:1]
	v_cvt_f16_f32_e32 v2, v2
	global_store_dword v[4:5], v2, off
.LBB62_999:
	s_mov_b64 s[14:15], 0
.LBB62_1000:
	s_andn2_b64 vcc, exec, s[14:15]
	s_cbranch_vccnz .LBB62_1009
; %bb.1001:
	v_cmp_gt_i16_e32 vcc, 6, v6
	s_mov_b64 s[14:15], -1
	s_cbranch_vccnz .LBB62_1007
; %bb.1002:
	v_cmp_lt_i16_e32 vcc, 6, v6
	s_cbranch_vccz .LBB62_1004
; %bb.1003:
	s_mov_b64 s[14:15], 0
	s_waitcnt vmcnt(0)
	global_store_dwordx2 v[4:5], v[0:1], off
.LBB62_1004:
	s_andn2_b64 vcc, exec, s[14:15]
	s_cbranch_vccnz .LBB62_1006
; %bb.1005:
	s_waitcnt vmcnt(0)
	v_cvt_f32_f64_e32 v2, v[0:1]
	global_store_dword v[4:5], v2, off
.LBB62_1006:
	s_mov_b64 s[14:15], 0
.LBB62_1007:
	s_andn2_b64 vcc, exec, s[14:15]
	s_cbranch_vccnz .LBB62_1009
; %bb.1008:
	s_waitcnt vmcnt(0)
	v_cvt_f32_f64_e32 v2, v[0:1]
	v_cvt_f16_f32_e32 v2, v2
	global_store_short v[4:5], v2, off
.LBB62_1009:
	s_mov_b64 s[14:15], 0
.LBB62_1010:
	s_andn2_b64 vcc, exec, s[14:15]
	s_cbranch_vccnz .LBB62_1026
; %bb.1011:
	v_cmp_gt_i16_e32 vcc, 2, v6
	s_mov_b64 s[14:15], -1
	s_cbranch_vccnz .LBB62_1021
; %bb.1012:
	v_cmp_gt_i16_e32 vcc, 3, v6
	s_cbranch_vccnz .LBB62_1018
; %bb.1013:
	v_cmp_lt_i16_e32 vcc, 3, v6
	s_cbranch_vccz .LBB62_1015
; %bb.1014:
	s_waitcnt vmcnt(0)
	v_trunc_f64_e32 v[2:3], v[0:1]
	s_movk_i32 s2, 0xffe0
	v_ldexp_f64 v[8:9], v[2:3], s2
	v_floor_f64_e32 v[8:9], v[8:9]
	v_fmac_f64_e32 v[2:3], 0xc1f00000, v[8:9]
	v_cvt_i32_f64_e32 v11, v[8:9]
	v_cvt_u32_f64_e32 v10, v[2:3]
	s_mov_b64 s[14:15], 0
	global_store_dwordx2 v[4:5], v[10:11], off
.LBB62_1015:
	s_andn2_b64 vcc, exec, s[14:15]
	s_cbranch_vccnz .LBB62_1017
; %bb.1016:
	s_waitcnt vmcnt(0)
	v_cvt_i32_f64_e32 v2, v[0:1]
	global_store_dword v[4:5], v2, off
.LBB62_1017:
	s_mov_b64 s[14:15], 0
.LBB62_1018:
	s_andn2_b64 vcc, exec, s[14:15]
	s_cbranch_vccnz .LBB62_1020
; %bb.1019:
	s_waitcnt vmcnt(0)
	v_cvt_i32_f64_e32 v2, v[0:1]
	global_store_short v[4:5], v2, off
.LBB62_1020:
	s_mov_b64 s[14:15], 0
.LBB62_1021:
	s_andn2_b64 vcc, exec, s[14:15]
	s_cbranch_vccnz .LBB62_1026
; %bb.1022:
	v_cmp_lt_i16_e32 vcc, 0, v6
	s_mov_b64 s[14:15], -1
	s_cbranch_vccz .LBB62_1024
; %bb.1023:
	s_waitcnt vmcnt(0)
	v_cvt_i32_f64_e32 v2, v[0:1]
	s_mov_b64 s[14:15], 0
	global_store_byte v[4:5], v2, off
.LBB62_1024:
	s_andn2_b64 vcc, exec, s[14:15]
	s_cbranch_vccnz .LBB62_1026
; %bb.1025:
	s_waitcnt vmcnt(0)
	v_trunc_f64_e32 v[0:1], v[0:1]
	s_movk_i32 s2, 0xffe0
	v_ldexp_f64 v[2:3], v[0:1], s2
	v_floor_f64_e32 v[2:3], v[2:3]
	v_fmac_f64_e32 v[0:1], 0xc1f00000, v[2:3]
	v_cvt_u32_f64_e32 v0, v[0:1]
	global_store_byte v[4:5], v0, off
.LBB62_1026:
	s_or_b64 exec, exec, s[0:1]
	s_and_b64 s[14:15], s[18:19], exec
                                        ; implicit-def: $vgpr8
                                        ; implicit-def: $vgpr9
.LBB62_1027:
	s_or_saveexec_b64 s[6:7], s[6:7]
	s_mov_b64 s[0:1], 0
                                        ; implicit-def: $vgpr6
                                        ; implicit-def: $vgpr4_vgpr5
                                        ; implicit-def: $vgpr0_vgpr1
	s_xor_b64 exec, exec, s[6:7]
	s_cbranch_execz .LBB62_1995
; %bb.1028:
	v_mul_lo_u32 v4, s13, v8
	s_waitcnt vmcnt(0)
	v_ashrrev_i32_e32 v1, 31, v4
	v_mov_b32_e32 v2, s11
	v_add_co_u32_e32 v0, vcc, s10, v4
	v_addc_co_u32_e32 v1, vcc, v2, v1, vcc
	v_cmp_gt_i16_e64 s[0:1], 11, v9
	s_and_b64 vcc, exec, s[0:1]
	s_cbranch_vccnz .LBB62_1035
; %bb.1029:
	v_cmp_lt_i16_e32 vcc, 25, v9
	s_mov_b64 s[18:19], 0
	s_cbranch_vccz .LBB62_1037
; %bb.1030:
	v_cmp_lt_i16_e32 vcc, 28, v9
	s_cbranch_vccz .LBB62_1038
; %bb.1031:
	v_cmp_lt_i16_e32 vcc, 43, v9
	;; [unrolled: 3-line block ×3, first 2 shown]
	s_cbranch_vccz .LBB62_1040
; %bb.1033:
	v_cmp_eq_u16_e32 vcc, 46, v9
	s_mov_b64 s[16:17], 0
	s_cbranch_vccz .LBB62_1043
; %bb.1034:
	global_load_dword v2, v[0:1], off
	s_mov_b64 s[20:21], -1
	s_waitcnt vmcnt(0)
	v_lshlrev_b32_e32 v2, 16, v2
	v_cvt_f64_f32_e32 v[2:3], v2
	s_branch .LBB62_1044
.LBB62_1035:
	s_mov_b64 s[20:21], 0
                                        ; implicit-def: $vgpr2_vgpr3
	s_mov_b64 s[16:17], s[14:15]
	s_cbranch_execnz .LBB62_1107
.LBB62_1036:
	s_andn2_b64 vcc, exec, s[20:21]
	s_cbranch_vccz .LBB62_1152
	s_branch .LBB62_1993
.LBB62_1037:
	s_mov_b64 s[20:21], 0
                                        ; implicit-def: $vgpr2_vgpr3
	s_cbranch_execnz .LBB62_1072
	s_branch .LBB62_1103
.LBB62_1038:
	s_mov_b64 s[16:17], -1
	s_mov_b64 s[20:21], 0
                                        ; implicit-def: $vgpr2_vgpr3
	s_branch .LBB62_1053
.LBB62_1039:
	s_mov_b64 s[20:21], 0
                                        ; implicit-def: $vgpr2_vgpr3
	s_cbranch_execnz .LBB62_1049
	s_branch .LBB62_1052
.LBB62_1040:
	s_mov_b64 s[16:17], -1
	s_mov_b64 s[20:21], 0
                                        ; implicit-def: $vgpr2_vgpr3
	s_branch .LBB62_1044
.LBB62_1041:
	s_or_saveexec_b64 s[24:25], s[24:25]
                                        ; implicit-def: $sgpr2
	s_xor_b64 exec, exec, s[24:25]
	s_cbranch_execz .LBB62_936
.LBB62_1042:
	s_mov_b32 s2, 0x46000000
	v_add_f32_e64 v3, |v2|, s2
	v_and_b32_e32 v3, 0xff, v3
	v_cmp_ne_u32_e32 vcc, 0, v3
	s_andn2_b64 s[22:23], s[22:23], exec
	s_and_b64 s[26:27], vcc, exec
	s_mov_b32 s2, 0
	s_or_b64 s[22:23], s[22:23], s[26:27]
	s_or_b64 exec, exec, s[24:25]
	v_mov_b32_e32 v7, s2
	s_and_saveexec_b64 s[24:25], s[22:23]
	s_cbranch_execnz .LBB62_937
	s_branch .LBB62_938
.LBB62_1043:
	s_mov_b64 s[4:5], -1
                                        ; implicit-def: $vgpr2_vgpr3
	s_mov_b64 s[20:21], 0
.LBB62_1044:
	s_and_b64 vcc, exec, s[16:17]
	s_cbranch_vccz .LBB62_1047
; %bb.1045:
	v_cmp_eq_u16_e32 vcc, 44, v9
	s_cbranch_vccz .LBB62_1048
; %bb.1046:
	global_load_ubyte v5, v[0:1], off
	s_movk_i32 s2, 0xff
	v_bfrev_b32_e32 v6, 4
	v_mov_b32_e32 v7, 0x7ff80000
	v_bfrev_b32_e32 v10, 28
	s_mov_b64 s[4:5], 0
	s_mov_b64 s[20:21], -1
	s_waitcnt vmcnt(0)
	v_lshlrev_b32_e32 v2, 23, v5
	v_cvt_f64_f32_e32 v[2:3], v2
	v_cmp_ne_u32_e32 vcc, s2, v5
	v_cndmask_b32_e32 v2, v6, v2, vcc
	v_cndmask_b32_e32 v3, v7, v3, vcc
	v_cmp_ne_u32_e32 vcc, 0, v5
	v_cndmask_b32_e32 v3, v10, v3, vcc
	v_cndmask_b32_e32 v2, 0, v2, vcc
.LBB62_1047:
	s_branch .LBB62_1052
.LBB62_1048:
	s_mov_b64 s[4:5], -1
                                        ; implicit-def: $vgpr2_vgpr3
	s_branch .LBB62_1052
.LBB62_1049:
	v_cmp_eq_u16_e32 vcc, 29, v9
	s_cbranch_vccz .LBB62_1051
; %bb.1050:
	global_load_dwordx2 v[2:3], v[0:1], off
	s_mov_b64 s[4:5], 0
	s_mov_b64 s[20:21], -1
	s_mov_b64 s[16:17], 0
	s_waitcnt vmcnt(0)
	v_cvt_f64_u32_e32 v[6:7], v3
	v_cvt_f64_u32_e32 v[2:3], v2
	v_ldexp_f64 v[6:7], v[6:7], 32
	v_add_f64 v[2:3], v[6:7], v[2:3]
	s_branch .LBB62_1053
.LBB62_1051:
	s_mov_b64 s[4:5], -1
                                        ; implicit-def: $vgpr2_vgpr3
.LBB62_1052:
	s_mov_b64 s[16:17], 0
.LBB62_1053:
	s_and_b64 vcc, exec, s[16:17]
	s_cbranch_vccz .LBB62_1071
; %bb.1054:
	v_cmp_gt_i16_e32 vcc, 27, v9
	s_cbranch_vccnz .LBB62_1057
; %bb.1055:
	v_cmp_lt_i16_e32 vcc, 27, v9
	s_cbranch_vccz .LBB62_1058
; %bb.1056:
	global_load_dword v2, v[0:1], off
	s_mov_b64 s[16:17], 0
	s_waitcnt vmcnt(0)
	v_cvt_f64_u32_e32 v[2:3], v2
	s_branch .LBB62_1059
.LBB62_1057:
	s_mov_b64 s[16:17], -1
                                        ; implicit-def: $vgpr2_vgpr3
	s_branch .LBB62_1062
.LBB62_1058:
	s_mov_b64 s[16:17], -1
                                        ; implicit-def: $vgpr2_vgpr3
.LBB62_1059:
	s_andn2_b64 vcc, exec, s[16:17]
	s_cbranch_vccnz .LBB62_1061
; %bb.1060:
	global_load_ushort v2, v[0:1], off
	s_waitcnt vmcnt(0)
	v_cvt_f64_u32_e32 v[2:3], v2
.LBB62_1061:
	s_mov_b64 s[16:17], 0
.LBB62_1062:
	s_andn2_b64 vcc, exec, s[16:17]
	s_cbranch_vccnz .LBB62_1070
; %bb.1063:
	global_load_ubyte v5, v[0:1], off
	s_movk_i32 s2, 0x7f
	s_mov_b64 s[16:17], 0
                                        ; implicit-def: $sgpr20_sgpr21
	s_waitcnt vmcnt(0)
	v_cmp_lt_i16_e32 vcc, s2, v5
	s_and_saveexec_b64 s[22:23], vcc
	s_xor_b64 s[22:23], exec, s[22:23]
	s_cbranch_execz .LBB62_1083
; %bb.1064:
	s_movk_i32 s2, 0x80
	v_cmp_eq_u16_e32 vcc, s2, v5
	s_mov_b64 s[24:25], -1
                                        ; implicit-def: $sgpr20_sgpr21
	s_and_saveexec_b64 s[16:17], vcc
; %bb.1065:
	s_mov_b32 s21, 0x7ff80000
	s_brev_b32 s20, 4
	s_xor_b64 s[24:25], exec, -1
; %bb.1066:
	s_or_b64 exec, exec, s[16:17]
	s_and_b64 s[16:17], s[24:25], exec
	s_or_saveexec_b64 s[22:23], s[22:23]
	v_pk_mov_b32 v[2:3], s[20:21], s[20:21] op_sel:[0,1]
	s_xor_b64 exec, exec, s[22:23]
	s_cbranch_execnz .LBB62_1084
.LBB62_1067:
	s_or_b64 exec, exec, s[22:23]
	s_and_saveexec_b64 s[20:21], s[16:17]
	s_cbranch_execz .LBB62_1069
.LBB62_1068:
	v_and_b32_e32 v3, 0xffff, v5
	v_lshlrev_b32_e32 v2, 24, v5
	v_and_b32_e32 v5, 7, v3
	v_ffbh_u32_e32 v7, v5
	v_min_u32_e32 v7, 32, v7
	v_subrev_u32_e32 v10, 28, v7
	v_bfe_u32 v6, v3, 3, 4
	v_lshlrev_b32_e32 v3, v10, v3
	v_sub_u32_e32 v7, 29, v7
	v_and_b32_e32 v3, 7, v3
	v_cmp_eq_u32_e32 vcc, 0, v6
	v_cndmask_b32_e32 v6, v6, v7, vcc
	v_cndmask_b32_e32 v3, v5, v3, vcc
	v_mov_b32_e32 v5, 0x3b800000
	v_lshlrev_b32_e32 v3, 20, v3
	v_and_b32_e32 v2, 0x80000000, v2
	v_lshl_add_u32 v5, v6, 23, v5
	v_or3_b32 v2, v2, v5, v3
	v_cvt_f64_f32_e32 v[2:3], v2
.LBB62_1069:
	s_or_b64 exec, exec, s[20:21]
.LBB62_1070:
	s_mov_b64 s[20:21], -1
.LBB62_1071:
	s_branch .LBB62_1103
.LBB62_1072:
	v_cmp_lt_i16_e32 vcc, 22, v9
	s_cbranch_vccz .LBB62_1082
; %bb.1073:
	v_cmp_gt_i16_e32 vcc, 24, v9
	s_cbranch_vccnz .LBB62_1085
; %bb.1074:
	v_cmp_lt_i16_e32 vcc, 24, v9
	s_cbranch_vccz .LBB62_1086
; %bb.1075:
	global_load_ubyte v5, v[0:1], off
	s_movk_i32 s2, 0x7f
	s_mov_b64 s[16:17], 0
                                        ; implicit-def: $sgpr18_sgpr19
	s_waitcnt vmcnt(0)
	v_cmp_lt_i16_e32 vcc, s2, v5
	s_and_saveexec_b64 s[20:21], vcc
	s_xor_b64 s[20:21], exec, s[20:21]
	s_cbranch_execz .LBB62_1097
; %bb.1076:
	s_movk_i32 s2, 0x80
	v_cmp_eq_u16_e32 vcc, s2, v5
	s_mov_b64 s[22:23], -1
                                        ; implicit-def: $sgpr18_sgpr19
	s_and_saveexec_b64 s[16:17], vcc
; %bb.1077:
	s_mov_b32 s19, 0x7ff80000
	s_brev_b32 s18, 4
	s_xor_b64 s[22:23], exec, -1
; %bb.1078:
	s_or_b64 exec, exec, s[16:17]
	s_and_b64 s[16:17], s[22:23], exec
	s_or_saveexec_b64 s[20:21], s[20:21]
	v_pk_mov_b32 v[2:3], s[18:19], s[18:19] op_sel:[0,1]
	s_xor_b64 exec, exec, s[20:21]
	s_cbranch_execnz .LBB62_1098
.LBB62_1079:
	s_or_b64 exec, exec, s[20:21]
	s_and_saveexec_b64 s[18:19], s[16:17]
	s_cbranch_execz .LBB62_1081
.LBB62_1080:
	v_and_b32_e32 v3, 0xffff, v5
	v_lshlrev_b32_e32 v2, 24, v5
	v_and_b32_e32 v5, 3, v3
	v_ffbh_u32_e32 v7, v5
	v_min_u32_e32 v7, 32, v7
	v_subrev_u32_e32 v10, 29, v7
	v_bfe_u32 v6, v3, 2, 5
	v_lshlrev_b32_e32 v3, v10, v3
	v_sub_u32_e32 v7, 30, v7
	v_and_b32_e32 v3, 3, v3
	v_cmp_eq_u32_e32 vcc, 0, v6
	v_cndmask_b32_e32 v6, v6, v7, vcc
	v_cndmask_b32_e32 v3, v5, v3, vcc
	v_mov_b32_e32 v5, 0x37800000
	v_lshlrev_b32_e32 v3, 21, v3
	v_and_b32_e32 v2, 0x80000000, v2
	v_lshl_add_u32 v5, v6, 23, v5
	v_or3_b32 v2, v2, v5, v3
	v_cvt_f64_f32_e32 v[2:3], v2
.LBB62_1081:
	s_or_b64 exec, exec, s[18:19]
	s_mov_b64 s[16:17], 0
	s_branch .LBB62_1087
.LBB62_1082:
                                        ; implicit-def: $vgpr2_vgpr3
	s_mov_b64 s[18:19], 0
	s_branch .LBB62_1093
.LBB62_1083:
	s_or_saveexec_b64 s[22:23], s[22:23]
	v_pk_mov_b32 v[2:3], s[20:21], s[20:21] op_sel:[0,1]
	s_xor_b64 exec, exec, s[22:23]
	s_cbranch_execz .LBB62_1067
.LBB62_1084:
	v_cmp_ne_u16_e32 vcc, 0, v5
	s_andn2_b64 s[16:17], s[16:17], exec
	s_and_b64 s[20:21], vcc, exec
	v_pk_mov_b32 v[2:3], 0, 0
	s_or_b64 s[16:17], s[16:17], s[20:21]
	s_or_b64 exec, exec, s[22:23]
	s_and_saveexec_b64 s[20:21], s[16:17]
	s_cbranch_execnz .LBB62_1068
	s_branch .LBB62_1069
.LBB62_1085:
	s_mov_b64 s[16:17], -1
                                        ; implicit-def: $vgpr2_vgpr3
	s_branch .LBB62_1090
.LBB62_1086:
	s_mov_b64 s[16:17], -1
                                        ; implicit-def: $vgpr2_vgpr3
.LBB62_1087:
	s_and_b64 vcc, exec, s[16:17]
	s_cbranch_vccz .LBB62_1089
; %bb.1088:
	global_load_ubyte v2, v[0:1], off
	s_mov_b32 s2, 0x7f800000
	s_waitcnt vmcnt(0)
	v_lshlrev_b32_e32 v2, 24, v2
	v_and_b32_e32 v3, 0x7f000000, v2
	v_ffbh_u32_e32 v5, v3
	v_min_u32_e32 v5, 32, v5
	v_sub_u32_e64 v5, v5, 4 clamp
	v_lshlrev_b32_e32 v7, v5, v3
	v_lshlrev_b32_e32 v5, 23, v5
	v_lshrrev_b32_e32 v7, 4, v7
	v_add_u32_e32 v6, 0x1000000, v3
	v_sub_u32_e32 v5, v7, v5
	v_ashrrev_i32_e32 v6, 8, v6
	v_add_u32_e32 v5, 0x3c000000, v5
	v_and_or_b32 v5, v6, s2, v5
	v_cmp_ne_u32_e32 vcc, 0, v3
	v_cndmask_b32_e32 v3, 0, v5, vcc
	s_brev_b32 s2, 1
	v_and_or_b32 v2, v2, s2, v3
	v_cvt_f64_f32_e32 v[2:3], v2
.LBB62_1089:
	s_mov_b64 s[16:17], 0
.LBB62_1090:
	s_andn2_b64 vcc, exec, s[16:17]
	s_cbranch_vccnz .LBB62_1092
; %bb.1091:
	global_load_ubyte v2, v[0:1], off
	s_movk_i32 s2, 0x7f00
	s_brev_b32 s16, 16
	s_waitcnt vmcnt(0)
	v_lshlrev_b16_e32 v3, 8, v2
	v_lshlrev_b32_e32 v2, 25, v2
	v_lshrrev_b32_e32 v5, 4, v2
	v_and_or_b32 v6, v3, s2, 0.5
	v_or_b32_e32 v5, 0x70000000, v5
	v_add_f32_e32 v6, -0.5, v6
	v_mul_f32_e32 v5, 0x7800000, v5
	v_cmp_gt_u32_e32 vcc, s16, v2
	v_bfe_i32 v3, v3, 0, 16
	v_cndmask_b32_e32 v2, v5, v6, vcc
	s_brev_b32 s2, 1
	v_and_or_b32 v2, v3, s2, v2
	v_cvt_f64_f32_e32 v[2:3], v2
.LBB62_1092:
	s_mov_b64 s[20:21], -1
	s_mov_b64 s[18:19], 0
	s_cbranch_execnz .LBB62_1103
.LBB62_1093:
	v_cmp_lt_i16_e32 vcc, 14, v9
	s_cbranch_vccz .LBB62_1096
; %bb.1094:
	v_cmp_eq_u16_e32 vcc, 15, v9
	s_cbranch_vccz .LBB62_1099
; %bb.1095:
	global_load_ushort v2, v[0:1], off
	s_mov_b64 s[4:5], 0
	s_mov_b64 s[20:21], -1
	s_waitcnt vmcnt(0)
	v_lshlrev_b32_e32 v2, 16, v2
	v_cvt_f64_f32_e32 v[2:3], v2
	s_branch .LBB62_1100
.LBB62_1096:
	s_mov_b64 s[16:17], -1
                                        ; implicit-def: $vgpr2_vgpr3
	s_branch .LBB62_1101
.LBB62_1097:
	s_or_saveexec_b64 s[20:21], s[20:21]
	v_pk_mov_b32 v[2:3], s[18:19], s[18:19] op_sel:[0,1]
	s_xor_b64 exec, exec, s[20:21]
	s_cbranch_execz .LBB62_1079
.LBB62_1098:
	v_cmp_ne_u16_e32 vcc, 0, v5
	s_andn2_b64 s[16:17], s[16:17], exec
	s_and_b64 s[18:19], vcc, exec
	v_pk_mov_b32 v[2:3], 0, 0
	s_or_b64 s[16:17], s[16:17], s[18:19]
	s_or_b64 exec, exec, s[20:21]
	s_and_saveexec_b64 s[18:19], s[16:17]
	s_cbranch_execnz .LBB62_1080
	s_branch .LBB62_1081
.LBB62_1099:
	s_mov_b64 s[4:5], -1
                                        ; implicit-def: $vgpr2_vgpr3
.LBB62_1100:
	s_mov_b64 s[16:17], 0
.LBB62_1101:
	s_and_b64 vcc, exec, s[16:17]
	s_cbranch_vccz .LBB62_1103
; %bb.1102:
	v_cmp_ne_u16_e64 s[4:5], 11, v9
	s_mov_b64 s[18:19], -1
                                        ; implicit-def: $vgpr2_vgpr3
.LBB62_1103:
	s_and_b64 vcc, exec, s[4:5]
	s_mov_b64 s[16:17], s[14:15]
	s_cbranch_vccnz .LBB62_1164
; %bb.1104:
	s_andn2_b64 vcc, exec, s[18:19]
	s_cbranch_vccnz .LBB62_1106
.LBB62_1105:
	global_load_ubyte v3, v[0:1], off
	v_mov_b32_e32 v5, 0x3ff00000
	v_mov_b32_e32 v2, 0
	s_mov_b64 s[20:21], -1
	s_waitcnt vmcnt(0)
	v_cmp_ne_u16_e32 vcc, 0, v3
	v_cndmask_b32_e32 v3, 0, v5, vcc
.LBB62_1106:
	s_branch .LBB62_1036
.LBB62_1107:
	v_cmp_gt_i16_e32 vcc, 5, v9
	s_cbranch_vccnz .LBB62_1112
; %bb.1108:
	v_cmp_gt_i16_e32 vcc, 8, v9
	s_cbranch_vccnz .LBB62_1113
; %bb.1109:
	;; [unrolled: 3-line block ×3, first 2 shown]
	v_cmp_lt_i16_e32 vcc, 9, v9
	s_cbranch_vccz .LBB62_1115
; %bb.1111:
	global_load_dwordx2 v[2:3], v[0:1], off
	s_mov_b64 s[4:5], 0
	s_branch .LBB62_1116
.LBB62_1112:
                                        ; implicit-def: $vgpr2_vgpr3
	s_branch .LBB62_1133
.LBB62_1113:
                                        ; implicit-def: $vgpr2_vgpr3
	s_branch .LBB62_1122
.LBB62_1114:
	s_mov_b64 s[4:5], -1
                                        ; implicit-def: $vgpr2_vgpr3
	s_branch .LBB62_1119
.LBB62_1115:
	s_mov_b64 s[4:5], -1
                                        ; implicit-def: $vgpr2_vgpr3
.LBB62_1116:
	s_andn2_b64 vcc, exec, s[4:5]
	s_cbranch_vccnz .LBB62_1118
; %bb.1117:
	global_load_dword v2, v[0:1], off
	s_waitcnt vmcnt(0)
	v_cvt_f64_f32_e32 v[2:3], v2
.LBB62_1118:
	s_mov_b64 s[4:5], 0
.LBB62_1119:
	s_andn2_b64 vcc, exec, s[4:5]
	s_cbranch_vccnz .LBB62_1121
; %bb.1120:
	global_load_dword v2, v[0:1], off
	s_waitcnt vmcnt(0)
	v_cvt_f32_f16_e32 v2, v2
	v_cvt_f64_f32_e32 v[2:3], v2
.LBB62_1121:
	s_cbranch_execnz .LBB62_1132
.LBB62_1122:
	v_cmp_gt_i16_e32 vcc, 6, v9
	s_cbranch_vccnz .LBB62_1125
; %bb.1123:
	v_cmp_lt_i16_e32 vcc, 6, v9
	s_cbranch_vccz .LBB62_1126
; %bb.1124:
	global_load_dwordx2 v[2:3], v[0:1], off
	s_mov_b64 s[4:5], 0
	s_branch .LBB62_1127
.LBB62_1125:
	s_mov_b64 s[4:5], -1
                                        ; implicit-def: $vgpr2_vgpr3
	s_branch .LBB62_1130
.LBB62_1126:
	s_mov_b64 s[4:5], -1
                                        ; implicit-def: $vgpr2_vgpr3
.LBB62_1127:
	s_andn2_b64 vcc, exec, s[4:5]
	s_cbranch_vccnz .LBB62_1129
; %bb.1128:
	global_load_dword v2, v[0:1], off
	s_waitcnt vmcnt(0)
	v_cvt_f64_f32_e32 v[2:3], v2
.LBB62_1129:
	s_mov_b64 s[4:5], 0
.LBB62_1130:
	s_andn2_b64 vcc, exec, s[4:5]
	s_cbranch_vccnz .LBB62_1132
; %bb.1131:
	global_load_ushort v2, v[0:1], off
	s_waitcnt vmcnt(0)
	v_cvt_f32_f16_e32 v2, v2
	v_cvt_f64_f32_e32 v[2:3], v2
.LBB62_1132:
	s_cbranch_execnz .LBB62_1151
.LBB62_1133:
	v_cmp_gt_i16_e32 vcc, 2, v9
	s_cbranch_vccnz .LBB62_1137
; %bb.1134:
	v_cmp_gt_i16_e32 vcc, 3, v9
	s_cbranch_vccnz .LBB62_1138
; %bb.1135:
	v_cmp_lt_i16_e32 vcc, 3, v9
	s_cbranch_vccz .LBB62_1139
; %bb.1136:
	global_load_dwordx2 v[2:3], v[0:1], off
	s_mov_b64 s[4:5], 0
	s_waitcnt vmcnt(0)
	v_cvt_f64_i32_e32 v[6:7], v3
	v_cvt_f64_u32_e32 v[2:3], v2
	v_ldexp_f64 v[6:7], v[6:7], 32
	v_add_f64 v[2:3], v[6:7], v[2:3]
	s_branch .LBB62_1140
.LBB62_1137:
                                        ; implicit-def: $vgpr2_vgpr3
	s_branch .LBB62_1146
.LBB62_1138:
	s_mov_b64 s[4:5], -1
                                        ; implicit-def: $vgpr2_vgpr3
	s_branch .LBB62_1143
.LBB62_1139:
	s_mov_b64 s[4:5], -1
                                        ; implicit-def: $vgpr2_vgpr3
.LBB62_1140:
	s_andn2_b64 vcc, exec, s[4:5]
	s_cbranch_vccnz .LBB62_1142
; %bb.1141:
	global_load_dword v2, v[0:1], off
	s_waitcnt vmcnt(0)
	v_cvt_f64_i32_e32 v[2:3], v2
.LBB62_1142:
	s_mov_b64 s[4:5], 0
.LBB62_1143:
	s_andn2_b64 vcc, exec, s[4:5]
	s_cbranch_vccnz .LBB62_1145
; %bb.1144:
	global_load_sshort v2, v[0:1], off
	s_waitcnt vmcnt(0)
	v_cvt_f64_i32_e32 v[2:3], v2
.LBB62_1145:
	s_cbranch_execnz .LBB62_1151
.LBB62_1146:
	v_cmp_lt_i16_e32 vcc, 0, v9
	s_cbranch_vccz .LBB62_1148
; %bb.1147:
	global_load_sbyte v2, v[0:1], off
	s_mov_b64 s[4:5], 0
	s_waitcnt vmcnt(0)
	v_cvt_f64_i32_e32 v[2:3], v2
	s_branch .LBB62_1149
.LBB62_1148:
	s_mov_b64 s[4:5], -1
                                        ; implicit-def: $vgpr2_vgpr3
.LBB62_1149:
	s_andn2_b64 vcc, exec, s[4:5]
	s_cbranch_vccnz .LBB62_1151
; %bb.1150:
	global_load_ubyte v0, v[0:1], off
	s_waitcnt vmcnt(0)
	v_cvt_f64_u32_e32 v[2:3], v0
.LBB62_1151:
.LBB62_1152:
	s_lshl_b32 s2, s13, 7
	v_add_u32_e32 v4, s2, v4
	v_ashrrev_i32_e32 v1, 31, v4
	v_mov_b32_e32 v5, s11
	v_add_co_u32_e32 v0, vcc, s10, v4
	v_addc_co_u32_e32 v1, vcc, v5, v1, vcc
	s_and_b64 vcc, exec, s[0:1]
	s_cbranch_vccnz .LBB62_1159
; %bb.1153:
	v_cmp_lt_i16_e32 vcc, 25, v9
	s_mov_b64 s[18:19], 0
	s_cbranch_vccz .LBB62_1161
; %bb.1154:
	v_cmp_lt_i16_e32 vcc, 28, v9
	s_cbranch_vccz .LBB62_1162
; %bb.1155:
	v_cmp_lt_i16_e32 vcc, 43, v9
	;; [unrolled: 3-line block ×3, first 2 shown]
	s_cbranch_vccz .LBB62_1165
; %bb.1157:
	v_cmp_eq_u16_e32 vcc, 46, v9
	s_mov_b64 s[22:23], 0
	s_cbranch_vccz .LBB62_1168
; %bb.1158:
	global_load_dword v5, v[0:1], off
	s_mov_b64 s[4:5], 0
	s_mov_b64 s[20:21], -1
	s_waitcnt vmcnt(0)
	v_lshlrev_b32_e32 v5, 16, v5
	v_cvt_f64_f32_e32 v[6:7], v5
	s_branch .LBB62_1169
.LBB62_1159:
	s_mov_b64 s[20:21], 0
                                        ; implicit-def: $vgpr6_vgpr7
	s_cbranch_execnz .LBB62_1234
.LBB62_1160:
	s_andn2_b64 vcc, exec, s[20:21]
	s_cbranch_vccnz .LBB62_1993
	s_branch .LBB62_1281
.LBB62_1161:
	s_mov_b64 s[20:21], 0
	s_mov_b64 s[4:5], 0
                                        ; implicit-def: $vgpr6_vgpr7
	s_cbranch_execnz .LBB62_1198
	s_branch .LBB62_1230
.LBB62_1162:
	s_mov_b64 s[22:23], -1
	s_mov_b64 s[20:21], 0
	s_mov_b64 s[4:5], 0
                                        ; implicit-def: $vgpr6_vgpr7
	s_branch .LBB62_1179
.LBB62_1163:
	s_mov_b64 s[22:23], -1
	s_mov_b64 s[20:21], 0
	s_mov_b64 s[4:5], 0
                                        ; implicit-def: $vgpr6_vgpr7
	s_branch .LBB62_1174
.LBB62_1164:
	s_or_b64 s[16:17], s[14:15], exec
	s_trap 2
                                        ; implicit-def: $vgpr2_vgpr3
	s_cbranch_execz .LBB62_1105
	s_branch .LBB62_1106
.LBB62_1165:
	s_mov_b64 s[22:23], -1
	s_mov_b64 s[20:21], 0
	s_mov_b64 s[4:5], 0
                                        ; implicit-def: $vgpr6_vgpr7
	s_branch .LBB62_1169
.LBB62_1166:
	s_or_saveexec_b64 s[26:27], s[26:27]
                                        ; implicit-def: $sgpr2
	s_xor_b64 exec, exec, s[26:27]
	s_cbranch_execz .LBB62_948
.LBB62_1167:
	s_mov_b32 s2, 0x42800000
	v_add_f32_e64 v3, |v2|, s2
	v_and_b32_e32 v3, 0xff, v3
	v_cmp_ne_u32_e32 vcc, 0, v3
	s_andn2_b64 s[24:25], s[24:25], exec
	s_and_b64 s[28:29], vcc, exec
	s_mov_b32 s2, 0
	s_or_b64 s[24:25], s[24:25], s[28:29]
	s_or_b64 exec, exec, s[26:27]
	v_mov_b32_e32 v7, s2
	s_and_saveexec_b64 s[26:27], s[24:25]
	s_cbranch_execnz .LBB62_949
	s_branch .LBB62_950
.LBB62_1168:
	s_mov_b64 s[4:5], -1
                                        ; implicit-def: $vgpr6_vgpr7
	s_mov_b64 s[20:21], 0
.LBB62_1169:
	s_and_b64 vcc, exec, s[22:23]
	s_cbranch_vccz .LBB62_1173
; %bb.1170:
	v_cmp_eq_u16_e32 vcc, 44, v9
	s_cbranch_vccz .LBB62_1172
; %bb.1171:
	global_load_ubyte v5, v[0:1], off
	s_movk_i32 s13, 0xff
	v_bfrev_b32_e32 v10, 4
	v_mov_b32_e32 v11, 0x7ff80000
	v_bfrev_b32_e32 v12, 28
	s_mov_b64 s[4:5], 0
	s_mov_b64 s[20:21], -1
	s_waitcnt vmcnt(0)
	v_lshlrev_b32_e32 v6, 23, v5
	v_cvt_f64_f32_e32 v[6:7], v6
	v_cmp_ne_u32_e32 vcc, s13, v5
	v_cndmask_b32_e32 v6, v10, v6, vcc
	v_cndmask_b32_e32 v7, v11, v7, vcc
	v_cmp_ne_u32_e32 vcc, 0, v5
	v_cndmask_b32_e32 v7, v12, v7, vcc
	v_cndmask_b32_e32 v6, 0, v6, vcc
	s_branch .LBB62_1173
.LBB62_1172:
	s_mov_b64 s[4:5], -1
                                        ; implicit-def: $vgpr6_vgpr7
.LBB62_1173:
	s_mov_b64 s[22:23], 0
.LBB62_1174:
	s_and_b64 vcc, exec, s[22:23]
	s_cbranch_vccz .LBB62_1178
; %bb.1175:
	v_cmp_eq_u16_e32 vcc, 29, v9
	s_cbranch_vccz .LBB62_1177
; %bb.1176:
	global_load_dwordx2 v[6:7], v[0:1], off
	s_mov_b64 s[4:5], 0
	s_mov_b64 s[20:21], -1
	s_mov_b64 s[22:23], 0
	s_waitcnt vmcnt(0)
	v_cvt_f64_u32_e32 v[10:11], v7
	v_cvt_f64_u32_e32 v[6:7], v6
	v_ldexp_f64 v[10:11], v[10:11], 32
	v_add_f64 v[6:7], v[10:11], v[6:7]
	s_branch .LBB62_1179
.LBB62_1177:
	s_mov_b64 s[4:5], -1
                                        ; implicit-def: $vgpr6_vgpr7
.LBB62_1178:
	s_mov_b64 s[22:23], 0
.LBB62_1179:
	s_and_b64 vcc, exec, s[22:23]
	s_cbranch_vccz .LBB62_1197
; %bb.1180:
	v_cmp_gt_i16_e32 vcc, 27, v9
	s_cbranch_vccnz .LBB62_1183
; %bb.1181:
	v_cmp_lt_i16_e32 vcc, 27, v9
	s_cbranch_vccz .LBB62_1184
; %bb.1182:
	global_load_dword v5, v[0:1], off
	s_mov_b64 s[20:21], 0
	s_waitcnt vmcnt(0)
	v_cvt_f64_u32_e32 v[6:7], v5
	s_branch .LBB62_1185
.LBB62_1183:
	s_mov_b64 s[20:21], -1
                                        ; implicit-def: $vgpr6_vgpr7
	s_branch .LBB62_1188
.LBB62_1184:
	s_mov_b64 s[20:21], -1
                                        ; implicit-def: $vgpr6_vgpr7
.LBB62_1185:
	s_andn2_b64 vcc, exec, s[20:21]
	s_cbranch_vccnz .LBB62_1187
; %bb.1186:
	global_load_ushort v5, v[0:1], off
	s_waitcnt vmcnt(0)
	v_cvt_f64_u32_e32 v[6:7], v5
.LBB62_1187:
	s_mov_b64 s[20:21], 0
.LBB62_1188:
	s_andn2_b64 vcc, exec, s[20:21]
	s_cbranch_vccnz .LBB62_1196
; %bb.1189:
	global_load_ubyte v5, v[0:1], off
	s_movk_i32 s13, 0x7f
	s_mov_b64 s[20:21], 0
                                        ; implicit-def: $sgpr22_sgpr23
	s_waitcnt vmcnt(0)
	v_cmp_lt_i16_e32 vcc, s13, v5
	s_and_saveexec_b64 s[24:25], vcc
	s_xor_b64 s[24:25], exec, s[24:25]
	s_cbranch_execz .LBB62_1209
; %bb.1190:
	s_movk_i32 s13, 0x80
	v_cmp_eq_u16_e32 vcc, s13, v5
	s_mov_b64 s[26:27], -1
                                        ; implicit-def: $sgpr22_sgpr23
	s_and_saveexec_b64 s[20:21], vcc
; %bb.1191:
	s_mov_b32 s23, 0x7ff80000
	s_brev_b32 s22, 4
	s_xor_b64 s[26:27], exec, -1
; %bb.1192:
	s_or_b64 exec, exec, s[20:21]
	s_and_b64 s[20:21], s[26:27], exec
	s_or_saveexec_b64 s[24:25], s[24:25]
	v_pk_mov_b32 v[6:7], s[22:23], s[22:23] op_sel:[0,1]
	s_xor_b64 exec, exec, s[24:25]
	s_cbranch_execnz .LBB62_1210
.LBB62_1193:
	s_or_b64 exec, exec, s[24:25]
	s_and_saveexec_b64 s[22:23], s[20:21]
	s_cbranch_execz .LBB62_1195
.LBB62_1194:
	v_lshlrev_b32_e32 v6, 24, v5
	v_and_b32_e32 v5, 0xffff, v5
	v_and_b32_e32 v7, 7, v5
	v_ffbh_u32_e32 v11, v7
	v_min_u32_e32 v11, 32, v11
	v_subrev_u32_e32 v12, 28, v11
	v_bfe_u32 v10, v5, 3, 4
	v_lshlrev_b32_e32 v5, v12, v5
	v_sub_u32_e32 v11, 29, v11
	v_and_b32_e32 v5, 7, v5
	v_cmp_eq_u32_e32 vcc, 0, v10
	v_cndmask_b32_e32 v10, v10, v11, vcc
	v_cndmask_b32_e32 v5, v7, v5, vcc
	v_mov_b32_e32 v7, 0x3b800000
	v_lshlrev_b32_e32 v5, 20, v5
	v_and_b32_e32 v6, 0x80000000, v6
	v_lshl_add_u32 v7, v10, 23, v7
	v_or3_b32 v5, v6, v7, v5
	v_cvt_f64_f32_e32 v[6:7], v5
.LBB62_1195:
	s_or_b64 exec, exec, s[22:23]
.LBB62_1196:
	s_mov_b64 s[20:21], -1
.LBB62_1197:
	s_branch .LBB62_1230
.LBB62_1198:
	v_cmp_lt_i16_e32 vcc, 22, v9
	s_cbranch_vccz .LBB62_1208
; %bb.1199:
	v_cmp_gt_i16_e32 vcc, 24, v9
	s_cbranch_vccnz .LBB62_1211
; %bb.1200:
	v_cmp_lt_i16_e32 vcc, 24, v9
	s_cbranch_vccz .LBB62_1212
; %bb.1201:
	global_load_ubyte v5, v[0:1], off
	s_movk_i32 s13, 0x7f
                                        ; implicit-def: $sgpr20_sgpr21
	s_waitcnt vmcnt(0)
	v_cmp_lt_i16_e32 vcc, s13, v5
	s_and_saveexec_b64 s[22:23], vcc
	s_xor_b64 s[22:23], exec, s[22:23]
	s_cbranch_execz .LBB62_1224
; %bb.1202:
	s_movk_i32 s13, 0x80
	v_cmp_eq_u16_e32 vcc, s13, v5
	s_mov_b64 s[24:25], -1
                                        ; implicit-def: $sgpr20_sgpr21
	s_and_saveexec_b64 s[18:19], vcc
; %bb.1203:
	s_mov_b32 s21, 0x7ff80000
	s_brev_b32 s20, 4
	s_xor_b64 s[24:25], exec, -1
; %bb.1204:
	s_or_b64 exec, exec, s[18:19]
	s_and_b64 s[18:19], s[24:25], exec
	s_or_saveexec_b64 s[22:23], s[22:23]
	v_pk_mov_b32 v[6:7], s[20:21], s[20:21] op_sel:[0,1]
	s_xor_b64 exec, exec, s[22:23]
	s_cbranch_execnz .LBB62_1225
.LBB62_1205:
	s_or_b64 exec, exec, s[22:23]
	s_and_saveexec_b64 s[20:21], s[18:19]
	s_cbranch_execz .LBB62_1207
.LBB62_1206:
	v_lshlrev_b32_e32 v6, 24, v5
	v_and_b32_e32 v5, 0xffff, v5
	v_and_b32_e32 v7, 3, v5
	v_ffbh_u32_e32 v11, v7
	v_min_u32_e32 v11, 32, v11
	v_subrev_u32_e32 v12, 29, v11
	v_bfe_u32 v10, v5, 2, 5
	v_lshlrev_b32_e32 v5, v12, v5
	v_sub_u32_e32 v11, 30, v11
	v_and_b32_e32 v5, 3, v5
	v_cmp_eq_u32_e32 vcc, 0, v10
	v_cndmask_b32_e32 v10, v10, v11, vcc
	v_cndmask_b32_e32 v5, v7, v5, vcc
	v_mov_b32_e32 v7, 0x37800000
	v_lshlrev_b32_e32 v5, 21, v5
	v_and_b32_e32 v6, 0x80000000, v6
	v_lshl_add_u32 v7, v10, 23, v7
	v_or3_b32 v5, v6, v7, v5
	v_cvt_f64_f32_e32 v[6:7], v5
.LBB62_1207:
	s_or_b64 exec, exec, s[20:21]
	s_mov_b64 s[18:19], 0
	s_branch .LBB62_1213
.LBB62_1208:
	s_mov_b64 s[18:19], -1
                                        ; implicit-def: $vgpr6_vgpr7
	s_branch .LBB62_1219
.LBB62_1209:
	s_or_saveexec_b64 s[24:25], s[24:25]
	v_pk_mov_b32 v[6:7], s[22:23], s[22:23] op_sel:[0,1]
	s_xor_b64 exec, exec, s[24:25]
	s_cbranch_execz .LBB62_1193
.LBB62_1210:
	v_cmp_ne_u16_e32 vcc, 0, v5
	s_andn2_b64 s[20:21], s[20:21], exec
	s_and_b64 s[22:23], vcc, exec
	v_pk_mov_b32 v[6:7], 0, 0
	s_or_b64 s[20:21], s[20:21], s[22:23]
	s_or_b64 exec, exec, s[24:25]
	s_and_saveexec_b64 s[22:23], s[20:21]
	s_cbranch_execnz .LBB62_1194
	s_branch .LBB62_1195
.LBB62_1211:
	s_mov_b64 s[18:19], -1
                                        ; implicit-def: $vgpr6_vgpr7
	s_branch .LBB62_1216
.LBB62_1212:
	s_mov_b64 s[18:19], -1
                                        ; implicit-def: $vgpr6_vgpr7
.LBB62_1213:
	s_and_b64 vcc, exec, s[18:19]
	s_cbranch_vccz .LBB62_1215
; %bb.1214:
	global_load_ubyte v5, v[0:1], off
	s_mov_b32 s13, 0x7f800000
	s_waitcnt vmcnt(0)
	v_lshlrev_b32_e32 v5, 24, v5
	v_and_b32_e32 v6, 0x7f000000, v5
	v_ffbh_u32_e32 v7, v6
	v_min_u32_e32 v7, 32, v7
	v_sub_u32_e64 v7, v7, 4 clamp
	v_lshlrev_b32_e32 v11, v7, v6
	v_lshlrev_b32_e32 v7, 23, v7
	v_lshrrev_b32_e32 v11, 4, v11
	v_add_u32_e32 v10, 0x1000000, v6
	v_sub_u32_e32 v7, v11, v7
	v_ashrrev_i32_e32 v10, 8, v10
	v_add_u32_e32 v7, 0x3c000000, v7
	v_and_or_b32 v7, v10, s13, v7
	v_cmp_ne_u32_e32 vcc, 0, v6
	v_cndmask_b32_e32 v6, 0, v7, vcc
	s_brev_b32 s13, 1
	v_and_or_b32 v5, v5, s13, v6
	v_cvt_f64_f32_e32 v[6:7], v5
.LBB62_1215:
	s_mov_b64 s[18:19], 0
.LBB62_1216:
	s_andn2_b64 vcc, exec, s[18:19]
	s_cbranch_vccnz .LBB62_1218
; %bb.1217:
	global_load_ubyte v5, v[0:1], off
	s_movk_i32 s13, 0x7f00
	s_brev_b32 s18, 16
	s_waitcnt vmcnt(0)
	v_lshlrev_b16_e32 v6, 8, v5
	v_lshlrev_b32_e32 v5, 25, v5
	v_lshrrev_b32_e32 v7, 4, v5
	v_and_or_b32 v10, v6, s13, 0.5
	v_or_b32_e32 v7, 0x70000000, v7
	v_add_f32_e32 v10, -0.5, v10
	v_mul_f32_e32 v7, 0x7800000, v7
	v_cmp_gt_u32_e32 vcc, s18, v5
	v_bfe_i32 v6, v6, 0, 16
	v_cndmask_b32_e32 v5, v7, v10, vcc
	s_brev_b32 s13, 1
	v_and_or_b32 v5, v6, s13, v5
	v_cvt_f64_f32_e32 v[6:7], v5
.LBB62_1218:
	s_mov_b64 s[18:19], 0
	s_mov_b64 s[20:21], -1
.LBB62_1219:
	s_andn2_b64 vcc, exec, s[18:19]
	s_mov_b64 s[18:19], 0
	s_cbranch_vccnz .LBB62_1230
; %bb.1220:
	v_cmp_lt_i16_e32 vcc, 14, v9
	s_cbranch_vccz .LBB62_1223
; %bb.1221:
	v_cmp_eq_u16_e32 vcc, 15, v9
	s_cbranch_vccz .LBB62_1226
; %bb.1222:
	global_load_ushort v5, v[0:1], off
	s_mov_b64 s[4:5], 0
	s_mov_b64 s[20:21], -1
	s_waitcnt vmcnt(0)
	v_lshlrev_b32_e32 v5, 16, v5
	v_cvt_f64_f32_e32 v[6:7], v5
	s_branch .LBB62_1227
.LBB62_1223:
	s_mov_b64 s[22:23], -1
                                        ; implicit-def: $vgpr6_vgpr7
	s_branch .LBB62_1228
.LBB62_1224:
	s_or_saveexec_b64 s[22:23], s[22:23]
	v_pk_mov_b32 v[6:7], s[20:21], s[20:21] op_sel:[0,1]
	s_xor_b64 exec, exec, s[22:23]
	s_cbranch_execz .LBB62_1205
.LBB62_1225:
	v_cmp_ne_u16_e32 vcc, 0, v5
	s_andn2_b64 s[18:19], s[18:19], exec
	s_and_b64 s[20:21], vcc, exec
	v_pk_mov_b32 v[6:7], 0, 0
	s_or_b64 s[18:19], s[18:19], s[20:21]
	s_or_b64 exec, exec, s[22:23]
	s_and_saveexec_b64 s[20:21], s[18:19]
	s_cbranch_execnz .LBB62_1206
	s_branch .LBB62_1207
.LBB62_1226:
	s_mov_b64 s[4:5], -1
                                        ; implicit-def: $vgpr6_vgpr7
.LBB62_1227:
	s_mov_b64 s[22:23], 0
.LBB62_1228:
	s_and_b64 vcc, exec, s[22:23]
	s_cbranch_vccz .LBB62_1230
; %bb.1229:
	v_cmp_ne_u16_e64 s[4:5], 11, v9
	s_mov_b64 s[18:19], -1
                                        ; implicit-def: $vgpr6_vgpr7
.LBB62_1230:
	s_and_b64 vcc, exec, s[4:5]
	s_cbranch_vccnz .LBB62_1293
; %bb.1231:
	s_andn2_b64 vcc, exec, s[18:19]
	s_cbranch_vccnz .LBB62_1233
.LBB62_1232:
	global_load_ubyte v5, v[0:1], off
	v_mov_b32_e32 v7, 0x3ff00000
	v_mov_b32_e32 v6, 0
	s_mov_b64 s[20:21], -1
	s_waitcnt vmcnt(0)
	v_cmp_ne_u16_e32 vcc, 0, v5
	v_cndmask_b32_e32 v7, 0, v7, vcc
.LBB62_1233:
	s_branch .LBB62_1160
.LBB62_1234:
	v_cmp_gt_i16_e32 vcc, 5, v9
	s_cbranch_vccnz .LBB62_1239
; %bb.1235:
	v_cmp_gt_i16_e32 vcc, 8, v9
	s_cbranch_vccnz .LBB62_1240
; %bb.1236:
	;; [unrolled: 3-line block ×3, first 2 shown]
	v_cmp_lt_i16_e32 vcc, 9, v9
	s_cbranch_vccz .LBB62_1242
; %bb.1238:
	global_load_dwordx2 v[6:7], v[0:1], off
	s_mov_b64 s[4:5], 0
	s_branch .LBB62_1243
.LBB62_1239:
                                        ; implicit-def: $vgpr6_vgpr7
	s_branch .LBB62_1261
.LBB62_1240:
	s_mov_b64 s[4:5], -1
                                        ; implicit-def: $vgpr6_vgpr7
	s_branch .LBB62_1249
.LBB62_1241:
	s_mov_b64 s[4:5], -1
                                        ; implicit-def: $vgpr6_vgpr7
	s_branch .LBB62_1246
.LBB62_1242:
	s_mov_b64 s[4:5], -1
                                        ; implicit-def: $vgpr6_vgpr7
.LBB62_1243:
	s_andn2_b64 vcc, exec, s[4:5]
	s_cbranch_vccnz .LBB62_1245
; %bb.1244:
	global_load_dword v5, v[0:1], off
	s_waitcnt vmcnt(0)
	v_cvt_f64_f32_e32 v[6:7], v5
.LBB62_1245:
	s_mov_b64 s[4:5], 0
.LBB62_1246:
	s_andn2_b64 vcc, exec, s[4:5]
	s_cbranch_vccnz .LBB62_1248
; %bb.1247:
	global_load_dword v5, v[0:1], off
	s_waitcnt vmcnt(0)
	v_cvt_f32_f16_e32 v5, v5
	v_cvt_f64_f32_e32 v[6:7], v5
.LBB62_1248:
	s_mov_b64 s[4:5], 0
.LBB62_1249:
	s_andn2_b64 vcc, exec, s[4:5]
	s_cbranch_vccnz .LBB62_1260
; %bb.1250:
	v_cmp_gt_i16_e32 vcc, 6, v9
	s_cbranch_vccnz .LBB62_1253
; %bb.1251:
	v_cmp_lt_i16_e32 vcc, 6, v9
	s_cbranch_vccz .LBB62_1254
; %bb.1252:
	global_load_dwordx2 v[6:7], v[0:1], off
	s_mov_b64 s[4:5], 0
	s_branch .LBB62_1255
.LBB62_1253:
	s_mov_b64 s[4:5], -1
                                        ; implicit-def: $vgpr6_vgpr7
	s_branch .LBB62_1258
.LBB62_1254:
	s_mov_b64 s[4:5], -1
                                        ; implicit-def: $vgpr6_vgpr7
.LBB62_1255:
	s_andn2_b64 vcc, exec, s[4:5]
	s_cbranch_vccnz .LBB62_1257
; %bb.1256:
	global_load_dword v5, v[0:1], off
	s_waitcnt vmcnt(0)
	v_cvt_f64_f32_e32 v[6:7], v5
.LBB62_1257:
	s_mov_b64 s[4:5], 0
.LBB62_1258:
	s_andn2_b64 vcc, exec, s[4:5]
	s_cbranch_vccnz .LBB62_1260
; %bb.1259:
	global_load_ushort v5, v[0:1], off
	s_waitcnt vmcnt(0)
	v_cvt_f32_f16_e32 v5, v5
	v_cvt_f64_f32_e32 v[6:7], v5
.LBB62_1260:
	s_cbranch_execnz .LBB62_1280
.LBB62_1261:
	v_cmp_gt_i16_e32 vcc, 2, v9
	s_cbranch_vccnz .LBB62_1265
; %bb.1262:
	v_cmp_gt_i16_e32 vcc, 3, v9
	s_cbranch_vccnz .LBB62_1266
; %bb.1263:
	v_cmp_lt_i16_e32 vcc, 3, v9
	s_cbranch_vccz .LBB62_1267
; %bb.1264:
	global_load_dwordx2 v[6:7], v[0:1], off
	s_mov_b64 s[4:5], 0
	s_waitcnt vmcnt(0)
	v_cvt_f64_i32_e32 v[10:11], v7
	v_cvt_f64_u32_e32 v[6:7], v6
	v_ldexp_f64 v[10:11], v[10:11], 32
	v_add_f64 v[6:7], v[10:11], v[6:7]
	s_branch .LBB62_1268
.LBB62_1265:
	s_mov_b64 s[4:5], -1
                                        ; implicit-def: $vgpr6_vgpr7
	s_branch .LBB62_1274
.LBB62_1266:
	s_mov_b64 s[4:5], -1
                                        ; implicit-def: $vgpr6_vgpr7
	s_branch .LBB62_1271
.LBB62_1267:
	s_mov_b64 s[4:5], -1
                                        ; implicit-def: $vgpr6_vgpr7
.LBB62_1268:
	s_andn2_b64 vcc, exec, s[4:5]
	s_cbranch_vccnz .LBB62_1270
; %bb.1269:
	global_load_dword v5, v[0:1], off
	s_waitcnt vmcnt(0)
	v_cvt_f64_i32_e32 v[6:7], v5
.LBB62_1270:
	s_mov_b64 s[4:5], 0
.LBB62_1271:
	s_andn2_b64 vcc, exec, s[4:5]
	s_cbranch_vccnz .LBB62_1273
; %bb.1272:
	global_load_sshort v5, v[0:1], off
	s_waitcnt vmcnt(0)
	v_cvt_f64_i32_e32 v[6:7], v5
.LBB62_1273:
	s_mov_b64 s[4:5], 0
.LBB62_1274:
	s_andn2_b64 vcc, exec, s[4:5]
	s_cbranch_vccnz .LBB62_1280
; %bb.1275:
	v_cmp_lt_i16_e32 vcc, 0, v9
	s_cbranch_vccz .LBB62_1277
; %bb.1276:
	global_load_sbyte v5, v[0:1], off
	s_mov_b64 s[4:5], 0
	s_waitcnt vmcnt(0)
	v_cvt_f64_i32_e32 v[6:7], v5
	s_branch .LBB62_1278
.LBB62_1277:
	s_mov_b64 s[4:5], -1
                                        ; implicit-def: $vgpr6_vgpr7
.LBB62_1278:
	s_andn2_b64 vcc, exec, s[4:5]
	s_cbranch_vccnz .LBB62_1280
; %bb.1279:
	global_load_ubyte v0, v[0:1], off
	s_waitcnt vmcnt(0)
	v_cvt_f64_u32_e32 v[6:7], v0
.LBB62_1280:
.LBB62_1281:
	v_add_u32_e32 v4, s2, v4
	v_ashrrev_i32_e32 v1, 31, v4
	v_mov_b32_e32 v5, s11
	v_add_co_u32_e32 v0, vcc, s10, v4
	v_addc_co_u32_e32 v1, vcc, v5, v1, vcc
	s_and_b64 vcc, exec, s[0:1]
	s_cbranch_vccnz .LBB62_1288
; %bb.1282:
	v_cmp_lt_i16_e32 vcc, 25, v9
	s_mov_b64 s[18:19], 0
	s_cbranch_vccz .LBB62_1290
; %bb.1283:
	v_cmp_lt_i16_e32 vcc, 28, v9
	s_cbranch_vccz .LBB62_1291
; %bb.1284:
	v_cmp_lt_i16_e32 vcc, 43, v9
	;; [unrolled: 3-line block ×3, first 2 shown]
	s_cbranch_vccz .LBB62_1294
; %bb.1286:
	v_cmp_eq_u16_e32 vcc, 46, v9
	s_mov_b64 s[22:23], 0
	s_cbranch_vccz .LBB62_1295
; %bb.1287:
	global_load_dword v5, v[0:1], off
	s_mov_b64 s[4:5], 0
	s_mov_b64 s[20:21], -1
	s_waitcnt vmcnt(0)
	v_lshlrev_b32_e32 v5, 16, v5
	v_cvt_f64_f32_e32 v[10:11], v5
	s_branch .LBB62_1296
.LBB62_1288:
	s_mov_b64 s[20:21], 0
                                        ; implicit-def: $vgpr10_vgpr11
	s_cbranch_execnz .LBB62_1362
.LBB62_1289:
	s_andn2_b64 vcc, exec, s[20:21]
	s_cbranch_vccnz .LBB62_1993
	s_branch .LBB62_1410
.LBB62_1290:
	s_mov_b64 s[22:23], -1
	s_mov_b64 s[20:21], 0
	s_mov_b64 s[4:5], 0
                                        ; implicit-def: $vgpr10_vgpr11
	s_branch .LBB62_1325
.LBB62_1291:
	s_mov_b64 s[22:23], -1
	s_mov_b64 s[20:21], 0
	s_mov_b64 s[4:5], 0
                                        ; implicit-def: $vgpr10_vgpr11
	s_branch .LBB62_1306
.LBB62_1292:
	s_mov_b64 s[22:23], -1
	s_mov_b64 s[20:21], 0
	s_mov_b64 s[4:5], 0
                                        ; implicit-def: $vgpr10_vgpr11
	s_branch .LBB62_1301
.LBB62_1293:
	s_trap 2
	s_or_b64 s[16:17], s[16:17], exec
                                        ; implicit-def: $vgpr6_vgpr7
	s_cbranch_execz .LBB62_1232
	s_branch .LBB62_1233
.LBB62_1294:
	s_mov_b64 s[22:23], -1
	s_mov_b64 s[20:21], 0
	s_mov_b64 s[4:5], 0
                                        ; implicit-def: $vgpr10_vgpr11
	s_branch .LBB62_1296
.LBB62_1295:
	s_mov_b64 s[4:5], -1
                                        ; implicit-def: $vgpr10_vgpr11
	s_mov_b64 s[20:21], 0
.LBB62_1296:
	s_and_b64 vcc, exec, s[22:23]
	s_cbranch_vccz .LBB62_1300
; %bb.1297:
	v_cmp_eq_u16_e32 vcc, 44, v9
	s_cbranch_vccz .LBB62_1299
; %bb.1298:
	global_load_ubyte v5, v[0:1], off
	s_movk_i32 s13, 0xff
	v_bfrev_b32_e32 v12, 4
	v_mov_b32_e32 v13, 0x7ff80000
	v_bfrev_b32_e32 v14, 28
	s_mov_b64 s[4:5], 0
	s_mov_b64 s[20:21], -1
	s_waitcnt vmcnt(0)
	v_lshlrev_b32_e32 v10, 23, v5
	v_cvt_f64_f32_e32 v[10:11], v10
	v_cmp_ne_u32_e32 vcc, s13, v5
	v_cndmask_b32_e32 v10, v12, v10, vcc
	v_cndmask_b32_e32 v11, v13, v11, vcc
	v_cmp_ne_u32_e32 vcc, 0, v5
	v_cndmask_b32_e32 v11, v14, v11, vcc
	v_cndmask_b32_e32 v10, 0, v10, vcc
	s_branch .LBB62_1300
.LBB62_1299:
	s_mov_b64 s[4:5], -1
                                        ; implicit-def: $vgpr10_vgpr11
.LBB62_1300:
	s_mov_b64 s[22:23], 0
.LBB62_1301:
	s_and_b64 vcc, exec, s[22:23]
	s_cbranch_vccz .LBB62_1305
; %bb.1302:
	v_cmp_eq_u16_e32 vcc, 29, v9
	s_cbranch_vccz .LBB62_1304
; %bb.1303:
	global_load_dwordx2 v[10:11], v[0:1], off
	s_mov_b64 s[4:5], 0
	s_mov_b64 s[20:21], -1
	s_mov_b64 s[22:23], 0
	s_waitcnt vmcnt(0)
	v_cvt_f64_u32_e32 v[12:13], v11
	v_cvt_f64_u32_e32 v[10:11], v10
	v_ldexp_f64 v[12:13], v[12:13], 32
	v_add_f64 v[10:11], v[12:13], v[10:11]
	s_branch .LBB62_1306
.LBB62_1304:
	s_mov_b64 s[4:5], -1
                                        ; implicit-def: $vgpr10_vgpr11
.LBB62_1305:
	s_mov_b64 s[22:23], 0
.LBB62_1306:
	s_and_b64 vcc, exec, s[22:23]
	s_cbranch_vccz .LBB62_1324
; %bb.1307:
	v_cmp_gt_i16_e32 vcc, 27, v9
	s_cbranch_vccnz .LBB62_1310
; %bb.1308:
	v_cmp_lt_i16_e32 vcc, 27, v9
	s_cbranch_vccz .LBB62_1311
; %bb.1309:
	global_load_dword v5, v[0:1], off
	s_mov_b64 s[20:21], 0
	s_waitcnt vmcnt(0)
	v_cvt_f64_u32_e32 v[10:11], v5
	s_branch .LBB62_1312
.LBB62_1310:
	s_mov_b64 s[20:21], -1
                                        ; implicit-def: $vgpr10_vgpr11
	s_branch .LBB62_1315
.LBB62_1311:
	s_mov_b64 s[20:21], -1
                                        ; implicit-def: $vgpr10_vgpr11
.LBB62_1312:
	s_andn2_b64 vcc, exec, s[20:21]
	s_cbranch_vccnz .LBB62_1314
; %bb.1313:
	global_load_ushort v5, v[0:1], off
	s_waitcnt vmcnt(0)
	v_cvt_f64_u32_e32 v[10:11], v5
.LBB62_1314:
	s_mov_b64 s[20:21], 0
.LBB62_1315:
	s_andn2_b64 vcc, exec, s[20:21]
	s_cbranch_vccnz .LBB62_1323
; %bb.1316:
	global_load_ubyte v5, v[0:1], off
	s_movk_i32 s13, 0x7f
	s_mov_b64 s[20:21], 0
                                        ; implicit-def: $sgpr22_sgpr23
	s_waitcnt vmcnt(0)
	v_cmp_lt_i16_e32 vcc, s13, v5
	s_and_saveexec_b64 s[24:25], vcc
	s_xor_b64 s[24:25], exec, s[24:25]
	s_cbranch_execz .LBB62_1337
; %bb.1317:
	s_movk_i32 s13, 0x80
	v_cmp_eq_u16_e32 vcc, s13, v5
	s_mov_b64 s[26:27], -1
                                        ; implicit-def: $sgpr22_sgpr23
	s_and_saveexec_b64 s[20:21], vcc
; %bb.1318:
	s_mov_b32 s23, 0x7ff80000
	s_brev_b32 s22, 4
	s_xor_b64 s[26:27], exec, -1
; %bb.1319:
	s_or_b64 exec, exec, s[20:21]
	s_and_b64 s[20:21], s[26:27], exec
	s_or_saveexec_b64 s[24:25], s[24:25]
	v_pk_mov_b32 v[10:11], s[22:23], s[22:23] op_sel:[0,1]
	s_xor_b64 exec, exec, s[24:25]
	s_cbranch_execnz .LBB62_1338
.LBB62_1320:
	s_or_b64 exec, exec, s[24:25]
	s_and_saveexec_b64 s[22:23], s[20:21]
	s_cbranch_execz .LBB62_1322
.LBB62_1321:
	v_lshlrev_b32_e32 v10, 24, v5
	v_and_b32_e32 v5, 0xffff, v5
	v_and_b32_e32 v11, 7, v5
	v_ffbh_u32_e32 v13, v11
	v_min_u32_e32 v13, 32, v13
	v_subrev_u32_e32 v14, 28, v13
	v_bfe_u32 v12, v5, 3, 4
	v_lshlrev_b32_e32 v5, v14, v5
	v_sub_u32_e32 v13, 29, v13
	v_and_b32_e32 v5, 7, v5
	v_cmp_eq_u32_e32 vcc, 0, v12
	v_cndmask_b32_e32 v12, v12, v13, vcc
	v_cndmask_b32_e32 v5, v11, v5, vcc
	v_mov_b32_e32 v11, 0x3b800000
	v_lshlrev_b32_e32 v5, 20, v5
	v_and_b32_e32 v10, 0x80000000, v10
	v_lshl_add_u32 v11, v12, 23, v11
	v_or3_b32 v5, v10, v11, v5
	v_cvt_f64_f32_e32 v[10:11], v5
.LBB62_1322:
	s_or_b64 exec, exec, s[22:23]
.LBB62_1323:
	s_mov_b64 s[20:21], -1
.LBB62_1324:
	s_mov_b64 s[22:23], 0
.LBB62_1325:
	s_and_b64 vcc, exec, s[22:23]
	s_cbranch_vccz .LBB62_1358
; %bb.1326:
	v_cmp_lt_i16_e32 vcc, 22, v9
	s_cbranch_vccz .LBB62_1336
; %bb.1327:
	v_cmp_gt_i16_e32 vcc, 24, v9
	s_cbranch_vccnz .LBB62_1339
; %bb.1328:
	v_cmp_lt_i16_e32 vcc, 24, v9
	s_cbranch_vccz .LBB62_1340
; %bb.1329:
	global_load_ubyte v5, v[0:1], off
	s_movk_i32 s13, 0x7f
                                        ; implicit-def: $sgpr20_sgpr21
	s_waitcnt vmcnt(0)
	v_cmp_lt_i16_e32 vcc, s13, v5
	s_and_saveexec_b64 s[22:23], vcc
	s_xor_b64 s[22:23], exec, s[22:23]
	s_cbranch_execz .LBB62_1352
; %bb.1330:
	s_movk_i32 s13, 0x80
	v_cmp_eq_u16_e32 vcc, s13, v5
	s_mov_b64 s[24:25], -1
                                        ; implicit-def: $sgpr20_sgpr21
	s_and_saveexec_b64 s[18:19], vcc
; %bb.1331:
	s_mov_b32 s21, 0x7ff80000
	s_brev_b32 s20, 4
	s_xor_b64 s[24:25], exec, -1
; %bb.1332:
	s_or_b64 exec, exec, s[18:19]
	s_and_b64 s[18:19], s[24:25], exec
	s_or_saveexec_b64 s[22:23], s[22:23]
	v_pk_mov_b32 v[10:11], s[20:21], s[20:21] op_sel:[0,1]
	s_xor_b64 exec, exec, s[22:23]
	s_cbranch_execnz .LBB62_1353
.LBB62_1333:
	s_or_b64 exec, exec, s[22:23]
	s_and_saveexec_b64 s[20:21], s[18:19]
	s_cbranch_execz .LBB62_1335
.LBB62_1334:
	v_lshlrev_b32_e32 v10, 24, v5
	v_and_b32_e32 v5, 0xffff, v5
	v_and_b32_e32 v11, 3, v5
	v_ffbh_u32_e32 v13, v11
	v_min_u32_e32 v13, 32, v13
	v_subrev_u32_e32 v14, 29, v13
	v_bfe_u32 v12, v5, 2, 5
	v_lshlrev_b32_e32 v5, v14, v5
	v_sub_u32_e32 v13, 30, v13
	v_and_b32_e32 v5, 3, v5
	v_cmp_eq_u32_e32 vcc, 0, v12
	v_cndmask_b32_e32 v12, v12, v13, vcc
	v_cndmask_b32_e32 v5, v11, v5, vcc
	v_mov_b32_e32 v11, 0x37800000
	v_lshlrev_b32_e32 v5, 21, v5
	v_and_b32_e32 v10, 0x80000000, v10
	v_lshl_add_u32 v11, v12, 23, v11
	v_or3_b32 v5, v10, v11, v5
	v_cvt_f64_f32_e32 v[10:11], v5
.LBB62_1335:
	s_or_b64 exec, exec, s[20:21]
	s_mov_b64 s[18:19], 0
	s_branch .LBB62_1341
.LBB62_1336:
	s_mov_b64 s[18:19], -1
                                        ; implicit-def: $vgpr10_vgpr11
	s_branch .LBB62_1347
.LBB62_1337:
	s_or_saveexec_b64 s[24:25], s[24:25]
	v_pk_mov_b32 v[10:11], s[22:23], s[22:23] op_sel:[0,1]
	s_xor_b64 exec, exec, s[24:25]
	s_cbranch_execz .LBB62_1320
.LBB62_1338:
	v_cmp_ne_u16_e32 vcc, 0, v5
	s_andn2_b64 s[20:21], s[20:21], exec
	s_and_b64 s[22:23], vcc, exec
	v_pk_mov_b32 v[10:11], 0, 0
	s_or_b64 s[20:21], s[20:21], s[22:23]
	s_or_b64 exec, exec, s[24:25]
	s_and_saveexec_b64 s[22:23], s[20:21]
	s_cbranch_execnz .LBB62_1321
	s_branch .LBB62_1322
.LBB62_1339:
	s_mov_b64 s[18:19], -1
                                        ; implicit-def: $vgpr10_vgpr11
	s_branch .LBB62_1344
.LBB62_1340:
	s_mov_b64 s[18:19], -1
                                        ; implicit-def: $vgpr10_vgpr11
.LBB62_1341:
	s_and_b64 vcc, exec, s[18:19]
	s_cbranch_vccz .LBB62_1343
; %bb.1342:
	global_load_ubyte v5, v[0:1], off
	s_mov_b32 s13, 0x7f800000
	s_waitcnt vmcnt(0)
	v_lshlrev_b32_e32 v5, 24, v5
	v_and_b32_e32 v10, 0x7f000000, v5
	v_ffbh_u32_e32 v11, v10
	v_min_u32_e32 v11, 32, v11
	v_sub_u32_e64 v11, v11, 4 clamp
	v_lshlrev_b32_e32 v13, v11, v10
	v_lshlrev_b32_e32 v11, 23, v11
	v_lshrrev_b32_e32 v13, 4, v13
	v_add_u32_e32 v12, 0x1000000, v10
	v_sub_u32_e32 v11, v13, v11
	v_ashrrev_i32_e32 v12, 8, v12
	v_add_u32_e32 v11, 0x3c000000, v11
	v_and_or_b32 v11, v12, s13, v11
	v_cmp_ne_u32_e32 vcc, 0, v10
	v_cndmask_b32_e32 v10, 0, v11, vcc
	s_brev_b32 s13, 1
	v_and_or_b32 v5, v5, s13, v10
	v_cvt_f64_f32_e32 v[10:11], v5
.LBB62_1343:
	s_mov_b64 s[18:19], 0
.LBB62_1344:
	s_andn2_b64 vcc, exec, s[18:19]
	s_cbranch_vccnz .LBB62_1346
; %bb.1345:
	global_load_ubyte v5, v[0:1], off
	s_movk_i32 s13, 0x7f00
	s_brev_b32 s18, 16
	s_waitcnt vmcnt(0)
	v_lshlrev_b16_e32 v10, 8, v5
	v_lshlrev_b32_e32 v5, 25, v5
	v_lshrrev_b32_e32 v11, 4, v5
	v_and_or_b32 v12, v10, s13, 0.5
	v_or_b32_e32 v11, 0x70000000, v11
	v_add_f32_e32 v12, -0.5, v12
	v_mul_f32_e32 v11, 0x7800000, v11
	v_cmp_gt_u32_e32 vcc, s18, v5
	v_bfe_i32 v10, v10, 0, 16
	v_cndmask_b32_e32 v5, v11, v12, vcc
	s_brev_b32 s13, 1
	v_and_or_b32 v5, v10, s13, v5
	v_cvt_f64_f32_e32 v[10:11], v5
.LBB62_1346:
	s_mov_b64 s[18:19], 0
	s_mov_b64 s[20:21], -1
.LBB62_1347:
	s_andn2_b64 vcc, exec, s[18:19]
	s_mov_b64 s[18:19], 0
	s_cbranch_vccnz .LBB62_1358
; %bb.1348:
	v_cmp_lt_i16_e32 vcc, 14, v9
	s_cbranch_vccz .LBB62_1351
; %bb.1349:
	v_cmp_eq_u16_e32 vcc, 15, v9
	s_cbranch_vccz .LBB62_1354
; %bb.1350:
	global_load_ushort v5, v[0:1], off
	s_mov_b64 s[4:5], 0
	s_mov_b64 s[20:21], -1
	s_waitcnt vmcnt(0)
	v_lshlrev_b32_e32 v5, 16, v5
	v_cvt_f64_f32_e32 v[10:11], v5
	s_branch .LBB62_1355
.LBB62_1351:
	s_mov_b64 s[22:23], -1
                                        ; implicit-def: $vgpr10_vgpr11
	s_branch .LBB62_1356
.LBB62_1352:
	s_or_saveexec_b64 s[22:23], s[22:23]
	v_pk_mov_b32 v[10:11], s[20:21], s[20:21] op_sel:[0,1]
	s_xor_b64 exec, exec, s[22:23]
	s_cbranch_execz .LBB62_1333
.LBB62_1353:
	v_cmp_ne_u16_e32 vcc, 0, v5
	s_andn2_b64 s[18:19], s[18:19], exec
	s_and_b64 s[20:21], vcc, exec
	v_pk_mov_b32 v[10:11], 0, 0
	s_or_b64 s[18:19], s[18:19], s[20:21]
	s_or_b64 exec, exec, s[22:23]
	s_and_saveexec_b64 s[20:21], s[18:19]
	s_cbranch_execnz .LBB62_1334
	s_branch .LBB62_1335
.LBB62_1354:
	s_mov_b64 s[4:5], -1
                                        ; implicit-def: $vgpr10_vgpr11
.LBB62_1355:
	s_mov_b64 s[22:23], 0
.LBB62_1356:
	s_and_b64 vcc, exec, s[22:23]
	s_cbranch_vccz .LBB62_1358
; %bb.1357:
	v_cmp_ne_u16_e64 s[4:5], 11, v9
	s_mov_b64 s[18:19], -1
                                        ; implicit-def: $vgpr10_vgpr11
.LBB62_1358:
	s_and_b64 vcc, exec, s[4:5]
	s_cbranch_vccnz .LBB62_1421
; %bb.1359:
	s_andn2_b64 vcc, exec, s[18:19]
	s_cbranch_vccnz .LBB62_1361
.LBB62_1360:
	global_load_ubyte v5, v[0:1], off
	v_mov_b32_e32 v11, 0x3ff00000
	v_mov_b32_e32 v10, 0
	s_mov_b64 s[20:21], -1
	s_waitcnt vmcnt(0)
	v_cmp_ne_u16_e32 vcc, 0, v5
	v_cndmask_b32_e32 v11, 0, v11, vcc
.LBB62_1361:
	s_branch .LBB62_1289
.LBB62_1362:
	v_cmp_gt_i16_e32 vcc, 5, v9
	s_cbranch_vccnz .LBB62_1367
; %bb.1363:
	v_cmp_gt_i16_e32 vcc, 8, v9
	s_cbranch_vccnz .LBB62_1368
; %bb.1364:
	;; [unrolled: 3-line block ×3, first 2 shown]
	v_cmp_lt_i16_e32 vcc, 9, v9
	s_cbranch_vccz .LBB62_1370
; %bb.1366:
	global_load_dwordx2 v[10:11], v[0:1], off
	s_mov_b64 s[4:5], 0
	s_branch .LBB62_1371
.LBB62_1367:
	s_mov_b64 s[4:5], -1
                                        ; implicit-def: $vgpr10_vgpr11
	s_branch .LBB62_1389
.LBB62_1368:
	s_mov_b64 s[4:5], -1
                                        ; implicit-def: $vgpr10_vgpr11
	s_branch .LBB62_1377
.LBB62_1369:
	s_mov_b64 s[4:5], -1
                                        ; implicit-def: $vgpr10_vgpr11
	s_branch .LBB62_1374
.LBB62_1370:
	s_mov_b64 s[4:5], -1
                                        ; implicit-def: $vgpr10_vgpr11
.LBB62_1371:
	s_andn2_b64 vcc, exec, s[4:5]
	s_cbranch_vccnz .LBB62_1373
; %bb.1372:
	global_load_dword v5, v[0:1], off
	s_waitcnt vmcnt(0)
	v_cvt_f64_f32_e32 v[10:11], v5
.LBB62_1373:
	s_mov_b64 s[4:5], 0
.LBB62_1374:
	s_andn2_b64 vcc, exec, s[4:5]
	s_cbranch_vccnz .LBB62_1376
; %bb.1375:
	global_load_dword v5, v[0:1], off
	s_waitcnt vmcnt(0)
	v_cvt_f32_f16_e32 v5, v5
	v_cvt_f64_f32_e32 v[10:11], v5
.LBB62_1376:
	s_mov_b64 s[4:5], 0
.LBB62_1377:
	s_andn2_b64 vcc, exec, s[4:5]
	s_cbranch_vccnz .LBB62_1388
; %bb.1378:
	v_cmp_gt_i16_e32 vcc, 6, v9
	s_cbranch_vccnz .LBB62_1381
; %bb.1379:
	v_cmp_lt_i16_e32 vcc, 6, v9
	s_cbranch_vccz .LBB62_1382
; %bb.1380:
	global_load_dwordx2 v[10:11], v[0:1], off
	s_mov_b64 s[4:5], 0
	s_branch .LBB62_1383
.LBB62_1381:
	s_mov_b64 s[4:5], -1
                                        ; implicit-def: $vgpr10_vgpr11
	s_branch .LBB62_1386
.LBB62_1382:
	s_mov_b64 s[4:5], -1
                                        ; implicit-def: $vgpr10_vgpr11
.LBB62_1383:
	s_andn2_b64 vcc, exec, s[4:5]
	s_cbranch_vccnz .LBB62_1385
; %bb.1384:
	global_load_dword v5, v[0:1], off
	s_waitcnt vmcnt(0)
	v_cvt_f64_f32_e32 v[10:11], v5
.LBB62_1385:
	s_mov_b64 s[4:5], 0
.LBB62_1386:
	s_andn2_b64 vcc, exec, s[4:5]
	s_cbranch_vccnz .LBB62_1388
; %bb.1387:
	global_load_ushort v5, v[0:1], off
	s_waitcnt vmcnt(0)
	v_cvt_f32_f16_e32 v5, v5
	v_cvt_f64_f32_e32 v[10:11], v5
.LBB62_1388:
	s_mov_b64 s[4:5], 0
.LBB62_1389:
	s_andn2_b64 vcc, exec, s[4:5]
	s_cbranch_vccnz .LBB62_1409
; %bb.1390:
	v_cmp_gt_i16_e32 vcc, 2, v9
	s_cbranch_vccnz .LBB62_1394
; %bb.1391:
	v_cmp_gt_i16_e32 vcc, 3, v9
	s_cbranch_vccnz .LBB62_1395
; %bb.1392:
	v_cmp_lt_i16_e32 vcc, 3, v9
	s_cbranch_vccz .LBB62_1396
; %bb.1393:
	global_load_dwordx2 v[10:11], v[0:1], off
	s_mov_b64 s[4:5], 0
	s_waitcnt vmcnt(0)
	v_cvt_f64_i32_e32 v[12:13], v11
	v_cvt_f64_u32_e32 v[10:11], v10
	v_ldexp_f64 v[12:13], v[12:13], 32
	v_add_f64 v[10:11], v[12:13], v[10:11]
	s_branch .LBB62_1397
.LBB62_1394:
	s_mov_b64 s[4:5], -1
                                        ; implicit-def: $vgpr10_vgpr11
	s_branch .LBB62_1403
.LBB62_1395:
	s_mov_b64 s[4:5], -1
                                        ; implicit-def: $vgpr10_vgpr11
	s_branch .LBB62_1400
.LBB62_1396:
	s_mov_b64 s[4:5], -1
                                        ; implicit-def: $vgpr10_vgpr11
.LBB62_1397:
	s_andn2_b64 vcc, exec, s[4:5]
	s_cbranch_vccnz .LBB62_1399
; %bb.1398:
	global_load_dword v5, v[0:1], off
	s_waitcnt vmcnt(0)
	v_cvt_f64_i32_e32 v[10:11], v5
.LBB62_1399:
	s_mov_b64 s[4:5], 0
.LBB62_1400:
	s_andn2_b64 vcc, exec, s[4:5]
	s_cbranch_vccnz .LBB62_1402
; %bb.1401:
	global_load_sshort v5, v[0:1], off
	s_waitcnt vmcnt(0)
	v_cvt_f64_i32_e32 v[10:11], v5
.LBB62_1402:
	s_mov_b64 s[4:5], 0
.LBB62_1403:
	s_andn2_b64 vcc, exec, s[4:5]
	s_cbranch_vccnz .LBB62_1409
; %bb.1404:
	v_cmp_lt_i16_e32 vcc, 0, v9
	s_cbranch_vccz .LBB62_1406
; %bb.1405:
	global_load_sbyte v5, v[0:1], off
	s_mov_b64 s[4:5], 0
	s_waitcnt vmcnt(0)
	v_cvt_f64_i32_e32 v[10:11], v5
	s_branch .LBB62_1407
.LBB62_1406:
	s_mov_b64 s[4:5], -1
                                        ; implicit-def: $vgpr10_vgpr11
.LBB62_1407:
	s_andn2_b64 vcc, exec, s[4:5]
	s_cbranch_vccnz .LBB62_1409
; %bb.1408:
	global_load_ubyte v0, v[0:1], off
	s_waitcnt vmcnt(0)
	v_cvt_f64_u32_e32 v[10:11], v0
.LBB62_1409:
.LBB62_1410:
	v_add_u32_e32 v0, s2, v4
	v_ashrrev_i32_e32 v1, 31, v0
	v_mov_b32_e32 v5, s11
	v_add_co_u32_e32 v4, vcc, s10, v0
	v_addc_co_u32_e32 v5, vcc, v5, v1, vcc
	s_and_b64 vcc, exec, s[0:1]
	s_cbranch_vccnz .LBB62_1417
; %bb.1411:
	v_cmp_lt_i16_e32 vcc, 25, v9
	s_mov_b64 s[4:5], 0
	s_cbranch_vccz .LBB62_1418
; %bb.1412:
	v_cmp_lt_i16_e32 vcc, 28, v9
	s_cbranch_vccz .LBB62_1419
; %bb.1413:
	v_cmp_lt_i16_e32 vcc, 43, v9
	;; [unrolled: 3-line block ×3, first 2 shown]
	s_cbranch_vccz .LBB62_1422
; %bb.1415:
	v_cmp_eq_u16_e32 vcc, 46, v9
	s_mov_b64 s[18:19], 0
	s_cbranch_vccz .LBB62_1423
; %bb.1416:
	global_load_dword v0, v[4:5], off
	s_mov_b64 s[0:1], 0
	s_mov_b64 s[10:11], -1
	s_waitcnt vmcnt(0)
	v_lshlrev_b32_e32 v0, 16, v0
	v_cvt_f64_f32_e32 v[0:1], v0
	s_branch .LBB62_1424
.LBB62_1417:
	s_mov_b64 s[0:1], -1
	s_mov_b64 s[10:11], 0
                                        ; implicit-def: $vgpr0_vgpr1
	s_branch .LBB62_1490
.LBB62_1418:
	s_mov_b64 s[18:19], -1
	s_mov_b64 s[10:11], 0
	s_mov_b64 s[0:1], 0
                                        ; implicit-def: $vgpr0_vgpr1
	s_branch .LBB62_1453
.LBB62_1419:
	s_mov_b64 s[18:19], -1
	s_mov_b64 s[10:11], 0
	s_mov_b64 s[0:1], 0
                                        ; implicit-def: $vgpr0_vgpr1
	s_branch .LBB62_1434
.LBB62_1420:
	s_mov_b64 s[18:19], -1
	s_mov_b64 s[10:11], 0
	s_mov_b64 s[0:1], 0
                                        ; implicit-def: $vgpr0_vgpr1
	s_branch .LBB62_1429
.LBB62_1421:
	s_trap 2
	s_or_b64 s[16:17], s[16:17], exec
                                        ; implicit-def: $vgpr10_vgpr11
	s_cbranch_execz .LBB62_1360
	s_branch .LBB62_1361
.LBB62_1422:
	s_mov_b64 s[18:19], -1
	s_mov_b64 s[10:11], 0
	s_mov_b64 s[0:1], 0
                                        ; implicit-def: $vgpr0_vgpr1
	s_branch .LBB62_1424
.LBB62_1423:
	s_mov_b64 s[0:1], -1
                                        ; implicit-def: $vgpr0_vgpr1
	s_mov_b64 s[10:11], 0
.LBB62_1424:
	s_and_b64 vcc, exec, s[18:19]
	s_cbranch_vccz .LBB62_1428
; %bb.1425:
	v_cmp_eq_u16_e32 vcc, 44, v9
	s_cbranch_vccz .LBB62_1427
; %bb.1426:
	global_load_ubyte v12, v[4:5], off
	s_movk_i32 s2, 0xff
	v_bfrev_b32_e32 v13, 4
	v_mov_b32_e32 v14, 0x7ff80000
	v_bfrev_b32_e32 v15, 28
	s_mov_b64 s[0:1], 0
	s_mov_b64 s[10:11], -1
	s_waitcnt vmcnt(0)
	v_lshlrev_b32_e32 v0, 23, v12
	v_cvt_f64_f32_e32 v[0:1], v0
	v_cmp_ne_u32_e32 vcc, s2, v12
	v_cndmask_b32_e32 v0, v13, v0, vcc
	v_cndmask_b32_e32 v1, v14, v1, vcc
	v_cmp_ne_u32_e32 vcc, 0, v12
	v_cndmask_b32_e32 v1, v15, v1, vcc
	v_cndmask_b32_e32 v0, 0, v0, vcc
	s_branch .LBB62_1428
.LBB62_1427:
	s_mov_b64 s[0:1], -1
                                        ; implicit-def: $vgpr0_vgpr1
.LBB62_1428:
	s_mov_b64 s[18:19], 0
.LBB62_1429:
	s_and_b64 vcc, exec, s[18:19]
	s_cbranch_vccz .LBB62_1433
; %bb.1430:
	v_cmp_eq_u16_e32 vcc, 29, v9
	s_cbranch_vccz .LBB62_1432
; %bb.1431:
	global_load_dwordx2 v[0:1], v[4:5], off
	s_mov_b64 s[0:1], 0
	s_mov_b64 s[10:11], -1
	s_mov_b64 s[18:19], 0
	s_waitcnt vmcnt(0)
	v_cvt_f64_u32_e32 v[12:13], v1
	v_cvt_f64_u32_e32 v[0:1], v0
	v_ldexp_f64 v[12:13], v[12:13], 32
	v_add_f64 v[0:1], v[12:13], v[0:1]
	s_branch .LBB62_1434
.LBB62_1432:
	s_mov_b64 s[0:1], -1
                                        ; implicit-def: $vgpr0_vgpr1
.LBB62_1433:
	s_mov_b64 s[18:19], 0
.LBB62_1434:
	s_and_b64 vcc, exec, s[18:19]
	s_cbranch_vccz .LBB62_1452
; %bb.1435:
	v_cmp_gt_i16_e32 vcc, 27, v9
	s_cbranch_vccnz .LBB62_1438
; %bb.1436:
	v_cmp_lt_i16_e32 vcc, 27, v9
	s_cbranch_vccz .LBB62_1439
; %bb.1437:
	global_load_dword v0, v[4:5], off
	s_mov_b64 s[10:11], 0
	s_waitcnt vmcnt(0)
	v_cvt_f64_u32_e32 v[0:1], v0
	s_branch .LBB62_1440
.LBB62_1438:
	s_mov_b64 s[10:11], -1
                                        ; implicit-def: $vgpr0_vgpr1
	s_branch .LBB62_1443
.LBB62_1439:
	s_mov_b64 s[10:11], -1
                                        ; implicit-def: $vgpr0_vgpr1
.LBB62_1440:
	s_andn2_b64 vcc, exec, s[10:11]
	s_cbranch_vccnz .LBB62_1442
; %bb.1441:
	global_load_ushort v0, v[4:5], off
	s_waitcnt vmcnt(0)
	v_cvt_f64_u32_e32 v[0:1], v0
.LBB62_1442:
	s_mov_b64 s[10:11], 0
.LBB62_1443:
	s_andn2_b64 vcc, exec, s[10:11]
	s_cbranch_vccnz .LBB62_1451
; %bb.1444:
	global_load_ubyte v12, v[4:5], off
	s_movk_i32 s2, 0x7f
	s_mov_b64 s[10:11], 0
                                        ; implicit-def: $sgpr18_sgpr19
	s_waitcnt vmcnt(0)
	v_cmp_lt_i16_e32 vcc, s2, v12
	s_and_saveexec_b64 s[20:21], vcc
	s_xor_b64 s[20:21], exec, s[20:21]
	s_cbranch_execz .LBB62_1465
; %bb.1445:
	s_movk_i32 s2, 0x80
	v_cmp_eq_u16_e32 vcc, s2, v12
	s_mov_b64 s[22:23], -1
                                        ; implicit-def: $sgpr18_sgpr19
	s_and_saveexec_b64 s[10:11], vcc
; %bb.1446:
	s_mov_b32 s19, 0x7ff80000
	s_brev_b32 s18, 4
	s_xor_b64 s[22:23], exec, -1
; %bb.1447:
	s_or_b64 exec, exec, s[10:11]
	s_and_b64 s[10:11], s[22:23], exec
	s_or_saveexec_b64 s[20:21], s[20:21]
	v_pk_mov_b32 v[0:1], s[18:19], s[18:19] op_sel:[0,1]
	s_xor_b64 exec, exec, s[20:21]
	s_cbranch_execnz .LBB62_1466
.LBB62_1448:
	s_or_b64 exec, exec, s[20:21]
	s_and_saveexec_b64 s[18:19], s[10:11]
	s_cbranch_execz .LBB62_1450
.LBB62_1449:
	v_and_b32_e32 v1, 0xffff, v12
	v_lshlrev_b32_e32 v0, 24, v12
	v_and_b32_e32 v12, 7, v1
	v_ffbh_u32_e32 v14, v12
	v_min_u32_e32 v14, 32, v14
	v_subrev_u32_e32 v15, 28, v14
	v_bfe_u32 v13, v1, 3, 4
	v_lshlrev_b32_e32 v1, v15, v1
	v_sub_u32_e32 v14, 29, v14
	v_and_b32_e32 v1, 7, v1
	v_cmp_eq_u32_e32 vcc, 0, v13
	v_cndmask_b32_e32 v13, v13, v14, vcc
	v_cndmask_b32_e32 v1, v12, v1, vcc
	v_mov_b32_e32 v12, 0x3b800000
	v_lshlrev_b32_e32 v1, 20, v1
	v_and_b32_e32 v0, 0x80000000, v0
	v_lshl_add_u32 v12, v13, 23, v12
	v_or3_b32 v0, v0, v12, v1
	v_cvt_f64_f32_e32 v[0:1], v0
.LBB62_1450:
	s_or_b64 exec, exec, s[18:19]
.LBB62_1451:
	s_mov_b64 s[10:11], -1
.LBB62_1452:
	s_mov_b64 s[18:19], 0
.LBB62_1453:
	s_and_b64 vcc, exec, s[18:19]
	s_cbranch_vccz .LBB62_1486
; %bb.1454:
	v_cmp_lt_i16_e32 vcc, 22, v9
	s_cbranch_vccz .LBB62_1464
; %bb.1455:
	v_cmp_gt_i16_e32 vcc, 24, v9
	s_cbranch_vccnz .LBB62_1467
; %bb.1456:
	v_cmp_lt_i16_e32 vcc, 24, v9
	s_cbranch_vccz .LBB62_1468
; %bb.1457:
	global_load_ubyte v12, v[4:5], off
	s_movk_i32 s2, 0x7f
                                        ; implicit-def: $sgpr10_sgpr11
	s_waitcnt vmcnt(0)
	v_cmp_lt_i16_e32 vcc, s2, v12
	s_and_saveexec_b64 s[18:19], vcc
	s_xor_b64 s[18:19], exec, s[18:19]
	s_cbranch_execz .LBB62_1480
; %bb.1458:
	s_movk_i32 s2, 0x80
	v_cmp_eq_u16_e32 vcc, s2, v12
	s_mov_b64 s[20:21], -1
                                        ; implicit-def: $sgpr10_sgpr11
	s_and_saveexec_b64 s[4:5], vcc
; %bb.1459:
	s_mov_b32 s11, 0x7ff80000
	s_brev_b32 s10, 4
	s_xor_b64 s[20:21], exec, -1
; %bb.1460:
	s_or_b64 exec, exec, s[4:5]
	s_and_b64 s[4:5], s[20:21], exec
	s_or_saveexec_b64 s[18:19], s[18:19]
	v_pk_mov_b32 v[0:1], s[10:11], s[10:11] op_sel:[0,1]
	s_xor_b64 exec, exec, s[18:19]
	s_cbranch_execnz .LBB62_1481
.LBB62_1461:
	s_or_b64 exec, exec, s[18:19]
	s_and_saveexec_b64 s[10:11], s[4:5]
	s_cbranch_execz .LBB62_1463
.LBB62_1462:
	v_and_b32_e32 v1, 0xffff, v12
	v_lshlrev_b32_e32 v0, 24, v12
	v_and_b32_e32 v12, 3, v1
	v_ffbh_u32_e32 v14, v12
	v_min_u32_e32 v14, 32, v14
	v_subrev_u32_e32 v15, 29, v14
	v_bfe_u32 v13, v1, 2, 5
	v_lshlrev_b32_e32 v1, v15, v1
	v_sub_u32_e32 v14, 30, v14
	v_and_b32_e32 v1, 3, v1
	v_cmp_eq_u32_e32 vcc, 0, v13
	v_cndmask_b32_e32 v13, v13, v14, vcc
	v_cndmask_b32_e32 v1, v12, v1, vcc
	v_mov_b32_e32 v12, 0x37800000
	v_lshlrev_b32_e32 v1, 21, v1
	v_and_b32_e32 v0, 0x80000000, v0
	v_lshl_add_u32 v12, v13, 23, v12
	v_or3_b32 v0, v0, v12, v1
	v_cvt_f64_f32_e32 v[0:1], v0
.LBB62_1463:
	s_or_b64 exec, exec, s[10:11]
	s_mov_b64 s[4:5], 0
	s_branch .LBB62_1469
.LBB62_1464:
	s_mov_b64 s[4:5], -1
                                        ; implicit-def: $vgpr0_vgpr1
	s_branch .LBB62_1475
.LBB62_1465:
	s_or_saveexec_b64 s[20:21], s[20:21]
	v_pk_mov_b32 v[0:1], s[18:19], s[18:19] op_sel:[0,1]
	s_xor_b64 exec, exec, s[20:21]
	s_cbranch_execz .LBB62_1448
.LBB62_1466:
	v_cmp_ne_u16_e32 vcc, 0, v12
	s_andn2_b64 s[10:11], s[10:11], exec
	s_and_b64 s[18:19], vcc, exec
	v_pk_mov_b32 v[0:1], 0, 0
	s_or_b64 s[10:11], s[10:11], s[18:19]
	s_or_b64 exec, exec, s[20:21]
	s_and_saveexec_b64 s[18:19], s[10:11]
	s_cbranch_execnz .LBB62_1449
	s_branch .LBB62_1450
.LBB62_1467:
	s_mov_b64 s[4:5], -1
                                        ; implicit-def: $vgpr0_vgpr1
	s_branch .LBB62_1472
.LBB62_1468:
	s_mov_b64 s[4:5], -1
                                        ; implicit-def: $vgpr0_vgpr1
.LBB62_1469:
	s_and_b64 vcc, exec, s[4:5]
	s_cbranch_vccz .LBB62_1471
; %bb.1470:
	global_load_ubyte v0, v[4:5], off
	s_mov_b32 s2, 0x7f800000
	s_waitcnt vmcnt(0)
	v_lshlrev_b32_e32 v0, 24, v0
	v_and_b32_e32 v1, 0x7f000000, v0
	v_ffbh_u32_e32 v12, v1
	v_min_u32_e32 v12, 32, v12
	v_sub_u32_e64 v12, v12, 4 clamp
	v_lshlrev_b32_e32 v14, v12, v1
	v_lshlrev_b32_e32 v12, 23, v12
	v_lshrrev_b32_e32 v14, 4, v14
	v_add_u32_e32 v13, 0x1000000, v1
	v_sub_u32_e32 v12, v14, v12
	v_ashrrev_i32_e32 v13, 8, v13
	v_add_u32_e32 v12, 0x3c000000, v12
	v_and_or_b32 v12, v13, s2, v12
	v_cmp_ne_u32_e32 vcc, 0, v1
	v_cndmask_b32_e32 v1, 0, v12, vcc
	s_brev_b32 s2, 1
	v_and_or_b32 v0, v0, s2, v1
	v_cvt_f64_f32_e32 v[0:1], v0
.LBB62_1471:
	s_mov_b64 s[4:5], 0
.LBB62_1472:
	s_andn2_b64 vcc, exec, s[4:5]
	s_cbranch_vccnz .LBB62_1474
; %bb.1473:
	global_load_ubyte v0, v[4:5], off
	s_movk_i32 s2, 0x7f00
	s_brev_b32 s4, 16
	s_waitcnt vmcnt(0)
	v_lshlrev_b16_e32 v1, 8, v0
	v_lshlrev_b32_e32 v0, 25, v0
	v_lshrrev_b32_e32 v12, 4, v0
	v_and_or_b32 v13, v1, s2, 0.5
	v_or_b32_e32 v12, 0x70000000, v12
	v_add_f32_e32 v13, -0.5, v13
	v_mul_f32_e32 v12, 0x7800000, v12
	v_cmp_gt_u32_e32 vcc, s4, v0
	v_bfe_i32 v1, v1, 0, 16
	v_cndmask_b32_e32 v0, v12, v13, vcc
	s_brev_b32 s2, 1
	v_and_or_b32 v0, v1, s2, v0
	v_cvt_f64_f32_e32 v[0:1], v0
.LBB62_1474:
	s_mov_b64 s[4:5], 0
	s_mov_b64 s[10:11], -1
.LBB62_1475:
	s_andn2_b64 vcc, exec, s[4:5]
	s_mov_b64 s[4:5], 0
	s_cbranch_vccnz .LBB62_1486
; %bb.1476:
	v_cmp_lt_i16_e32 vcc, 14, v9
	s_cbranch_vccz .LBB62_1479
; %bb.1477:
	v_cmp_eq_u16_e32 vcc, 15, v9
	s_cbranch_vccz .LBB62_1482
; %bb.1478:
	global_load_ushort v0, v[4:5], off
	s_mov_b64 s[0:1], 0
	s_mov_b64 s[10:11], -1
	s_waitcnt vmcnt(0)
	v_lshlrev_b32_e32 v0, 16, v0
	v_cvt_f64_f32_e32 v[0:1], v0
	s_branch .LBB62_1483
.LBB62_1479:
	s_mov_b64 s[18:19], -1
                                        ; implicit-def: $vgpr0_vgpr1
	s_branch .LBB62_1484
.LBB62_1480:
	s_or_saveexec_b64 s[18:19], s[18:19]
	v_pk_mov_b32 v[0:1], s[10:11], s[10:11] op_sel:[0,1]
	s_xor_b64 exec, exec, s[18:19]
	s_cbranch_execz .LBB62_1461
.LBB62_1481:
	v_cmp_ne_u16_e32 vcc, 0, v12
	s_andn2_b64 s[4:5], s[4:5], exec
	s_and_b64 s[10:11], vcc, exec
	v_pk_mov_b32 v[0:1], 0, 0
	s_or_b64 s[4:5], s[4:5], s[10:11]
	s_or_b64 exec, exec, s[18:19]
	s_and_saveexec_b64 s[10:11], s[4:5]
	s_cbranch_execnz .LBB62_1462
	s_branch .LBB62_1463
.LBB62_1482:
	s_mov_b64 s[0:1], -1
                                        ; implicit-def: $vgpr0_vgpr1
.LBB62_1483:
	s_mov_b64 s[18:19], 0
.LBB62_1484:
	s_and_b64 vcc, exec, s[18:19]
	s_cbranch_vccz .LBB62_1486
; %bb.1485:
	v_cmp_ne_u16_e64 s[0:1], 11, v9
	s_mov_b64 s[4:5], -1
                                        ; implicit-def: $vgpr0_vgpr1
.LBB62_1486:
	s_and_b64 vcc, exec, s[0:1]
	s_cbranch_vccnz .LBB62_1550
; %bb.1487:
	s_andn2_b64 vcc, exec, s[4:5]
	s_cbranch_vccnz .LBB62_1489
.LBB62_1488:
	global_load_ubyte v1, v[4:5], off
	v_mov_b32_e32 v12, 0x3ff00000
	v_mov_b32_e32 v0, 0
	s_mov_b64 s[10:11], -1
	s_waitcnt vmcnt(0)
	v_cmp_ne_u16_e32 vcc, 0, v1
	v_cndmask_b32_e32 v1, 0, v12, vcc
.LBB62_1489:
	s_mov_b64 s[0:1], 0
.LBB62_1490:
	s_and_b64 vcc, exec, s[0:1]
	s_cbranch_vccz .LBB62_1539
; %bb.1491:
	v_cmp_gt_i16_e32 vcc, 5, v9
	s_cbranch_vccnz .LBB62_1496
; %bb.1492:
	v_cmp_gt_i16_e32 vcc, 8, v9
	s_cbranch_vccnz .LBB62_1497
	;; [unrolled: 3-line block ×3, first 2 shown]
; %bb.1494:
	v_cmp_lt_i16_e32 vcc, 9, v9
	s_cbranch_vccz .LBB62_1499
; %bb.1495:
	global_load_dwordx2 v[0:1], v[4:5], off
	s_mov_b64 s[0:1], 0
	s_branch .LBB62_1500
.LBB62_1496:
	s_mov_b64 s[0:1], -1
                                        ; implicit-def: $vgpr0_vgpr1
	s_branch .LBB62_1518
.LBB62_1497:
	s_mov_b64 s[0:1], -1
                                        ; implicit-def: $vgpr0_vgpr1
	s_branch .LBB62_1506
.LBB62_1498:
	s_mov_b64 s[0:1], -1
                                        ; implicit-def: $vgpr0_vgpr1
	s_branch .LBB62_1503
.LBB62_1499:
	s_mov_b64 s[0:1], -1
                                        ; implicit-def: $vgpr0_vgpr1
.LBB62_1500:
	s_andn2_b64 vcc, exec, s[0:1]
	s_cbranch_vccnz .LBB62_1502
; %bb.1501:
	global_load_dword v0, v[4:5], off
	s_waitcnt vmcnt(0)
	v_cvt_f64_f32_e32 v[0:1], v0
.LBB62_1502:
	s_mov_b64 s[0:1], 0
.LBB62_1503:
	s_andn2_b64 vcc, exec, s[0:1]
	s_cbranch_vccnz .LBB62_1505
; %bb.1504:
	global_load_dword v0, v[4:5], off
	s_waitcnt vmcnt(0)
	v_cvt_f32_f16_e32 v0, v0
	v_cvt_f64_f32_e32 v[0:1], v0
.LBB62_1505:
	s_mov_b64 s[0:1], 0
.LBB62_1506:
	s_andn2_b64 vcc, exec, s[0:1]
	s_cbranch_vccnz .LBB62_1517
; %bb.1507:
	v_cmp_gt_i16_e32 vcc, 6, v9
	s_cbranch_vccnz .LBB62_1510
; %bb.1508:
	v_cmp_lt_i16_e32 vcc, 6, v9
	s_cbranch_vccz .LBB62_1511
; %bb.1509:
	global_load_dwordx2 v[0:1], v[4:5], off
	s_mov_b64 s[0:1], 0
	s_branch .LBB62_1512
.LBB62_1510:
	s_mov_b64 s[0:1], -1
                                        ; implicit-def: $vgpr0_vgpr1
	s_branch .LBB62_1515
.LBB62_1511:
	s_mov_b64 s[0:1], -1
                                        ; implicit-def: $vgpr0_vgpr1
.LBB62_1512:
	s_andn2_b64 vcc, exec, s[0:1]
	s_cbranch_vccnz .LBB62_1514
; %bb.1513:
	global_load_dword v0, v[4:5], off
	s_waitcnt vmcnt(0)
	v_cvt_f64_f32_e32 v[0:1], v0
.LBB62_1514:
	s_mov_b64 s[0:1], 0
.LBB62_1515:
	s_andn2_b64 vcc, exec, s[0:1]
	s_cbranch_vccnz .LBB62_1517
; %bb.1516:
	global_load_ushort v0, v[4:5], off
	s_waitcnt vmcnt(0)
	v_cvt_f32_f16_e32 v0, v0
	v_cvt_f64_f32_e32 v[0:1], v0
.LBB62_1517:
	s_mov_b64 s[0:1], 0
.LBB62_1518:
	s_andn2_b64 vcc, exec, s[0:1]
	s_cbranch_vccnz .LBB62_1538
; %bb.1519:
	v_cmp_gt_i16_e32 vcc, 2, v9
	s_cbranch_vccnz .LBB62_1523
; %bb.1520:
	v_cmp_gt_i16_e32 vcc, 3, v9
	s_cbranch_vccnz .LBB62_1524
; %bb.1521:
	v_cmp_lt_i16_e32 vcc, 3, v9
	s_cbranch_vccz .LBB62_1525
; %bb.1522:
	global_load_dwordx2 v[0:1], v[4:5], off
	s_mov_b64 s[0:1], 0
	s_waitcnt vmcnt(0)
	v_cvt_f64_i32_e32 v[12:13], v1
	v_cvt_f64_u32_e32 v[0:1], v0
	v_ldexp_f64 v[12:13], v[12:13], 32
	v_add_f64 v[0:1], v[12:13], v[0:1]
	s_branch .LBB62_1526
.LBB62_1523:
	s_mov_b64 s[0:1], -1
                                        ; implicit-def: $vgpr0_vgpr1
	s_branch .LBB62_1532
.LBB62_1524:
	s_mov_b64 s[0:1], -1
                                        ; implicit-def: $vgpr0_vgpr1
	s_branch .LBB62_1529
.LBB62_1525:
	s_mov_b64 s[0:1], -1
                                        ; implicit-def: $vgpr0_vgpr1
.LBB62_1526:
	s_andn2_b64 vcc, exec, s[0:1]
	s_cbranch_vccnz .LBB62_1528
; %bb.1527:
	global_load_dword v0, v[4:5], off
	s_waitcnt vmcnt(0)
	v_cvt_f64_i32_e32 v[0:1], v0
.LBB62_1528:
	s_mov_b64 s[0:1], 0
.LBB62_1529:
	s_andn2_b64 vcc, exec, s[0:1]
	s_cbranch_vccnz .LBB62_1531
; %bb.1530:
	global_load_sshort v0, v[4:5], off
	s_waitcnt vmcnt(0)
	v_cvt_f64_i32_e32 v[0:1], v0
.LBB62_1531:
	s_mov_b64 s[0:1], 0
.LBB62_1532:
	s_andn2_b64 vcc, exec, s[0:1]
	s_cbranch_vccnz .LBB62_1538
; %bb.1533:
	v_cmp_lt_i16_e32 vcc, 0, v9
	s_cbranch_vccz .LBB62_1535
; %bb.1534:
	global_load_sbyte v0, v[4:5], off
	s_mov_b64 s[0:1], 0
	s_waitcnt vmcnt(0)
	v_cvt_f64_i32_e32 v[0:1], v0
	s_branch .LBB62_1536
.LBB62_1535:
	s_mov_b64 s[0:1], -1
                                        ; implicit-def: $vgpr0_vgpr1
.LBB62_1536:
	s_andn2_b64 vcc, exec, s[0:1]
	s_cbranch_vccnz .LBB62_1538
; %bb.1537:
	global_load_ubyte v0, v[4:5], off
	s_waitcnt vmcnt(0)
	v_cvt_f64_u32_e32 v[0:1], v0
.LBB62_1538:
	s_mov_b64 s[10:11], -1
.LBB62_1539:
	s_andn2_b64 vcc, exec, s[10:11]
	s_cbranch_vccnz .LBB62_1993
; %bb.1540:
	s_brev_b32 s0, -2
	v_mov_b32_e32 v4, s3
	v_mul_lo_u32 v12, s12, v8
	s_waitcnt vmcnt(0)
	v_bfi_b32 v3, s0, v3, v4
	v_ashrrev_i32_e32 v4, 31, v12
	v_mov_b32_e32 v5, s9
	v_add_co_u32_e32 v8, vcc, s8, v12
	v_addc_co_u32_e32 v9, vcc, v5, v4, vcc
	v_mov_b32_e32 v4, 11
	v_cmp_lt_i16_sdwa s[0:1], s33, v4 src0_sel:BYTE_0 src1_sel:DWORD
	s_and_b64 vcc, exec, s[0:1]
	s_cbranch_vccnz .LBB62_1547
; %bb.1541:
	v_mov_b32_e32 v4, 25
	v_cmp_gt_i16_sdwa s[0:1], s33, v4 src0_sel:BYTE_0 src1_sel:DWORD
	s_mov_b64 s[18:19], -1
	s_mov_b64 s[4:5], 0
	s_and_b64 vcc, exec, s[0:1]
	s_mov_b64 s[10:11], 0
	s_mov_b64 s[0:1], 0
	s_cbranch_vccz .LBB62_1579
; %bb.1542:
	v_mov_b32_e32 v4, 28
	v_cmp_gt_i16_sdwa s[0:1], s33, v4 src0_sel:BYTE_0 src1_sel:DWORD
	s_and_b64 vcc, exec, s[0:1]
	s_cbranch_vccz .LBB62_1548
; %bb.1543:
	v_mov_b32_e32 v4, 43
	v_cmp_gt_i16_sdwa s[0:1], s33, v4 src0_sel:BYTE_0 src1_sel:DWORD
	s_and_b64 vcc, exec, s[0:1]
	;; [unrolled: 5-line block ×3, first 2 shown]
	s_cbranch_vccz .LBB62_1551
; %bb.1545:
	v_mov_b32_e32 v4, 46
	v_cmp_eq_u16_sdwa s[10:11], s33, v4 src0_sel:BYTE_0 src1_sel:DWORD
	s_mov_b64 s[0:1], -1
	s_mov_b64 s[18:19], 0
	s_and_b64 vcc, exec, s[10:11]
	s_mov_b64 s[10:11], 0
	s_cbranch_vccz .LBB62_1552
; %bb.1546:
	v_cvt_f32_f64_e32 v4, v[2:3]
	v_bfe_u32 v5, v4, 16, 1
	s_movk_i32 s0, 0x7fff
	v_add3_u32 v5, v4, v5, s0
	v_lshrrev_b32_e32 v5, 16, v5
	v_mov_b32_e32 v13, 0x7fc0
	v_cmp_o_f32_e32 vcc, v4, v4
	v_cndmask_b32_e32 v4, v13, v5, vcc
	global_store_dword v[8:9], v4, off
	s_mov_b64 s[0:1], 0
	s_mov_b64 s[10:11], -1
	s_branch .LBB62_1552
.LBB62_1547:
	s_mov_b64 s[0:1], -1
	s_mov_b64 s[10:11], 0
	s_branch .LBB62_1623
.LBB62_1548:
	s_mov_b64 s[0:1], 0
	s_branch .LBB62_1562
.LBB62_1549:
	s_mov_b64 s[0:1], 0
	s_branch .LBB62_1558
.LBB62_1550:
	s_trap 2
	s_or_b64 s[16:17], s[16:17], exec
                                        ; implicit-def: $vgpr0_vgpr1
	s_cbranch_execz .LBB62_1488
	s_branch .LBB62_1489
.LBB62_1551:
	s_mov_b64 s[0:1], 0
.LBB62_1552:
	s_and_b64 vcc, exec, s[18:19]
	s_cbranch_vccz .LBB62_1557
; %bb.1553:
	v_mov_b32_e32 v4, 44
	v_cmp_eq_u16_sdwa s[18:19], s33, v4 src0_sel:BYTE_0 src1_sel:DWORD
	s_mov_b64 s[0:1], -1
	s_and_b64 vcc, exec, s[18:19]
	s_cbranch_vccz .LBB62_1557
; %bb.1554:
	v_cvt_f32_f64_e32 v4, v[2:3]
	v_bfe_u32 v5, v4, 23, 8
	s_movk_i32 s0, 0xff
	v_cmp_ne_u32_e32 vcc, s0, v5
	v_mov_b32_e32 v13, 0xff
	s_and_saveexec_b64 s[10:11], vcc
; %bb.1555:
	s_mov_b32 s0, 0x3fffff
	v_lshrrev_b32_e32 v13, 23, v4
	v_and_b32_e32 v14, 0x400000, v4
	v_and_or_b32 v4, v4, s0, v5
	v_cmp_ne_u32_e32 vcc, 0, v14
	v_cmp_ne_u32_e64 s[0:1], 0, v4
	s_and_b64 s[0:1], vcc, s[0:1]
	v_cndmask_b32_e64 v4, 0, 1, s[0:1]
	v_add_u32_e32 v13, v13, v4
; %bb.1556:
	s_or_b64 exec, exec, s[10:11]
	s_mov_b64 s[0:1], 0
	s_mov_b64 s[10:11], -1
	global_store_byte v[8:9], v13, off
.LBB62_1557:
	s_mov_b64 s[18:19], 0
.LBB62_1558:
	s_and_b64 vcc, exec, s[18:19]
	s_cbranch_vccz .LBB62_1561
; %bb.1559:
	v_mov_b32_e32 v4, 29
	v_cmp_eq_u16_sdwa s[18:19], s33, v4 src0_sel:BYTE_0 src1_sel:DWORD
	s_mov_b64 s[0:1], -1
	s_and_b64 vcc, exec, s[18:19]
	s_cbranch_vccz .LBB62_1561
; %bb.1560:
	v_trunc_f64_e32 v[4:5], v[2:3]
	s_movk_i32 s0, 0xffe0
	v_ldexp_f64 v[14:15], v[4:5], s0
	v_floor_f64_e32 v[14:15], v[14:15]
	v_fmac_f64_e32 v[4:5], 0xc1f00000, v[14:15]
	v_cvt_u32_f64_e32 v17, v[14:15]
	v_cvt_u32_f64_e32 v16, v[4:5]
	global_store_dwordx2 v[8:9], v[16:17], off
	s_mov_b64 s[0:1], 0
	s_mov_b64 s[10:11], -1
.LBB62_1561:
	s_mov_b64 s[18:19], 0
.LBB62_1562:
	s_and_b64 vcc, exec, s[18:19]
	s_cbranch_vccz .LBB62_1578
; %bb.1563:
	v_mov_b32_e32 v4, 27
	v_cmp_lt_i16_sdwa s[18:19], s33, v4 src0_sel:BYTE_0 src1_sel:DWORD
	s_mov_b64 s[10:11], -1
	s_and_b64 vcc, exec, s[18:19]
	s_cbranch_vccnz .LBB62_1569
; %bb.1564:
	v_cmp_gt_i16_sdwa s[18:19], s33, v4 src0_sel:BYTE_0 src1_sel:DWORD
	s_and_b64 vcc, exec, s[18:19]
	v_cvt_u32_f64_e32 v4, v[2:3]
	s_cbranch_vccz .LBB62_1566
; %bb.1565:
	s_mov_b64 s[10:11], 0
	global_store_dword v[8:9], v4, off
.LBB62_1566:
	s_andn2_b64 vcc, exec, s[10:11]
	s_cbranch_vccnz .LBB62_1568
; %bb.1567:
	global_store_short v[8:9], v4, off
.LBB62_1568:
	s_mov_b64 s[10:11], 0
.LBB62_1569:
	s_andn2_b64 vcc, exec, s[10:11]
	s_cbranch_vccnz .LBB62_1577
; %bb.1570:
	v_cvt_f32_f64_e32 v4, v[2:3]
	v_and_b32_e32 v5, 0x7fffffff, v4
	s_mov_b32 s2, 0x43800000
	v_cmp_gt_u32_e32 vcc, s2, v5
	v_mov_b32_e32 v13, 0x80
	s_and_saveexec_b64 s[10:11], vcc
	s_cbranch_execz .LBB62_1576
; %bb.1571:
	s_mov_b32 s2, 0x3bffffff
	v_cmp_lt_u32_e32 vcc, s2, v5
	s_mov_b64 s[18:19], 0
                                        ; implicit-def: $vgpr5
	s_and_saveexec_b64 s[20:21], vcc
	s_xor_b64 s[20:21], exec, s[20:21]
	s_cbranch_execz .LBB62_1672
; %bb.1572:
	v_bfe_u32 v5, v4, 20, 1
	s_mov_b32 s2, 0x487ffff
	v_add3_u32 v5, v4, v5, s2
	s_mov_b64 s[18:19], exec
	v_lshrrev_b32_e32 v5, 20, v5
	s_or_saveexec_b64 s[20:21], s[20:21]
                                        ; implicit-def: $sgpr2
	s_xor_b64 exec, exec, s[20:21]
	s_cbranch_execnz .LBB62_1673
.LBB62_1573:
	s_or_b64 exec, exec, s[20:21]
	v_mov_b32_e32 v13, s2
	s_and_saveexec_b64 s[20:21], s[18:19]
.LBB62_1574:
	v_lshrrev_b32_e32 v4, 24, v4
	s_movk_i32 s2, 0x80
	v_and_or_b32 v13, v4, s2, v5
.LBB62_1575:
	s_or_b64 exec, exec, s[20:21]
.LBB62_1576:
	s_or_b64 exec, exec, s[10:11]
	global_store_byte v[8:9], v13, off
.LBB62_1577:
	s_mov_b64 s[10:11], -1
.LBB62_1578:
	s_mov_b64 s[18:19], 0
.LBB62_1579:
	s_and_b64 vcc, exec, s[18:19]
	s_cbranch_vccz .LBB62_1619
; %bb.1580:
	v_mov_b32_e32 v4, 22
	v_cmp_gt_i16_sdwa s[18:19], s33, v4 src0_sel:BYTE_0 src1_sel:DWORD
	s_mov_b64 s[4:5], -1
	s_and_b64 vcc, exec, s[18:19]
	s_cbranch_vccz .LBB62_1612
; %bb.1581:
	v_mov_b32_e32 v4, 24
	v_cmp_lt_i16_sdwa s[10:11], s33, v4 src0_sel:BYTE_0 src1_sel:DWORD
	s_and_b64 vcc, exec, s[10:11]
	s_cbranch_vccnz .LBB62_1601
; %bb.1582:
	v_cmp_gt_i16_sdwa s[10:11], s33, v4 src0_sel:BYTE_0 src1_sel:DWORD
	s_and_b64 vcc, exec, s[10:11]
	s_cbranch_vccz .LBB62_1590
; %bb.1583:
	v_cvt_f32_f64_e32 v4, v[2:3]
	v_and_b32_e32 v5, 0x7fffffff, v4
	s_mov_b32 s2, 0x47800000
	v_cmp_gt_u32_e32 vcc, s2, v5
	v_mov_b32_e32 v13, 0x80
	s_and_saveexec_b64 s[4:5], vcc
	s_cbranch_execz .LBB62_1589
; %bb.1584:
	s_mov_b32 s2, 0x37ffffff
	v_cmp_lt_u32_e32 vcc, s2, v5
	s_mov_b64 s[10:11], 0
                                        ; implicit-def: $vgpr5
	s_and_saveexec_b64 s[18:19], vcc
	s_xor_b64 s[18:19], exec, s[18:19]
	s_cbranch_execz .LBB62_1676
; %bb.1585:
	v_bfe_u32 v5, v4, 21, 1
	s_mov_b32 s2, 0x88fffff
	v_add3_u32 v5, v4, v5, s2
	s_mov_b64 s[10:11], exec
	v_lshrrev_b32_e32 v5, 21, v5
	s_or_saveexec_b64 s[18:19], s[18:19]
                                        ; implicit-def: $sgpr2
	s_xor_b64 exec, exec, s[18:19]
	s_cbranch_execnz .LBB62_1677
.LBB62_1586:
	s_or_b64 exec, exec, s[18:19]
	v_mov_b32_e32 v13, s2
	s_and_saveexec_b64 s[18:19], s[10:11]
.LBB62_1587:
	v_lshrrev_b32_e32 v4, 24, v4
	s_movk_i32 s2, 0x80
	v_and_or_b32 v13, v4, s2, v5
.LBB62_1588:
	s_or_b64 exec, exec, s[18:19]
.LBB62_1589:
	s_or_b64 exec, exec, s[4:5]
	s_mov_b64 s[4:5], 0
	global_store_byte v[8:9], v13, off
.LBB62_1590:
	s_and_b64 vcc, exec, s[4:5]
	s_cbranch_vccz .LBB62_1600
; %bb.1591:
	v_cvt_f32_f64_e32 v4, v[2:3]
	v_and_b32_e32 v13, 0x7fffffff, v4
	s_mov_b32 s2, 0x43f00000
	v_cmp_gt_u32_e32 vcc, s2, v13
                                        ; implicit-def: $vgpr5
	s_and_saveexec_b64 s[4:5], vcc
	s_xor_b64 s[4:5], exec, s[4:5]
	s_cbranch_execz .LBB62_1597
; %bb.1592:
	s_mov_b32 s2, 0x3c7fffff
	v_cmp_lt_u32_e32 vcc, s2, v13
                                        ; implicit-def: $vgpr5
	s_and_saveexec_b64 s[10:11], vcc
	s_xor_b64 s[10:11], exec, s[10:11]
; %bb.1593:
	v_bfe_u32 v5, v4, 20, 1
	s_mov_b32 s2, 0x407ffff
	v_add3_u32 v5, v4, v5, s2
	v_lshrrev_b32_e32 v13, 20, v5
	v_and_b32_e32 v5, 0xff00000, v5
	s_mov_b32 s2, 0x7f00000
	v_mov_b32_e32 v14, 0x7e
	v_cmp_ne_u32_e32 vcc, s2, v5
	v_cndmask_b32_e32 v5, v14, v13, vcc
; %bb.1594:
	s_andn2_saveexec_b64 s[10:11], s[10:11]
; %bb.1595:
	s_mov_b32 s2, 0x46800000
	v_add_f32_e64 v5, |v4|, s2
; %bb.1596:
	s_or_b64 exec, exec, s[10:11]
                                        ; implicit-def: $vgpr13
.LBB62_1597:
	s_andn2_saveexec_b64 s[4:5], s[4:5]
; %bb.1598:
	s_mov_b32 s2, 0x7f800000
	v_mov_b32_e32 v5, 0x7e
	v_mov_b32_e32 v14, 0x7f
	v_cmp_lt_u32_e32 vcc, s2, v13
	v_cndmask_b32_e32 v5, v5, v14, vcc
; %bb.1599:
	s_or_b64 exec, exec, s[4:5]
	v_lshrrev_b32_e32 v4, 24, v4
	s_movk_i32 s2, 0x80
	v_and_or_b32 v4, v4, s2, v5
	global_store_byte v[8:9], v4, off
.LBB62_1600:
	s_mov_b64 s[4:5], 0
.LBB62_1601:
	s_andn2_b64 vcc, exec, s[4:5]
	s_cbranch_vccnz .LBB62_1611
; %bb.1602:
	v_cvt_f32_f64_e32 v4, v[2:3]
	v_and_b32_e32 v13, 0x7fffffff, v4
	s_mov_b32 s2, 0x47800000
	v_cmp_gt_u32_e32 vcc, s2, v13
                                        ; implicit-def: $vgpr5
	s_and_saveexec_b64 s[4:5], vcc
	s_xor_b64 s[4:5], exec, s[4:5]
	s_cbranch_execz .LBB62_1608
; %bb.1603:
	s_mov_b32 s2, 0x387fffff
	v_cmp_lt_u32_e32 vcc, s2, v13
                                        ; implicit-def: $vgpr5
	s_and_saveexec_b64 s[10:11], vcc
	s_xor_b64 s[10:11], exec, s[10:11]
; %bb.1604:
	v_bfe_u32 v5, v4, 21, 1
	s_mov_b32 s2, 0x80fffff
	v_add3_u32 v5, v4, v5, s2
	v_lshrrev_b32_e32 v5, 21, v5
; %bb.1605:
	s_andn2_saveexec_b64 s[10:11], s[10:11]
; %bb.1606:
	s_mov_b32 s2, 0x43000000
	v_add_f32_e64 v5, |v4|, s2
; %bb.1607:
	s_or_b64 exec, exec, s[10:11]
                                        ; implicit-def: $vgpr13
.LBB62_1608:
	s_andn2_saveexec_b64 s[4:5], s[4:5]
; %bb.1609:
	s_mov_b32 s2, 0x7f800000
	v_mov_b32_e32 v5, 0x7c
	v_mov_b32_e32 v14, 0x7f
	v_cmp_lt_u32_e32 vcc, s2, v13
	v_cndmask_b32_e32 v5, v5, v14, vcc
; %bb.1610:
	s_or_b64 exec, exec, s[4:5]
	v_lshrrev_b32_e32 v4, 24, v4
	s_movk_i32 s2, 0x80
	v_and_or_b32 v4, v4, s2, v5
	global_store_byte v[8:9], v4, off
.LBB62_1611:
	s_mov_b64 s[4:5], 0
	s_mov_b64 s[10:11], -1
.LBB62_1612:
	s_andn2_b64 vcc, exec, s[4:5]
	s_mov_b64 s[4:5], 0
	s_cbranch_vccnz .LBB62_1619
; %bb.1613:
	v_mov_b32_e32 v4, 14
	v_cmp_gt_i16_sdwa s[4:5], s33, v4 src0_sel:BYTE_0 src1_sel:DWORD
	s_mov_b64 s[18:19], -1
	s_and_b64 vcc, exec, s[4:5]
	s_cbranch_vccz .LBB62_1617
; %bb.1614:
	v_mov_b32_e32 v4, 15
	v_cmp_eq_u16_sdwa s[4:5], s33, v4 src0_sel:BYTE_0 src1_sel:DWORD
	s_mov_b64 s[0:1], -1
	s_and_b64 vcc, exec, s[4:5]
	s_cbranch_vccz .LBB62_1616
; %bb.1615:
	v_cvt_f32_f64_e32 v4, v[2:3]
	v_bfe_u32 v5, v4, 16, 1
	s_movk_i32 s0, 0x7fff
	v_add3_u32 v5, v4, v5, s0
	v_lshrrev_b32_e32 v5, 16, v5
	v_mov_b32_e32 v13, 0x7fc0
	v_cmp_o_f32_e32 vcc, v4, v4
	v_cndmask_b32_e32 v4, v13, v5, vcc
	global_store_short v[8:9], v4, off
	s_mov_b64 s[0:1], 0
	s_mov_b64 s[10:11], -1
.LBB62_1616:
	s_mov_b64 s[18:19], 0
.LBB62_1617:
	s_mov_b64 s[4:5], 0
	s_and_b64 vcc, exec, s[18:19]
	s_cbranch_vccz .LBB62_1619
; %bb.1618:
	v_mov_b32_e32 v4, 11
	v_cmp_ne_u16_sdwa s[0:1], s33, v4 src0_sel:BYTE_0 src1_sel:DWORD
	s_mov_b64 s[4:5], -1
.LBB62_1619:
	s_and_b64 vcc, exec, s[0:1]
	s_cbranch_vccnz .LBB62_1675
; %bb.1620:
	s_andn2_b64 vcc, exec, s[4:5]
	s_cbranch_vccnz .LBB62_1622
.LBB62_1621:
	v_cmp_neq_f64_e32 vcc, 0, v[2:3]
	v_cndmask_b32_e64 v4, 0, 1, vcc
	s_mov_b64 s[10:11], -1
	global_store_byte v[8:9], v4, off
.LBB62_1622:
	s_mov_b64 s[0:1], 0
.LBB62_1623:
	s_and_b64 vcc, exec, s[0:1]
	s_cbranch_vccz .LBB62_1662
; %bb.1624:
	v_mov_b32_e32 v4, 5
	v_cmp_lt_i16_sdwa s[4:5], s33, v4 src0_sel:BYTE_0 src1_sel:DWORD
	s_mov_b64 s[0:1], -1
	s_and_b64 vcc, exec, s[4:5]
	s_cbranch_vccnz .LBB62_1645
; %bb.1625:
	v_mov_b32_e32 v4, 8
	v_cmp_lt_i16_sdwa s[4:5], s33, v4 src0_sel:BYTE_0 src1_sel:DWORD
	s_and_b64 vcc, exec, s[4:5]
	s_cbranch_vccnz .LBB62_1635
; %bb.1626:
	v_mov_b32_e32 v4, 9
	v_cmp_lt_i16_sdwa s[4:5], s33, v4 src0_sel:BYTE_0 src1_sel:DWORD
	s_and_b64 vcc, exec, s[4:5]
	s_cbranch_vccnz .LBB62_1632
; %bb.1627:
	v_cmp_gt_i16_sdwa s[4:5], s33, v4 src0_sel:BYTE_0 src1_sel:DWORD
	s_and_b64 vcc, exec, s[4:5]
	s_cbranch_vccz .LBB62_1629
; %bb.1628:
	v_mov_b32_e32 v4, 0
	v_mov_b32_e32 v5, v4
	global_store_dwordx4 v[8:9], v[2:5], off
	s_mov_b64 s[0:1], 0
.LBB62_1629:
	s_andn2_b64 vcc, exec, s[0:1]
	s_cbranch_vccnz .LBB62_1631
; %bb.1630:
	v_cvt_f32_f64_e32 v4, v[2:3]
	v_mov_b32_e32 v5, 0
	global_store_dwordx2 v[8:9], v[4:5], off
.LBB62_1631:
	s_mov_b64 s[0:1], 0
.LBB62_1632:
	s_andn2_b64 vcc, exec, s[0:1]
	s_cbranch_vccnz .LBB62_1634
; %bb.1633:
	v_cvt_f32_f64_e32 v4, v[2:3]
	v_cvt_f16_f32_e32 v4, v4
	global_store_dword v[8:9], v4, off
.LBB62_1634:
	s_mov_b64 s[0:1], 0
.LBB62_1635:
	s_andn2_b64 vcc, exec, s[0:1]
	s_cbranch_vccnz .LBB62_1644
; %bb.1636:
	v_mov_b32_e32 v4, 6
	v_cmp_lt_i16_sdwa s[4:5], s33, v4 src0_sel:BYTE_0 src1_sel:DWORD
	s_mov_b64 s[0:1], -1
	s_and_b64 vcc, exec, s[4:5]
	s_cbranch_vccnz .LBB62_1642
; %bb.1637:
	v_cmp_gt_i16_sdwa s[4:5], s33, v4 src0_sel:BYTE_0 src1_sel:DWORD
	s_and_b64 vcc, exec, s[4:5]
	s_cbranch_vccz .LBB62_1639
; %bb.1638:
	global_store_dwordx2 v[8:9], v[2:3], off
	s_mov_b64 s[0:1], 0
.LBB62_1639:
	s_andn2_b64 vcc, exec, s[0:1]
	s_cbranch_vccnz .LBB62_1641
; %bb.1640:
	v_cvt_f32_f64_e32 v4, v[2:3]
	global_store_dword v[8:9], v4, off
.LBB62_1641:
	s_mov_b64 s[0:1], 0
.LBB62_1642:
	s_andn2_b64 vcc, exec, s[0:1]
	s_cbranch_vccnz .LBB62_1644
; %bb.1643:
	v_cvt_f32_f64_e32 v4, v[2:3]
	v_cvt_f16_f32_e32 v4, v4
	global_store_short v[8:9], v4, off
.LBB62_1644:
	s_mov_b64 s[0:1], 0
.LBB62_1645:
	s_andn2_b64 vcc, exec, s[0:1]
	s_cbranch_vccnz .LBB62_1661
; %bb.1646:
	v_mov_b32_e32 v4, 2
	v_cmp_lt_i16_sdwa s[4:5], s33, v4 src0_sel:BYTE_0 src1_sel:DWORD
	s_mov_b64 s[0:1], -1
	s_and_b64 vcc, exec, s[4:5]
	s_cbranch_vccnz .LBB62_1656
; %bb.1647:
	v_mov_b32_e32 v4, 3
	v_cmp_lt_i16_sdwa s[4:5], s33, v4 src0_sel:BYTE_0 src1_sel:DWORD
	s_and_b64 vcc, exec, s[4:5]
	s_cbranch_vccnz .LBB62_1653
; %bb.1648:
	v_cmp_gt_i16_sdwa s[4:5], s33, v4 src0_sel:BYTE_0 src1_sel:DWORD
	s_and_b64 vcc, exec, s[4:5]
	s_cbranch_vccz .LBB62_1650
; %bb.1649:
	v_trunc_f64_e32 v[4:5], v[2:3]
	s_movk_i32 s0, 0xffe0
	v_ldexp_f64 v[14:15], v[4:5], s0
	v_floor_f64_e32 v[14:15], v[14:15]
	v_fmac_f64_e32 v[4:5], 0xc1f00000, v[14:15]
	v_cvt_i32_f64_e32 v17, v[14:15]
	v_cvt_u32_f64_e32 v16, v[4:5]
	global_store_dwordx2 v[8:9], v[16:17], off
	s_mov_b64 s[0:1], 0
.LBB62_1650:
	s_andn2_b64 vcc, exec, s[0:1]
	s_cbranch_vccnz .LBB62_1652
; %bb.1651:
	v_cvt_i32_f64_e32 v4, v[2:3]
	global_store_dword v[8:9], v4, off
.LBB62_1652:
	s_mov_b64 s[0:1], 0
.LBB62_1653:
	s_andn2_b64 vcc, exec, s[0:1]
	s_cbranch_vccnz .LBB62_1655
; %bb.1654:
	v_cvt_i32_f64_e32 v4, v[2:3]
	global_store_short v[8:9], v4, off
.LBB62_1655:
	s_mov_b64 s[0:1], 0
.LBB62_1656:
	s_andn2_b64 vcc, exec, s[0:1]
	s_cbranch_vccnz .LBB62_1661
; %bb.1657:
	v_mov_b32_e32 v4, 0
	v_cmp_gt_i16_sdwa s[4:5], s33, v4 src0_sel:BYTE_0 src1_sel:DWORD
	s_mov_b64 s[0:1], -1
	s_and_b64 vcc, exec, s[4:5]
	s_cbranch_vccz .LBB62_1659
; %bb.1658:
	v_cvt_i32_f64_e32 v4, v[2:3]
	global_store_byte v[8:9], v4, off
	s_mov_b64 s[0:1], 0
.LBB62_1659:
	s_andn2_b64 vcc, exec, s[0:1]
	s_cbranch_vccnz .LBB62_1661
; %bb.1660:
	v_trunc_f64_e32 v[2:3], v[2:3]
	s_movk_i32 s0, 0xffe0
	v_ldexp_f64 v[4:5], v[2:3], s0
	v_floor_f64_e32 v[4:5], v[4:5]
	v_fmac_f64_e32 v[2:3], 0xc1f00000, v[4:5]
	v_cvt_u32_f64_e32 v2, v[2:3]
	global_store_byte v[8:9], v2, off
.LBB62_1661:
	s_mov_b64 s[10:11], -1
.LBB62_1662:
	s_andn2_b64 vcc, exec, s[10:11]
	s_cbranch_vccnz .LBB62_1993
; %bb.1663:
	s_lshl_b32 s2, s12, 7
	s_brev_b32 s0, -2
	v_mov_b32_e32 v2, s3
	v_add_u32_e32 v4, s2, v12
	v_bfi_b32 v7, s0, v7, v2
	v_ashrrev_i32_e32 v3, 31, v4
	v_mov_b32_e32 v5, s9
	v_add_co_u32_e32 v2, vcc, s8, v4
	v_addc_co_u32_e32 v3, vcc, v5, v3, vcc
	v_mov_b32_e32 v5, 11
	v_cmp_lt_i16_sdwa s[0:1], s33, v5 src0_sel:BYTE_0 src1_sel:DWORD
	s_and_b64 vcc, exec, s[0:1]
	s_cbranch_vccnz .LBB62_1670
; %bb.1664:
	v_mov_b32_e32 v5, 25
	v_cmp_gt_i16_sdwa s[0:1], s33, v5 src0_sel:BYTE_0 src1_sel:DWORD
	s_mov_b64 s[12:13], -1
	s_mov_b64 s[4:5], 0
	s_and_b64 vcc, exec, s[0:1]
	s_mov_b64 s[10:11], 0
	s_mov_b64 s[0:1], 0
	s_cbranch_vccz .LBB62_1706
; %bb.1665:
	v_mov_b32_e32 v5, 28
	v_cmp_gt_i16_sdwa s[0:1], s33, v5 src0_sel:BYTE_0 src1_sel:DWORD
	s_and_b64 vcc, exec, s[0:1]
	s_cbranch_vccz .LBB62_1671
; %bb.1666:
	v_mov_b32_e32 v5, 43
	v_cmp_gt_i16_sdwa s[0:1], s33, v5 src0_sel:BYTE_0 src1_sel:DWORD
	s_and_b64 vcc, exec, s[0:1]
	;; [unrolled: 5-line block ×3, first 2 shown]
	s_cbranch_vccz .LBB62_1678
; %bb.1668:
	v_mov_b32_e32 v5, 46
	v_cmp_eq_u16_sdwa s[10:11], s33, v5 src0_sel:BYTE_0 src1_sel:DWORD
	s_mov_b64 s[0:1], -1
	s_mov_b64 s[12:13], 0
	s_and_b64 vcc, exec, s[10:11]
	s_mov_b64 s[10:11], 0
	s_cbranch_vccz .LBB62_1679
; %bb.1669:
	v_cvt_f32_f64_e32 v5, v[6:7]
	v_bfe_u32 v8, v5, 16, 1
	s_movk_i32 s0, 0x7fff
	v_add3_u32 v8, v5, v8, s0
	v_lshrrev_b32_e32 v8, 16, v8
	v_mov_b32_e32 v9, 0x7fc0
	v_cmp_o_f32_e32 vcc, v5, v5
	v_cndmask_b32_e32 v5, v9, v8, vcc
	global_store_dword v[2:3], v5, off
	s_mov_b64 s[0:1], 0
	s_mov_b64 s[10:11], -1
	s_branch .LBB62_1679
.LBB62_1670:
	s_mov_b64 s[0:1], -1
	s_mov_b64 s[10:11], 0
	s_branch .LBB62_1750
.LBB62_1671:
	s_mov_b64 s[0:1], 0
	s_branch .LBB62_1689
.LBB62_1672:
	s_or_saveexec_b64 s[20:21], s[20:21]
                                        ; implicit-def: $sgpr2
	s_xor_b64 exec, exec, s[20:21]
	s_cbranch_execz .LBB62_1573
.LBB62_1673:
	s_mov_b32 s2, 0x46000000
	v_add_f32_e64 v5, |v4|, s2
	v_and_b32_e32 v5, 0xff, v5
	v_cmp_ne_u32_e32 vcc, 0, v5
	s_andn2_b64 s[18:19], s[18:19], exec
	s_and_b64 s[22:23], vcc, exec
	s_mov_b32 s2, 0
	s_or_b64 s[18:19], s[18:19], s[22:23]
	s_or_b64 exec, exec, s[20:21]
	v_mov_b32_e32 v13, s2
	s_and_saveexec_b64 s[20:21], s[18:19]
	s_cbranch_execnz .LBB62_1574
	s_branch .LBB62_1575
.LBB62_1674:
	s_mov_b64 s[0:1], 0
	s_branch .LBB62_1685
.LBB62_1675:
	s_trap 2
	s_or_b64 s[16:17], s[16:17], exec
	s_cbranch_execz .LBB62_1621
	s_branch .LBB62_1622
.LBB62_1676:
	s_or_saveexec_b64 s[18:19], s[18:19]
                                        ; implicit-def: $sgpr2
	s_xor_b64 exec, exec, s[18:19]
	s_cbranch_execz .LBB62_1586
.LBB62_1677:
	s_mov_b32 s2, 0x42800000
	v_add_f32_e64 v5, |v4|, s2
	v_and_b32_e32 v5, 0xff, v5
	v_cmp_ne_u32_e32 vcc, 0, v5
	s_andn2_b64 s[10:11], s[10:11], exec
	s_and_b64 s[20:21], vcc, exec
	s_mov_b32 s2, 0
	s_or_b64 s[10:11], s[10:11], s[20:21]
	s_or_b64 exec, exec, s[18:19]
	v_mov_b32_e32 v13, s2
	s_and_saveexec_b64 s[18:19], s[10:11]
	s_cbranch_execnz .LBB62_1587
	s_branch .LBB62_1588
.LBB62_1678:
	s_mov_b64 s[0:1], 0
.LBB62_1679:
	s_and_b64 vcc, exec, s[12:13]
	s_cbranch_vccz .LBB62_1684
; %bb.1680:
	v_mov_b32_e32 v5, 44
	v_cmp_eq_u16_sdwa s[12:13], s33, v5 src0_sel:BYTE_0 src1_sel:DWORD
	s_mov_b64 s[0:1], -1
	s_and_b64 vcc, exec, s[12:13]
	s_cbranch_vccz .LBB62_1684
; %bb.1681:
	v_cvt_f32_f64_e32 v5, v[6:7]
	v_bfe_u32 v8, v5, 23, 8
	s_movk_i32 s0, 0xff
	v_cmp_ne_u32_e32 vcc, s0, v8
	v_mov_b32_e32 v9, 0xff
	s_and_saveexec_b64 s[10:11], vcc
; %bb.1682:
	s_mov_b32 s0, 0x3fffff
	v_lshrrev_b32_e32 v9, 23, v5
	v_and_b32_e32 v12, 0x400000, v5
	v_and_or_b32 v5, v5, s0, v8
	v_cmp_ne_u32_e32 vcc, 0, v12
	v_cmp_ne_u32_e64 s[0:1], 0, v5
	s_and_b64 s[0:1], vcc, s[0:1]
	v_cndmask_b32_e64 v5, 0, 1, s[0:1]
	v_add_u32_e32 v9, v9, v5
; %bb.1683:
	s_or_b64 exec, exec, s[10:11]
	s_mov_b64 s[0:1], 0
	s_mov_b64 s[10:11], -1
	global_store_byte v[2:3], v9, off
.LBB62_1684:
	s_mov_b64 s[12:13], 0
.LBB62_1685:
	s_and_b64 vcc, exec, s[12:13]
	s_cbranch_vccz .LBB62_1688
; %bb.1686:
	v_mov_b32_e32 v5, 29
	v_cmp_eq_u16_sdwa s[12:13], s33, v5 src0_sel:BYTE_0 src1_sel:DWORD
	s_mov_b64 s[0:1], -1
	s_and_b64 vcc, exec, s[12:13]
	s_cbranch_vccz .LBB62_1688
; %bb.1687:
	v_trunc_f64_e32 v[8:9], v[6:7]
	s_movk_i32 s0, 0xffe0
	v_ldexp_f64 v[12:13], v[8:9], s0
	v_floor_f64_e32 v[12:13], v[12:13]
	v_fmac_f64_e32 v[8:9], 0xc1f00000, v[12:13]
	v_cvt_u32_f64_e32 v15, v[12:13]
	v_cvt_u32_f64_e32 v14, v[8:9]
	global_store_dwordx2 v[2:3], v[14:15], off
	s_mov_b64 s[0:1], 0
	s_mov_b64 s[10:11], -1
.LBB62_1688:
	s_mov_b64 s[12:13], 0
.LBB62_1689:
	s_and_b64 vcc, exec, s[12:13]
	s_cbranch_vccz .LBB62_1705
; %bb.1690:
	v_mov_b32_e32 v5, 27
	v_cmp_lt_i16_sdwa s[12:13], s33, v5 src0_sel:BYTE_0 src1_sel:DWORD
	s_mov_b64 s[10:11], -1
	s_and_b64 vcc, exec, s[12:13]
	s_cbranch_vccnz .LBB62_1696
; %bb.1691:
	v_cmp_gt_i16_sdwa s[12:13], s33, v5 src0_sel:BYTE_0 src1_sel:DWORD
	s_and_b64 vcc, exec, s[12:13]
	v_cvt_u32_f64_e32 v5, v[6:7]
	s_cbranch_vccz .LBB62_1693
; %bb.1692:
	s_mov_b64 s[10:11], 0
	global_store_dword v[2:3], v5, off
.LBB62_1693:
	s_andn2_b64 vcc, exec, s[10:11]
	s_cbranch_vccnz .LBB62_1695
; %bb.1694:
	global_store_short v[2:3], v5, off
.LBB62_1695:
	s_mov_b64 s[10:11], 0
.LBB62_1696:
	s_andn2_b64 vcc, exec, s[10:11]
	s_cbranch_vccnz .LBB62_1704
; %bb.1697:
	v_cvt_f32_f64_e32 v5, v[6:7]
	v_and_b32_e32 v8, 0x7fffffff, v5
	s_mov_b32 s10, 0x43800000
	v_cmp_gt_u32_e32 vcc, s10, v8
	v_mov_b32_e32 v9, 0x80
	s_and_saveexec_b64 s[10:11], vcc
	s_cbranch_execz .LBB62_1703
; %bb.1698:
	s_mov_b32 s12, 0x3bffffff
	v_cmp_lt_u32_e32 vcc, s12, v8
	s_mov_b64 s[12:13], 0
                                        ; implicit-def: $vgpr8
	s_and_saveexec_b64 s[18:19], vcc
	s_xor_b64 s[18:19], exec, s[18:19]
	s_cbranch_execz .LBB62_1799
; %bb.1699:
	v_bfe_u32 v8, v5, 20, 1
	s_mov_b32 s20, 0x487ffff
	v_add3_u32 v8, v5, v8, s20
	s_mov_b64 s[12:13], exec
	v_lshrrev_b32_e32 v8, 20, v8
	s_or_saveexec_b64 s[18:19], s[18:19]
                                        ; implicit-def: $sgpr20
	s_xor_b64 exec, exec, s[18:19]
	s_cbranch_execnz .LBB62_1800
.LBB62_1700:
	s_or_b64 exec, exec, s[18:19]
	v_mov_b32_e32 v9, s20
	s_and_saveexec_b64 s[18:19], s[12:13]
.LBB62_1701:
	v_lshrrev_b32_e32 v5, 24, v5
	s_movk_i32 s12, 0x80
	v_and_or_b32 v9, v5, s12, v8
.LBB62_1702:
	s_or_b64 exec, exec, s[18:19]
.LBB62_1703:
	s_or_b64 exec, exec, s[10:11]
	global_store_byte v[2:3], v9, off
.LBB62_1704:
	s_mov_b64 s[10:11], -1
.LBB62_1705:
	s_mov_b64 s[12:13], 0
.LBB62_1706:
	s_and_b64 vcc, exec, s[12:13]
	s_cbranch_vccz .LBB62_1746
; %bb.1707:
	v_mov_b32_e32 v5, 22
	v_cmp_gt_i16_sdwa s[12:13], s33, v5 src0_sel:BYTE_0 src1_sel:DWORD
	s_mov_b64 s[4:5], -1
	s_and_b64 vcc, exec, s[12:13]
	s_cbranch_vccz .LBB62_1739
; %bb.1708:
	v_mov_b32_e32 v5, 24
	v_cmp_lt_i16_sdwa s[10:11], s33, v5 src0_sel:BYTE_0 src1_sel:DWORD
	s_and_b64 vcc, exec, s[10:11]
	s_cbranch_vccnz .LBB62_1728
; %bb.1709:
	v_cmp_gt_i16_sdwa s[10:11], s33, v5 src0_sel:BYTE_0 src1_sel:DWORD
	s_and_b64 vcc, exec, s[10:11]
	s_cbranch_vccz .LBB62_1717
; %bb.1710:
	v_cvt_f32_f64_e32 v5, v[6:7]
	v_and_b32_e32 v8, 0x7fffffff, v5
	s_mov_b32 s4, 0x47800000
	v_cmp_gt_u32_e32 vcc, s4, v8
	v_mov_b32_e32 v9, 0x80
	s_and_saveexec_b64 s[4:5], vcc
	s_cbranch_execz .LBB62_1716
; %bb.1711:
	s_mov_b32 s10, 0x37ffffff
	v_cmp_lt_u32_e32 vcc, s10, v8
	s_mov_b64 s[10:11], 0
                                        ; implicit-def: $vgpr8
	s_and_saveexec_b64 s[12:13], vcc
	s_xor_b64 s[12:13], exec, s[12:13]
	s_cbranch_execz .LBB62_1803
; %bb.1712:
	v_bfe_u32 v8, v5, 21, 1
	s_mov_b32 s18, 0x88fffff
	v_add3_u32 v8, v5, v8, s18
	s_mov_b64 s[10:11], exec
	v_lshrrev_b32_e32 v8, 21, v8
	s_or_saveexec_b64 s[12:13], s[12:13]
                                        ; implicit-def: $sgpr18
	s_xor_b64 exec, exec, s[12:13]
	s_cbranch_execnz .LBB62_1804
.LBB62_1713:
	s_or_b64 exec, exec, s[12:13]
	v_mov_b32_e32 v9, s18
	s_and_saveexec_b64 s[12:13], s[10:11]
.LBB62_1714:
	v_lshrrev_b32_e32 v5, 24, v5
	s_movk_i32 s10, 0x80
	v_and_or_b32 v9, v5, s10, v8
.LBB62_1715:
	s_or_b64 exec, exec, s[12:13]
.LBB62_1716:
	s_or_b64 exec, exec, s[4:5]
	s_mov_b64 s[4:5], 0
	global_store_byte v[2:3], v9, off
.LBB62_1717:
	s_and_b64 vcc, exec, s[4:5]
	s_cbranch_vccz .LBB62_1727
; %bb.1718:
	v_cvt_f32_f64_e32 v5, v[6:7]
	v_and_b32_e32 v9, 0x7fffffff, v5
	s_mov_b32 s4, 0x43f00000
	v_cmp_gt_u32_e32 vcc, s4, v9
                                        ; implicit-def: $vgpr8
	s_and_saveexec_b64 s[4:5], vcc
	s_xor_b64 s[4:5], exec, s[4:5]
	s_cbranch_execz .LBB62_1724
; %bb.1719:
	s_mov_b32 s10, 0x3c7fffff
	v_cmp_lt_u32_e32 vcc, s10, v9
                                        ; implicit-def: $vgpr8
	s_and_saveexec_b64 s[10:11], vcc
	s_xor_b64 s[10:11], exec, s[10:11]
; %bb.1720:
	v_bfe_u32 v8, v5, 20, 1
	s_mov_b32 s12, 0x407ffff
	v_add3_u32 v8, v5, v8, s12
	v_lshrrev_b32_e32 v9, 20, v8
	v_and_b32_e32 v8, 0xff00000, v8
	s_mov_b32 s12, 0x7f00000
	v_mov_b32_e32 v12, 0x7e
	v_cmp_ne_u32_e32 vcc, s12, v8
	v_cndmask_b32_e32 v8, v12, v9, vcc
; %bb.1721:
	s_andn2_saveexec_b64 s[10:11], s[10:11]
; %bb.1722:
	s_mov_b32 s12, 0x46800000
	v_add_f32_e64 v8, |v5|, s12
; %bb.1723:
	s_or_b64 exec, exec, s[10:11]
                                        ; implicit-def: $vgpr9
.LBB62_1724:
	s_andn2_saveexec_b64 s[4:5], s[4:5]
; %bb.1725:
	s_mov_b32 s10, 0x7f800000
	v_mov_b32_e32 v8, 0x7e
	v_mov_b32_e32 v12, 0x7f
	v_cmp_lt_u32_e32 vcc, s10, v9
	v_cndmask_b32_e32 v8, v8, v12, vcc
; %bb.1726:
	s_or_b64 exec, exec, s[4:5]
	v_lshrrev_b32_e32 v5, 24, v5
	s_movk_i32 s4, 0x80
	v_and_or_b32 v5, v5, s4, v8
	global_store_byte v[2:3], v5, off
.LBB62_1727:
	s_mov_b64 s[4:5], 0
.LBB62_1728:
	s_andn2_b64 vcc, exec, s[4:5]
	s_cbranch_vccnz .LBB62_1738
; %bb.1729:
	v_cvt_f32_f64_e32 v5, v[6:7]
	v_and_b32_e32 v9, 0x7fffffff, v5
	s_mov_b32 s4, 0x47800000
	v_cmp_gt_u32_e32 vcc, s4, v9
                                        ; implicit-def: $vgpr8
	s_and_saveexec_b64 s[4:5], vcc
	s_xor_b64 s[4:5], exec, s[4:5]
	s_cbranch_execz .LBB62_1735
; %bb.1730:
	s_mov_b32 s10, 0x387fffff
	v_cmp_lt_u32_e32 vcc, s10, v9
                                        ; implicit-def: $vgpr8
	s_and_saveexec_b64 s[10:11], vcc
	s_xor_b64 s[10:11], exec, s[10:11]
; %bb.1731:
	v_bfe_u32 v8, v5, 21, 1
	s_mov_b32 s12, 0x80fffff
	v_add3_u32 v8, v5, v8, s12
	v_lshrrev_b32_e32 v8, 21, v8
; %bb.1732:
	s_andn2_saveexec_b64 s[10:11], s[10:11]
; %bb.1733:
	s_mov_b32 s12, 0x43000000
	v_add_f32_e64 v8, |v5|, s12
; %bb.1734:
	s_or_b64 exec, exec, s[10:11]
                                        ; implicit-def: $vgpr9
.LBB62_1735:
	s_andn2_saveexec_b64 s[4:5], s[4:5]
; %bb.1736:
	s_mov_b32 s10, 0x7f800000
	v_mov_b32_e32 v8, 0x7c
	v_mov_b32_e32 v12, 0x7f
	v_cmp_lt_u32_e32 vcc, s10, v9
	v_cndmask_b32_e32 v8, v8, v12, vcc
; %bb.1737:
	s_or_b64 exec, exec, s[4:5]
	v_lshrrev_b32_e32 v5, 24, v5
	s_movk_i32 s4, 0x80
	v_and_or_b32 v5, v5, s4, v8
	global_store_byte v[2:3], v5, off
.LBB62_1738:
	s_mov_b64 s[4:5], 0
	s_mov_b64 s[10:11], -1
.LBB62_1739:
	s_andn2_b64 vcc, exec, s[4:5]
	s_mov_b64 s[4:5], 0
	s_cbranch_vccnz .LBB62_1746
; %bb.1740:
	v_mov_b32_e32 v5, 14
	v_cmp_gt_i16_sdwa s[4:5], s33, v5 src0_sel:BYTE_0 src1_sel:DWORD
	s_mov_b64 s[12:13], -1
	s_and_b64 vcc, exec, s[4:5]
	s_cbranch_vccz .LBB62_1744
; %bb.1741:
	v_mov_b32_e32 v5, 15
	v_cmp_eq_u16_sdwa s[4:5], s33, v5 src0_sel:BYTE_0 src1_sel:DWORD
	s_mov_b64 s[0:1], -1
	s_and_b64 vcc, exec, s[4:5]
	s_cbranch_vccz .LBB62_1743
; %bb.1742:
	v_cvt_f32_f64_e32 v5, v[6:7]
	v_bfe_u32 v8, v5, 16, 1
	s_movk_i32 s0, 0x7fff
	v_add3_u32 v8, v5, v8, s0
	v_lshrrev_b32_e32 v8, 16, v8
	v_mov_b32_e32 v9, 0x7fc0
	v_cmp_o_f32_e32 vcc, v5, v5
	v_cndmask_b32_e32 v5, v9, v8, vcc
	global_store_short v[2:3], v5, off
	s_mov_b64 s[0:1], 0
	s_mov_b64 s[10:11], -1
.LBB62_1743:
	s_mov_b64 s[12:13], 0
.LBB62_1744:
	s_mov_b64 s[4:5], 0
	s_and_b64 vcc, exec, s[12:13]
	s_cbranch_vccz .LBB62_1746
; %bb.1745:
	v_mov_b32_e32 v5, 11
	v_cmp_ne_u16_sdwa s[0:1], s33, v5 src0_sel:BYTE_0 src1_sel:DWORD
	s_mov_b64 s[4:5], -1
.LBB62_1746:
	s_and_b64 vcc, exec, s[0:1]
	s_cbranch_vccnz .LBB62_1802
; %bb.1747:
	s_andn2_b64 vcc, exec, s[4:5]
	s_cbranch_vccnz .LBB62_1749
.LBB62_1748:
	v_cmp_neq_f64_e32 vcc, 0, v[6:7]
	v_cndmask_b32_e64 v5, 0, 1, vcc
	s_mov_b64 s[10:11], -1
	global_store_byte v[2:3], v5, off
.LBB62_1749:
	s_mov_b64 s[0:1], 0
.LBB62_1750:
	s_and_b64 vcc, exec, s[0:1]
	s_cbranch_vccz .LBB62_1789
; %bb.1751:
	v_mov_b32_e32 v5, 5
	v_cmp_lt_i16_sdwa s[4:5], s33, v5 src0_sel:BYTE_0 src1_sel:DWORD
	s_mov_b64 s[0:1], -1
	s_and_b64 vcc, exec, s[4:5]
	s_cbranch_vccnz .LBB62_1772
; %bb.1752:
	v_mov_b32_e32 v5, 8
	v_cmp_lt_i16_sdwa s[4:5], s33, v5 src0_sel:BYTE_0 src1_sel:DWORD
	s_and_b64 vcc, exec, s[4:5]
	s_cbranch_vccnz .LBB62_1762
; %bb.1753:
	v_mov_b32_e32 v5, 9
	v_cmp_lt_i16_sdwa s[4:5], s33, v5 src0_sel:BYTE_0 src1_sel:DWORD
	s_and_b64 vcc, exec, s[4:5]
	s_cbranch_vccnz .LBB62_1759
; %bb.1754:
	v_cmp_gt_i16_sdwa s[4:5], s33, v5 src0_sel:BYTE_0 src1_sel:DWORD
	s_and_b64 vcc, exec, s[4:5]
	s_cbranch_vccz .LBB62_1756
; %bb.1755:
	v_mov_b32_e32 v8, 0
	v_mov_b32_e32 v9, v8
	global_store_dwordx4 v[2:3], v[6:9], off
	s_mov_b64 s[0:1], 0
.LBB62_1756:
	s_andn2_b64 vcc, exec, s[0:1]
	s_cbranch_vccnz .LBB62_1758
; %bb.1757:
	v_cvt_f32_f64_e32 v8, v[6:7]
	v_mov_b32_e32 v9, 0
	global_store_dwordx2 v[2:3], v[8:9], off
.LBB62_1758:
	s_mov_b64 s[0:1], 0
.LBB62_1759:
	s_andn2_b64 vcc, exec, s[0:1]
	s_cbranch_vccnz .LBB62_1761
; %bb.1760:
	v_cvt_f32_f64_e32 v5, v[6:7]
	v_cvt_f16_f32_e32 v5, v5
	global_store_dword v[2:3], v5, off
.LBB62_1761:
	s_mov_b64 s[0:1], 0
.LBB62_1762:
	s_andn2_b64 vcc, exec, s[0:1]
	s_cbranch_vccnz .LBB62_1771
; %bb.1763:
	v_mov_b32_e32 v5, 6
	v_cmp_lt_i16_sdwa s[4:5], s33, v5 src0_sel:BYTE_0 src1_sel:DWORD
	s_mov_b64 s[0:1], -1
	s_and_b64 vcc, exec, s[4:5]
	s_cbranch_vccnz .LBB62_1769
; %bb.1764:
	v_cmp_gt_i16_sdwa s[4:5], s33, v5 src0_sel:BYTE_0 src1_sel:DWORD
	s_and_b64 vcc, exec, s[4:5]
	s_cbranch_vccz .LBB62_1766
; %bb.1765:
	global_store_dwordx2 v[2:3], v[6:7], off
	s_mov_b64 s[0:1], 0
.LBB62_1766:
	s_andn2_b64 vcc, exec, s[0:1]
	s_cbranch_vccnz .LBB62_1768
; %bb.1767:
	v_cvt_f32_f64_e32 v5, v[6:7]
	global_store_dword v[2:3], v5, off
.LBB62_1768:
	s_mov_b64 s[0:1], 0
.LBB62_1769:
	s_andn2_b64 vcc, exec, s[0:1]
	s_cbranch_vccnz .LBB62_1771
; %bb.1770:
	v_cvt_f32_f64_e32 v5, v[6:7]
	v_cvt_f16_f32_e32 v5, v5
	global_store_short v[2:3], v5, off
.LBB62_1771:
	s_mov_b64 s[0:1], 0
.LBB62_1772:
	s_andn2_b64 vcc, exec, s[0:1]
	s_cbranch_vccnz .LBB62_1788
; %bb.1773:
	v_mov_b32_e32 v5, 2
	v_cmp_lt_i16_sdwa s[4:5], s33, v5 src0_sel:BYTE_0 src1_sel:DWORD
	s_mov_b64 s[0:1], -1
	s_and_b64 vcc, exec, s[4:5]
	s_cbranch_vccnz .LBB62_1783
; %bb.1774:
	v_mov_b32_e32 v5, 3
	v_cmp_lt_i16_sdwa s[4:5], s33, v5 src0_sel:BYTE_0 src1_sel:DWORD
	s_and_b64 vcc, exec, s[4:5]
	s_cbranch_vccnz .LBB62_1780
; %bb.1775:
	v_cmp_gt_i16_sdwa s[4:5], s33, v5 src0_sel:BYTE_0 src1_sel:DWORD
	s_and_b64 vcc, exec, s[4:5]
	s_cbranch_vccz .LBB62_1777
; %bb.1776:
	v_trunc_f64_e32 v[8:9], v[6:7]
	s_movk_i32 s0, 0xffe0
	v_ldexp_f64 v[12:13], v[8:9], s0
	v_floor_f64_e32 v[12:13], v[12:13]
	v_fmac_f64_e32 v[8:9], 0xc1f00000, v[12:13]
	v_cvt_i32_f64_e32 v15, v[12:13]
	v_cvt_u32_f64_e32 v14, v[8:9]
	global_store_dwordx2 v[2:3], v[14:15], off
	s_mov_b64 s[0:1], 0
.LBB62_1777:
	s_andn2_b64 vcc, exec, s[0:1]
	s_cbranch_vccnz .LBB62_1779
; %bb.1778:
	v_cvt_i32_f64_e32 v5, v[6:7]
	global_store_dword v[2:3], v5, off
.LBB62_1779:
	s_mov_b64 s[0:1], 0
.LBB62_1780:
	s_andn2_b64 vcc, exec, s[0:1]
	s_cbranch_vccnz .LBB62_1782
; %bb.1781:
	v_cvt_i32_f64_e32 v5, v[6:7]
	global_store_short v[2:3], v5, off
.LBB62_1782:
	s_mov_b64 s[0:1], 0
.LBB62_1783:
	s_andn2_b64 vcc, exec, s[0:1]
	s_cbranch_vccnz .LBB62_1788
; %bb.1784:
	v_mov_b32_e32 v5, 0
	v_cmp_gt_i16_sdwa s[4:5], s33, v5 src0_sel:BYTE_0 src1_sel:DWORD
	s_mov_b64 s[0:1], -1
	s_and_b64 vcc, exec, s[4:5]
	s_cbranch_vccz .LBB62_1786
; %bb.1785:
	v_cvt_i32_f64_e32 v5, v[6:7]
	global_store_byte v[2:3], v5, off
	s_mov_b64 s[0:1], 0
.LBB62_1786:
	s_andn2_b64 vcc, exec, s[0:1]
	s_cbranch_vccnz .LBB62_1788
; %bb.1787:
	v_trunc_f64_e32 v[6:7], v[6:7]
	s_movk_i32 s0, 0xffe0
	v_ldexp_f64 v[8:9], v[6:7], s0
	v_floor_f64_e32 v[8:9], v[8:9]
	v_fmac_f64_e32 v[6:7], 0xc1f00000, v[8:9]
	v_cvt_u32_f64_e32 v5, v[6:7]
	global_store_byte v[2:3], v5, off
.LBB62_1788:
	s_mov_b64 s[10:11], -1
.LBB62_1789:
	s_andn2_b64 vcc, exec, s[10:11]
	s_cbranch_vccnz .LBB62_1993
; %bb.1790:
	s_brev_b32 s0, -2
	v_mov_b32_e32 v2, s3
	v_add_u32_e32 v4, s2, v4
	v_bfi_b32 v11, s0, v11, v2
	v_ashrrev_i32_e32 v3, 31, v4
	v_mov_b32_e32 v5, s9
	v_add_co_u32_e32 v2, vcc, s8, v4
	v_addc_co_u32_e32 v3, vcc, v5, v3, vcc
	v_mov_b32_e32 v5, 11
	v_cmp_lt_i16_sdwa s[0:1], s33, v5 src0_sel:BYTE_0 src1_sel:DWORD
	s_and_b64 vcc, exec, s[0:1]
	s_cbranch_vccnz .LBB62_1797
; %bb.1791:
	v_mov_b32_e32 v5, 25
	v_cmp_gt_i16_sdwa s[0:1], s33, v5 src0_sel:BYTE_0 src1_sel:DWORD
	s_mov_b64 s[12:13], -1
	s_mov_b64 s[4:5], 0
	s_and_b64 vcc, exec, s[0:1]
	s_mov_b64 s[10:11], 0
	s_mov_b64 s[0:1], 0
	s_cbranch_vccz .LBB62_1833
; %bb.1792:
	v_mov_b32_e32 v5, 28
	v_cmp_gt_i16_sdwa s[0:1], s33, v5 src0_sel:BYTE_0 src1_sel:DWORD
	s_and_b64 vcc, exec, s[0:1]
	s_cbranch_vccz .LBB62_1798
; %bb.1793:
	v_mov_b32_e32 v5, 43
	v_cmp_gt_i16_sdwa s[0:1], s33, v5 src0_sel:BYTE_0 src1_sel:DWORD
	s_and_b64 vcc, exec, s[0:1]
	;; [unrolled: 5-line block ×3, first 2 shown]
	s_cbranch_vccz .LBB62_1805
; %bb.1795:
	v_mov_b32_e32 v5, 46
	v_cmp_eq_u16_sdwa s[10:11], s33, v5 src0_sel:BYTE_0 src1_sel:DWORD
	s_mov_b64 s[0:1], -1
	s_mov_b64 s[12:13], 0
	s_and_b64 vcc, exec, s[10:11]
	s_mov_b64 s[10:11], 0
	s_cbranch_vccz .LBB62_1806
; %bb.1796:
	v_cvt_f32_f64_e32 v5, v[10:11]
	v_bfe_u32 v6, v5, 16, 1
	s_movk_i32 s0, 0x7fff
	v_add3_u32 v6, v5, v6, s0
	v_lshrrev_b32_e32 v6, 16, v6
	v_mov_b32_e32 v7, 0x7fc0
	v_cmp_o_f32_e32 vcc, v5, v5
	v_cndmask_b32_e32 v5, v7, v6, vcc
	global_store_dword v[2:3], v5, off
	s_mov_b64 s[0:1], 0
	s_mov_b64 s[10:11], -1
	s_branch .LBB62_1806
.LBB62_1797:
	s_mov_b64 s[0:1], -1
	s_mov_b64 s[10:11], 0
	s_branch .LBB62_1877
.LBB62_1798:
	s_mov_b64 s[0:1], 0
	s_branch .LBB62_1816
.LBB62_1799:
	s_or_saveexec_b64 s[18:19], s[18:19]
                                        ; implicit-def: $sgpr20
	s_xor_b64 exec, exec, s[18:19]
	s_cbranch_execz .LBB62_1700
.LBB62_1800:
	s_mov_b32 s20, 0x46000000
	v_add_f32_e64 v8, |v5|, s20
	v_and_b32_e32 v8, 0xff, v8
	v_cmp_ne_u32_e32 vcc, 0, v8
	s_andn2_b64 s[12:13], s[12:13], exec
	s_and_b64 s[22:23], vcc, exec
	s_mov_b32 s20, 0
	s_or_b64 s[12:13], s[12:13], s[22:23]
	s_or_b64 exec, exec, s[18:19]
	v_mov_b32_e32 v9, s20
	s_and_saveexec_b64 s[18:19], s[12:13]
	s_cbranch_execnz .LBB62_1701
	s_branch .LBB62_1702
.LBB62_1801:
	s_mov_b64 s[0:1], 0
	s_branch .LBB62_1812
.LBB62_1802:
	s_trap 2
	s_or_b64 s[16:17], s[16:17], exec
	s_cbranch_execz .LBB62_1748
	s_branch .LBB62_1749
.LBB62_1803:
	s_or_saveexec_b64 s[12:13], s[12:13]
                                        ; implicit-def: $sgpr18
	s_xor_b64 exec, exec, s[12:13]
	s_cbranch_execz .LBB62_1713
.LBB62_1804:
	s_mov_b32 s18, 0x42800000
	v_add_f32_e64 v8, |v5|, s18
	v_and_b32_e32 v8, 0xff, v8
	v_cmp_ne_u32_e32 vcc, 0, v8
	s_andn2_b64 s[10:11], s[10:11], exec
	s_and_b64 s[20:21], vcc, exec
	s_mov_b32 s18, 0
	s_or_b64 s[10:11], s[10:11], s[20:21]
	s_or_b64 exec, exec, s[12:13]
	v_mov_b32_e32 v9, s18
	s_and_saveexec_b64 s[12:13], s[10:11]
	s_cbranch_execnz .LBB62_1714
	s_branch .LBB62_1715
.LBB62_1805:
	s_mov_b64 s[0:1], 0
.LBB62_1806:
	s_and_b64 vcc, exec, s[12:13]
	s_cbranch_vccz .LBB62_1811
; %bb.1807:
	v_mov_b32_e32 v5, 44
	v_cmp_eq_u16_sdwa s[12:13], s33, v5 src0_sel:BYTE_0 src1_sel:DWORD
	s_mov_b64 s[0:1], -1
	s_and_b64 vcc, exec, s[12:13]
	s_cbranch_vccz .LBB62_1811
; %bb.1808:
	v_cvt_f32_f64_e32 v5, v[10:11]
	v_bfe_u32 v6, v5, 23, 8
	s_movk_i32 s0, 0xff
	v_cmp_ne_u32_e32 vcc, s0, v6
	v_mov_b32_e32 v7, 0xff
	s_and_saveexec_b64 s[10:11], vcc
; %bb.1809:
	s_mov_b32 s0, 0x3fffff
	v_lshrrev_b32_e32 v7, 23, v5
	v_and_b32_e32 v8, 0x400000, v5
	v_and_or_b32 v5, v5, s0, v6
	v_cmp_ne_u32_e32 vcc, 0, v8
	v_cmp_ne_u32_e64 s[0:1], 0, v5
	s_and_b64 s[0:1], vcc, s[0:1]
	v_cndmask_b32_e64 v5, 0, 1, s[0:1]
	v_add_u32_e32 v7, v7, v5
; %bb.1810:
	s_or_b64 exec, exec, s[10:11]
	s_mov_b64 s[0:1], 0
	s_mov_b64 s[10:11], -1
	global_store_byte v[2:3], v7, off
.LBB62_1811:
	s_mov_b64 s[12:13], 0
.LBB62_1812:
	s_and_b64 vcc, exec, s[12:13]
	s_cbranch_vccz .LBB62_1815
; %bb.1813:
	v_mov_b32_e32 v5, 29
	v_cmp_eq_u16_sdwa s[12:13], s33, v5 src0_sel:BYTE_0 src1_sel:DWORD
	s_mov_b64 s[0:1], -1
	s_and_b64 vcc, exec, s[12:13]
	s_cbranch_vccz .LBB62_1815
; %bb.1814:
	v_trunc_f64_e32 v[6:7], v[10:11]
	s_movk_i32 s0, 0xffe0
	v_ldexp_f64 v[8:9], v[6:7], s0
	v_floor_f64_e32 v[8:9], v[8:9]
	v_fmac_f64_e32 v[6:7], 0xc1f00000, v[8:9]
	v_cvt_u32_f64_e32 v13, v[8:9]
	v_cvt_u32_f64_e32 v12, v[6:7]
	global_store_dwordx2 v[2:3], v[12:13], off
	s_mov_b64 s[0:1], 0
	s_mov_b64 s[10:11], -1
.LBB62_1815:
	s_mov_b64 s[12:13], 0
.LBB62_1816:
	s_and_b64 vcc, exec, s[12:13]
	s_cbranch_vccz .LBB62_1832
; %bb.1817:
	v_mov_b32_e32 v5, 27
	v_cmp_lt_i16_sdwa s[12:13], s33, v5 src0_sel:BYTE_0 src1_sel:DWORD
	s_mov_b64 s[10:11], -1
	s_and_b64 vcc, exec, s[12:13]
	s_cbranch_vccnz .LBB62_1823
; %bb.1818:
	v_cmp_gt_i16_sdwa s[12:13], s33, v5 src0_sel:BYTE_0 src1_sel:DWORD
	s_and_b64 vcc, exec, s[12:13]
	v_cvt_u32_f64_e32 v5, v[10:11]
	s_cbranch_vccz .LBB62_1820
; %bb.1819:
	s_mov_b64 s[10:11], 0
	global_store_dword v[2:3], v5, off
.LBB62_1820:
	s_andn2_b64 vcc, exec, s[10:11]
	s_cbranch_vccnz .LBB62_1822
; %bb.1821:
	global_store_short v[2:3], v5, off
.LBB62_1822:
	s_mov_b64 s[10:11], 0
.LBB62_1823:
	s_andn2_b64 vcc, exec, s[10:11]
	s_cbranch_vccnz .LBB62_1831
; %bb.1824:
	v_cvt_f32_f64_e32 v5, v[10:11]
	v_and_b32_e32 v6, 0x7fffffff, v5
	s_mov_b32 s10, 0x43800000
	v_cmp_gt_u32_e32 vcc, s10, v6
	v_mov_b32_e32 v7, 0x80
	s_and_saveexec_b64 s[10:11], vcc
	s_cbranch_execz .LBB62_1830
; %bb.1825:
	s_mov_b32 s12, 0x3bffffff
	v_cmp_lt_u32_e32 vcc, s12, v6
	s_mov_b64 s[12:13], 0
                                        ; implicit-def: $vgpr6
	s_and_saveexec_b64 s[18:19], vcc
	s_xor_b64 s[18:19], exec, s[18:19]
	s_cbranch_execz .LBB62_2039
; %bb.1826:
	v_bfe_u32 v6, v5, 20, 1
	s_mov_b32 s20, 0x487ffff
	v_add3_u32 v6, v5, v6, s20
	s_mov_b64 s[12:13], exec
	v_lshrrev_b32_e32 v6, 20, v6
	s_or_saveexec_b64 s[18:19], s[18:19]
                                        ; implicit-def: $sgpr20
	s_xor_b64 exec, exec, s[18:19]
	s_cbranch_execnz .LBB62_2040
.LBB62_1827:
	s_or_b64 exec, exec, s[18:19]
	v_mov_b32_e32 v7, s20
	s_and_saveexec_b64 s[18:19], s[12:13]
.LBB62_1828:
	v_lshrrev_b32_e32 v5, 24, v5
	s_movk_i32 s12, 0x80
	v_and_or_b32 v7, v5, s12, v6
.LBB62_1829:
	s_or_b64 exec, exec, s[18:19]
.LBB62_1830:
	s_or_b64 exec, exec, s[10:11]
	global_store_byte v[2:3], v7, off
.LBB62_1831:
	s_mov_b64 s[10:11], -1
.LBB62_1832:
	s_mov_b64 s[12:13], 0
.LBB62_1833:
	s_and_b64 vcc, exec, s[12:13]
	s_cbranch_vccz .LBB62_1873
; %bb.1834:
	v_mov_b32_e32 v5, 22
	v_cmp_gt_i16_sdwa s[12:13], s33, v5 src0_sel:BYTE_0 src1_sel:DWORD
	s_mov_b64 s[4:5], -1
	s_and_b64 vcc, exec, s[12:13]
	s_cbranch_vccz .LBB62_1866
; %bb.1835:
	v_mov_b32_e32 v5, 24
	v_cmp_lt_i16_sdwa s[10:11], s33, v5 src0_sel:BYTE_0 src1_sel:DWORD
	s_and_b64 vcc, exec, s[10:11]
	s_cbranch_vccnz .LBB62_1855
; %bb.1836:
	v_cmp_gt_i16_sdwa s[10:11], s33, v5 src0_sel:BYTE_0 src1_sel:DWORD
	s_and_b64 vcc, exec, s[10:11]
	s_cbranch_vccz .LBB62_1844
; %bb.1837:
	v_cvt_f32_f64_e32 v5, v[10:11]
	v_and_b32_e32 v6, 0x7fffffff, v5
	s_mov_b32 s4, 0x47800000
	v_cmp_gt_u32_e32 vcc, s4, v6
	v_mov_b32_e32 v7, 0x80
	s_and_saveexec_b64 s[4:5], vcc
	s_cbranch_execz .LBB62_1843
; %bb.1838:
	s_mov_b32 s10, 0x37ffffff
	v_cmp_lt_u32_e32 vcc, s10, v6
	s_mov_b64 s[10:11], 0
                                        ; implicit-def: $vgpr6
	s_and_saveexec_b64 s[12:13], vcc
	s_xor_b64 s[12:13], exec, s[12:13]
	s_cbranch_execz .LBB62_2042
; %bb.1839:
	v_bfe_u32 v6, v5, 21, 1
	s_mov_b32 s18, 0x88fffff
	v_add3_u32 v6, v5, v6, s18
	s_mov_b64 s[10:11], exec
	v_lshrrev_b32_e32 v6, 21, v6
	s_or_saveexec_b64 s[12:13], s[12:13]
                                        ; implicit-def: $sgpr18
	s_xor_b64 exec, exec, s[12:13]
	s_cbranch_execnz .LBB62_2043
.LBB62_1840:
	s_or_b64 exec, exec, s[12:13]
	v_mov_b32_e32 v7, s18
	s_and_saveexec_b64 s[12:13], s[10:11]
.LBB62_1841:
	v_lshrrev_b32_e32 v5, 24, v5
	s_movk_i32 s10, 0x80
	v_and_or_b32 v7, v5, s10, v6
.LBB62_1842:
	s_or_b64 exec, exec, s[12:13]
.LBB62_1843:
	s_or_b64 exec, exec, s[4:5]
	s_mov_b64 s[4:5], 0
	global_store_byte v[2:3], v7, off
.LBB62_1844:
	s_and_b64 vcc, exec, s[4:5]
	s_cbranch_vccz .LBB62_1854
; %bb.1845:
	v_cvt_f32_f64_e32 v5, v[10:11]
	v_and_b32_e32 v7, 0x7fffffff, v5
	s_mov_b32 s4, 0x43f00000
	v_cmp_gt_u32_e32 vcc, s4, v7
                                        ; implicit-def: $vgpr6
	s_and_saveexec_b64 s[4:5], vcc
	s_xor_b64 s[4:5], exec, s[4:5]
	s_cbranch_execz .LBB62_1851
; %bb.1846:
	s_mov_b32 s10, 0x3c7fffff
	v_cmp_lt_u32_e32 vcc, s10, v7
                                        ; implicit-def: $vgpr6
	s_and_saveexec_b64 s[10:11], vcc
	s_xor_b64 s[10:11], exec, s[10:11]
; %bb.1847:
	v_bfe_u32 v6, v5, 20, 1
	s_mov_b32 s12, 0x407ffff
	v_add3_u32 v6, v5, v6, s12
	v_lshrrev_b32_e32 v7, 20, v6
	v_and_b32_e32 v6, 0xff00000, v6
	s_mov_b32 s12, 0x7f00000
	v_mov_b32_e32 v8, 0x7e
	v_cmp_ne_u32_e32 vcc, s12, v6
	v_cndmask_b32_e32 v6, v8, v7, vcc
; %bb.1848:
	s_andn2_saveexec_b64 s[10:11], s[10:11]
; %bb.1849:
	s_mov_b32 s12, 0x46800000
	v_add_f32_e64 v6, |v5|, s12
; %bb.1850:
	s_or_b64 exec, exec, s[10:11]
                                        ; implicit-def: $vgpr7
.LBB62_1851:
	s_andn2_saveexec_b64 s[4:5], s[4:5]
; %bb.1852:
	s_mov_b32 s10, 0x7f800000
	v_mov_b32_e32 v6, 0x7e
	v_mov_b32_e32 v8, 0x7f
	v_cmp_lt_u32_e32 vcc, s10, v7
	v_cndmask_b32_e32 v6, v6, v8, vcc
; %bb.1853:
	s_or_b64 exec, exec, s[4:5]
	v_lshrrev_b32_e32 v5, 24, v5
	s_movk_i32 s4, 0x80
	v_and_or_b32 v5, v5, s4, v6
	global_store_byte v[2:3], v5, off
.LBB62_1854:
	s_mov_b64 s[4:5], 0
.LBB62_1855:
	s_andn2_b64 vcc, exec, s[4:5]
	s_cbranch_vccnz .LBB62_1865
; %bb.1856:
	v_cvt_f32_f64_e32 v5, v[10:11]
	v_and_b32_e32 v7, 0x7fffffff, v5
	s_mov_b32 s4, 0x47800000
	v_cmp_gt_u32_e32 vcc, s4, v7
                                        ; implicit-def: $vgpr6
	s_and_saveexec_b64 s[4:5], vcc
	s_xor_b64 s[4:5], exec, s[4:5]
	s_cbranch_execz .LBB62_1862
; %bb.1857:
	s_mov_b32 s10, 0x387fffff
	v_cmp_lt_u32_e32 vcc, s10, v7
                                        ; implicit-def: $vgpr6
	s_and_saveexec_b64 s[10:11], vcc
	s_xor_b64 s[10:11], exec, s[10:11]
; %bb.1858:
	v_bfe_u32 v6, v5, 21, 1
	s_mov_b32 s12, 0x80fffff
	v_add3_u32 v6, v5, v6, s12
	v_lshrrev_b32_e32 v6, 21, v6
; %bb.1859:
	s_andn2_saveexec_b64 s[10:11], s[10:11]
; %bb.1860:
	s_mov_b32 s12, 0x43000000
	v_add_f32_e64 v6, |v5|, s12
; %bb.1861:
	s_or_b64 exec, exec, s[10:11]
                                        ; implicit-def: $vgpr7
.LBB62_1862:
	s_andn2_saveexec_b64 s[4:5], s[4:5]
; %bb.1863:
	s_mov_b32 s10, 0x7f800000
	v_mov_b32_e32 v6, 0x7c
	v_mov_b32_e32 v8, 0x7f
	v_cmp_lt_u32_e32 vcc, s10, v7
	v_cndmask_b32_e32 v6, v6, v8, vcc
; %bb.1864:
	s_or_b64 exec, exec, s[4:5]
	v_lshrrev_b32_e32 v5, 24, v5
	s_movk_i32 s4, 0x80
	v_and_or_b32 v5, v5, s4, v6
	global_store_byte v[2:3], v5, off
.LBB62_1865:
	s_mov_b64 s[4:5], 0
	s_mov_b64 s[10:11], -1
.LBB62_1866:
	s_andn2_b64 vcc, exec, s[4:5]
	s_mov_b64 s[4:5], 0
	s_cbranch_vccnz .LBB62_1873
; %bb.1867:
	v_mov_b32_e32 v5, 14
	v_cmp_gt_i16_sdwa s[4:5], s33, v5 src0_sel:BYTE_0 src1_sel:DWORD
	s_mov_b64 s[12:13], -1
	s_and_b64 vcc, exec, s[4:5]
	s_cbranch_vccz .LBB62_1871
; %bb.1868:
	v_mov_b32_e32 v5, 15
	v_cmp_eq_u16_sdwa s[4:5], s33, v5 src0_sel:BYTE_0 src1_sel:DWORD
	s_mov_b64 s[0:1], -1
	s_and_b64 vcc, exec, s[4:5]
	s_cbranch_vccz .LBB62_1870
; %bb.1869:
	v_cvt_f32_f64_e32 v5, v[10:11]
	v_bfe_u32 v6, v5, 16, 1
	s_movk_i32 s0, 0x7fff
	v_add3_u32 v6, v5, v6, s0
	v_lshrrev_b32_e32 v6, 16, v6
	v_mov_b32_e32 v7, 0x7fc0
	v_cmp_o_f32_e32 vcc, v5, v5
	v_cndmask_b32_e32 v5, v7, v6, vcc
	global_store_short v[2:3], v5, off
	s_mov_b64 s[0:1], 0
	s_mov_b64 s[10:11], -1
.LBB62_1870:
	s_mov_b64 s[12:13], 0
.LBB62_1871:
	s_mov_b64 s[4:5], 0
	s_and_b64 vcc, exec, s[12:13]
	s_cbranch_vccz .LBB62_1873
; %bb.1872:
	v_mov_b32_e32 v5, 11
	v_cmp_ne_u16_sdwa s[0:1], s33, v5 src0_sel:BYTE_0 src1_sel:DWORD
	s_mov_b64 s[4:5], -1
.LBB62_1873:
	s_and_b64 vcc, exec, s[0:1]
	s_cbranch_vccnz .LBB62_2041
; %bb.1874:
	s_andn2_b64 vcc, exec, s[4:5]
	s_cbranch_vccnz .LBB62_1876
.LBB62_1875:
	v_cmp_neq_f64_e32 vcc, 0, v[10:11]
	v_cndmask_b32_e64 v5, 0, 1, vcc
	s_mov_b64 s[10:11], -1
	global_store_byte v[2:3], v5, off
.LBB62_1876:
	s_mov_b64 s[0:1], 0
.LBB62_1877:
	s_and_b64 vcc, exec, s[0:1]
	s_cbranch_vccz .LBB62_1916
; %bb.1878:
	v_mov_b32_e32 v5, 5
	v_cmp_lt_i16_sdwa s[4:5], s33, v5 src0_sel:BYTE_0 src1_sel:DWORD
	s_mov_b64 s[0:1], -1
	s_and_b64 vcc, exec, s[4:5]
	s_cbranch_vccnz .LBB62_1899
; %bb.1879:
	v_mov_b32_e32 v5, 8
	v_cmp_lt_i16_sdwa s[4:5], s33, v5 src0_sel:BYTE_0 src1_sel:DWORD
	s_and_b64 vcc, exec, s[4:5]
	s_cbranch_vccnz .LBB62_1889
; %bb.1880:
	v_mov_b32_e32 v5, 9
	v_cmp_lt_i16_sdwa s[4:5], s33, v5 src0_sel:BYTE_0 src1_sel:DWORD
	s_and_b64 vcc, exec, s[4:5]
	s_cbranch_vccnz .LBB62_1886
; %bb.1881:
	v_cmp_gt_i16_sdwa s[4:5], s33, v5 src0_sel:BYTE_0 src1_sel:DWORD
	s_and_b64 vcc, exec, s[4:5]
	s_cbranch_vccz .LBB62_1883
; %bb.1882:
	v_mov_b32_e32 v12, 0
	v_mov_b32_e32 v13, v12
	global_store_dwordx4 v[2:3], v[10:13], off
	s_mov_b64 s[0:1], 0
.LBB62_1883:
	s_andn2_b64 vcc, exec, s[0:1]
	s_cbranch_vccnz .LBB62_1885
; %bb.1884:
	v_cvt_f32_f64_e32 v6, v[10:11]
	v_mov_b32_e32 v7, 0
	global_store_dwordx2 v[2:3], v[6:7], off
.LBB62_1885:
	s_mov_b64 s[0:1], 0
.LBB62_1886:
	s_andn2_b64 vcc, exec, s[0:1]
	s_cbranch_vccnz .LBB62_1888
; %bb.1887:
	v_cvt_f32_f64_e32 v5, v[10:11]
	v_cvt_f16_f32_e32 v5, v5
	global_store_dword v[2:3], v5, off
.LBB62_1888:
	s_mov_b64 s[0:1], 0
.LBB62_1889:
	s_andn2_b64 vcc, exec, s[0:1]
	s_cbranch_vccnz .LBB62_1898
; %bb.1890:
	v_mov_b32_e32 v5, 6
	v_cmp_lt_i16_sdwa s[4:5], s33, v5 src0_sel:BYTE_0 src1_sel:DWORD
	s_mov_b64 s[0:1], -1
	s_and_b64 vcc, exec, s[4:5]
	s_cbranch_vccnz .LBB62_1896
; %bb.1891:
	v_cmp_gt_i16_sdwa s[4:5], s33, v5 src0_sel:BYTE_0 src1_sel:DWORD
	s_and_b64 vcc, exec, s[4:5]
	s_cbranch_vccz .LBB62_1893
; %bb.1892:
	global_store_dwordx2 v[2:3], v[10:11], off
	s_mov_b64 s[0:1], 0
.LBB62_1893:
	s_andn2_b64 vcc, exec, s[0:1]
	s_cbranch_vccnz .LBB62_1895
; %bb.1894:
	v_cvt_f32_f64_e32 v5, v[10:11]
	global_store_dword v[2:3], v5, off
.LBB62_1895:
	s_mov_b64 s[0:1], 0
.LBB62_1896:
	s_andn2_b64 vcc, exec, s[0:1]
	s_cbranch_vccnz .LBB62_1898
; %bb.1897:
	v_cvt_f32_f64_e32 v5, v[10:11]
	v_cvt_f16_f32_e32 v5, v5
	global_store_short v[2:3], v5, off
.LBB62_1898:
	s_mov_b64 s[0:1], 0
.LBB62_1899:
	s_andn2_b64 vcc, exec, s[0:1]
	s_cbranch_vccnz .LBB62_1915
; %bb.1900:
	v_mov_b32_e32 v5, 2
	v_cmp_lt_i16_sdwa s[4:5], s33, v5 src0_sel:BYTE_0 src1_sel:DWORD
	s_mov_b64 s[0:1], -1
	s_and_b64 vcc, exec, s[4:5]
	s_cbranch_vccnz .LBB62_1910
; %bb.1901:
	v_mov_b32_e32 v5, 3
	v_cmp_lt_i16_sdwa s[4:5], s33, v5 src0_sel:BYTE_0 src1_sel:DWORD
	s_and_b64 vcc, exec, s[4:5]
	s_cbranch_vccnz .LBB62_1907
; %bb.1902:
	v_cmp_gt_i16_sdwa s[4:5], s33, v5 src0_sel:BYTE_0 src1_sel:DWORD
	s_and_b64 vcc, exec, s[4:5]
	s_cbranch_vccz .LBB62_1904
; %bb.1903:
	v_trunc_f64_e32 v[6:7], v[10:11]
	s_movk_i32 s0, 0xffe0
	v_ldexp_f64 v[8:9], v[6:7], s0
	v_floor_f64_e32 v[8:9], v[8:9]
	v_fmac_f64_e32 v[6:7], 0xc1f00000, v[8:9]
	v_cvt_i32_f64_e32 v13, v[8:9]
	v_cvt_u32_f64_e32 v12, v[6:7]
	global_store_dwordx2 v[2:3], v[12:13], off
	s_mov_b64 s[0:1], 0
.LBB62_1904:
	s_andn2_b64 vcc, exec, s[0:1]
	s_cbranch_vccnz .LBB62_1906
; %bb.1905:
	v_cvt_i32_f64_e32 v5, v[10:11]
	global_store_dword v[2:3], v5, off
.LBB62_1906:
	s_mov_b64 s[0:1], 0
.LBB62_1907:
	s_andn2_b64 vcc, exec, s[0:1]
	s_cbranch_vccnz .LBB62_1909
; %bb.1908:
	v_cvt_i32_f64_e32 v5, v[10:11]
	global_store_short v[2:3], v5, off
.LBB62_1909:
	s_mov_b64 s[0:1], 0
.LBB62_1910:
	s_andn2_b64 vcc, exec, s[0:1]
	s_cbranch_vccnz .LBB62_1915
; %bb.1911:
	v_mov_b32_e32 v5, 0
	v_cmp_gt_i16_sdwa s[4:5], s33, v5 src0_sel:BYTE_0 src1_sel:DWORD
	s_mov_b64 s[0:1], -1
	s_and_b64 vcc, exec, s[4:5]
	s_cbranch_vccz .LBB62_1913
; %bb.1912:
	v_cvt_i32_f64_e32 v5, v[10:11]
	global_store_byte v[2:3], v5, off
	s_mov_b64 s[0:1], 0
.LBB62_1913:
	s_andn2_b64 vcc, exec, s[0:1]
	s_cbranch_vccnz .LBB62_1915
; %bb.1914:
	v_trunc_f64_e32 v[6:7], v[10:11]
	s_movk_i32 s0, 0xffe0
	v_ldexp_f64 v[8:9], v[6:7], s0
	v_floor_f64_e32 v[8:9], v[8:9]
	v_fmac_f64_e32 v[6:7], 0xc1f00000, v[8:9]
	v_cvt_u32_f64_e32 v5, v[6:7]
	global_store_byte v[2:3], v5, off
.LBB62_1915:
	s_mov_b64 s[10:11], -1
.LBB62_1916:
	s_andn2_b64 vcc, exec, s[10:11]
	s_cbranch_vccnz .LBB62_1993
; %bb.1917:
	s_brev_b32 s0, -2
	v_mov_b32_e32 v2, s3
	v_bfi_b32 v1, s0, v1, v2
	v_add_u32_e32 v2, s2, v4
	v_ashrrev_i32_e32 v3, 31, v2
	v_mov_b32_e32 v5, s9
	v_add_co_u32_e32 v4, vcc, s8, v2
	v_mov_b32_e32 v2, 0xff
	v_addc_co_u32_e32 v5, vcc, v5, v3, vcc
	v_and_b32_e32 v6, s33, v2
	v_cmp_gt_i16_e32 vcc, 11, v6
	s_cbranch_vccnz .LBB62_2038
; %bb.1918:
	v_cmp_lt_i16_e32 vcc, 25, v6
	s_mov_b64 s[4:5], -1
	s_mov_b64 s[2:3], 0
	s_mov_b64 s[0:1], 0
	s_cbranch_vccz .LBB62_1951
; %bb.1919:
	v_cmp_lt_i16_e32 vcc, 28, v6
	s_cbranch_vccz .LBB62_1935
; %bb.1920:
	v_cmp_lt_i16_e32 vcc, 43, v6
	;; [unrolled: 3-line block ×3, first 2 shown]
	s_cbranch_vccz .LBB62_1925
; %bb.1922:
	v_cmp_eq_u16_e32 vcc, 46, v6
	s_mov_b64 s[0:1], -1
	s_cbranch_vccz .LBB62_1924
; %bb.1923:
	v_cvt_f32_f64_e32 v2, v[0:1]
	v_bfe_u32 v3, v2, 16, 1
	s_movk_i32 s0, 0x7fff
	v_add3_u32 v3, v2, v3, s0
	v_lshrrev_b32_e32 v3, 16, v3
	v_mov_b32_e32 v7, 0x7fc0
	v_cmp_o_f32_e32 vcc, v2, v2
	v_cndmask_b32_e32 v2, v7, v3, vcc
	global_store_dword v[4:5], v2, off
	s_mov_b64 s[0:1], 0
.LBB62_1924:
	s_mov_b64 s[4:5], 0
.LBB62_1925:
	s_and_b64 vcc, exec, s[4:5]
	s_cbranch_vccz .LBB62_1930
; %bb.1926:
	v_cmp_eq_u16_e32 vcc, 44, v6
	s_mov_b64 s[0:1], -1
	s_cbranch_vccz .LBB62_1930
; %bb.1927:
	v_cvt_f32_f64_e32 v2, v[0:1]
	v_bfe_u32 v3, v2, 23, 8
	s_movk_i32 s0, 0xff
	v_cmp_ne_u32_e32 vcc, s0, v3
	v_mov_b32_e32 v7, 0xff
	s_and_saveexec_b64 s[4:5], vcc
; %bb.1928:
	s_mov_b32 s0, 0x3fffff
	v_lshrrev_b32_e32 v7, 23, v2
	v_and_b32_e32 v8, 0x400000, v2
	v_and_or_b32 v2, v2, s0, v3
	v_cmp_ne_u32_e32 vcc, 0, v8
	v_cmp_ne_u32_e64 s[0:1], 0, v2
	s_and_b64 s[0:1], vcc, s[0:1]
	v_cndmask_b32_e64 v2, 0, 1, s[0:1]
	v_add_u32_e32 v7, v7, v2
; %bb.1929:
	s_or_b64 exec, exec, s[4:5]
	s_mov_b64 s[0:1], 0
	global_store_byte v[4:5], v7, off
.LBB62_1930:
	s_mov_b64 s[4:5], 0
.LBB62_1931:
	s_and_b64 vcc, exec, s[4:5]
	s_cbranch_vccz .LBB62_1934
; %bb.1932:
	v_cmp_eq_u16_e32 vcc, 29, v6
	s_mov_b64 s[0:1], -1
	s_cbranch_vccz .LBB62_1934
; %bb.1933:
	v_trunc_f64_e32 v[2:3], v[0:1]
	s_movk_i32 s0, 0xffe0
	v_ldexp_f64 v[8:9], v[2:3], s0
	v_floor_f64_e32 v[8:9], v[8:9]
	v_fmac_f64_e32 v[2:3], 0xc1f00000, v[8:9]
	v_cvt_u32_f64_e32 v11, v[8:9]
	v_cvt_u32_f64_e32 v10, v[2:3]
	global_store_dwordx2 v[4:5], v[10:11], off
	s_mov_b64 s[0:1], 0
.LBB62_1934:
	s_mov_b64 s[4:5], 0
.LBB62_1935:
	s_and_b64 vcc, exec, s[4:5]
	s_cbranch_vccz .LBB62_1950
; %bb.1936:
	v_cmp_gt_i16_e32 vcc, 27, v6
	s_mov_b64 s[4:5], -1
	s_cbranch_vccnz .LBB62_1942
; %bb.1937:
	v_cmp_lt_i16_e32 vcc, 27, v6
	v_cvt_u32_f64_e32 v2, v[0:1]
	s_cbranch_vccz .LBB62_1939
; %bb.1938:
	global_store_dword v[4:5], v2, off
	s_mov_b64 s[4:5], 0
.LBB62_1939:
	s_andn2_b64 vcc, exec, s[4:5]
	s_cbranch_vccnz .LBB62_1941
; %bb.1940:
	global_store_short v[4:5], v2, off
.LBB62_1941:
	s_mov_b64 s[4:5], 0
.LBB62_1942:
	s_andn2_b64 vcc, exec, s[4:5]
	s_cbranch_vccnz .LBB62_1950
; %bb.1943:
	v_cvt_f32_f64_e32 v2, v[0:1]
	v_and_b32_e32 v3, 0x7fffffff, v2
	s_mov_b32 s4, 0x43800000
	v_cmp_gt_u32_e32 vcc, s4, v3
	v_mov_b32_e32 v7, 0x80
	s_and_saveexec_b64 s[4:5], vcc
	s_cbranch_execz .LBB62_1949
; %bb.1944:
	s_mov_b32 s8, 0x3bffffff
	v_cmp_lt_u32_e32 vcc, s8, v3
	s_mov_b64 s[8:9], 0
                                        ; implicit-def: $vgpr3
	s_and_saveexec_b64 s[10:11], vcc
	s_xor_b64 s[10:11], exec, s[10:11]
	s_cbranch_execz .LBB62_2044
; %bb.1945:
	v_bfe_u32 v3, v2, 20, 1
	s_mov_b32 s12, 0x487ffff
	v_add3_u32 v3, v2, v3, s12
	s_mov_b64 s[8:9], exec
	v_lshrrev_b32_e32 v3, 20, v3
	s_or_saveexec_b64 s[10:11], s[10:11]
                                        ; implicit-def: $sgpr12
	s_xor_b64 exec, exec, s[10:11]
	s_cbranch_execnz .LBB62_2045
.LBB62_1946:
	s_or_b64 exec, exec, s[10:11]
	v_mov_b32_e32 v7, s12
	s_and_saveexec_b64 s[10:11], s[8:9]
.LBB62_1947:
	v_lshrrev_b32_e32 v2, 24, v2
	s_movk_i32 s8, 0x80
	v_and_or_b32 v7, v2, s8, v3
.LBB62_1948:
	s_or_b64 exec, exec, s[10:11]
.LBB62_1949:
	s_or_b64 exec, exec, s[4:5]
	global_store_byte v[4:5], v7, off
.LBB62_1950:
	s_mov_b64 s[4:5], 0
.LBB62_1951:
	s_and_b64 vcc, exec, s[4:5]
	s_cbranch_vccz .LBB62_1991
; %bb.1952:
	v_cmp_lt_i16_e32 vcc, 22, v6
	s_mov_b64 s[2:3], -1
	s_cbranch_vccz .LBB62_1984
; %bb.1953:
	v_cmp_gt_i16_e32 vcc, 24, v6
	s_cbranch_vccnz .LBB62_1973
; %bb.1954:
	v_cmp_lt_i16_e32 vcc, 24, v6
	s_cbranch_vccz .LBB62_1962
; %bb.1955:
	v_cvt_f32_f64_e32 v2, v[0:1]
	v_and_b32_e32 v3, 0x7fffffff, v2
	s_mov_b32 s2, 0x47800000
	v_cmp_gt_u32_e32 vcc, s2, v3
	v_mov_b32_e32 v7, 0x80
	s_and_saveexec_b64 s[2:3], vcc
	s_cbranch_execz .LBB62_1961
; %bb.1956:
	s_mov_b32 s4, 0x37ffffff
	v_cmp_lt_u32_e32 vcc, s4, v3
	s_mov_b64 s[4:5], 0
                                        ; implicit-def: $vgpr3
	s_and_saveexec_b64 s[8:9], vcc
	s_xor_b64 s[8:9], exec, s[8:9]
	s_cbranch_execz .LBB62_2047
; %bb.1957:
	v_bfe_u32 v3, v2, 21, 1
	s_mov_b32 s10, 0x88fffff
	v_add3_u32 v3, v2, v3, s10
	s_mov_b64 s[4:5], exec
	v_lshrrev_b32_e32 v3, 21, v3
	s_or_saveexec_b64 s[8:9], s[8:9]
                                        ; implicit-def: $sgpr10
	s_xor_b64 exec, exec, s[8:9]
	s_cbranch_execnz .LBB62_2048
.LBB62_1958:
	s_or_b64 exec, exec, s[8:9]
	v_mov_b32_e32 v7, s10
	s_and_saveexec_b64 s[8:9], s[4:5]
.LBB62_1959:
	v_lshrrev_b32_e32 v2, 24, v2
	s_movk_i32 s4, 0x80
	v_and_or_b32 v7, v2, s4, v3
.LBB62_1960:
	s_or_b64 exec, exec, s[8:9]
.LBB62_1961:
	s_or_b64 exec, exec, s[2:3]
	s_mov_b64 s[2:3], 0
	global_store_byte v[4:5], v7, off
.LBB62_1962:
	s_and_b64 vcc, exec, s[2:3]
	s_cbranch_vccz .LBB62_1972
; %bb.1963:
	v_cvt_f32_f64_e32 v2, v[0:1]
	v_and_b32_e32 v7, 0x7fffffff, v2
	s_mov_b32 s2, 0x43f00000
	v_cmp_gt_u32_e32 vcc, s2, v7
                                        ; implicit-def: $vgpr3
	s_and_saveexec_b64 s[2:3], vcc
	s_xor_b64 s[2:3], exec, s[2:3]
	s_cbranch_execz .LBB62_1969
; %bb.1964:
	s_mov_b32 s4, 0x3c7fffff
	v_cmp_lt_u32_e32 vcc, s4, v7
                                        ; implicit-def: $vgpr3
	s_and_saveexec_b64 s[4:5], vcc
	s_xor_b64 s[4:5], exec, s[4:5]
; %bb.1965:
	v_bfe_u32 v3, v2, 20, 1
	s_mov_b32 s8, 0x407ffff
	v_add3_u32 v3, v2, v3, s8
	v_lshrrev_b32_e32 v7, 20, v3
	v_and_b32_e32 v3, 0xff00000, v3
	s_mov_b32 s8, 0x7f00000
	v_mov_b32_e32 v8, 0x7e
	v_cmp_ne_u32_e32 vcc, s8, v3
	v_cndmask_b32_e32 v3, v8, v7, vcc
; %bb.1966:
	s_andn2_saveexec_b64 s[4:5], s[4:5]
; %bb.1967:
	s_mov_b32 s8, 0x46800000
	v_add_f32_e64 v3, |v2|, s8
; %bb.1968:
	s_or_b64 exec, exec, s[4:5]
                                        ; implicit-def: $vgpr7
.LBB62_1969:
	s_andn2_saveexec_b64 s[2:3], s[2:3]
; %bb.1970:
	s_mov_b32 s4, 0x7f800000
	v_mov_b32_e32 v3, 0x7e
	v_mov_b32_e32 v8, 0x7f
	v_cmp_lt_u32_e32 vcc, s4, v7
	v_cndmask_b32_e32 v3, v3, v8, vcc
; %bb.1971:
	s_or_b64 exec, exec, s[2:3]
	v_lshrrev_b32_e32 v2, 24, v2
	s_movk_i32 s2, 0x80
	v_and_or_b32 v2, v2, s2, v3
	global_store_byte v[4:5], v2, off
.LBB62_1972:
	s_mov_b64 s[2:3], 0
.LBB62_1973:
	s_andn2_b64 vcc, exec, s[2:3]
	s_cbranch_vccnz .LBB62_1983
; %bb.1974:
	v_cvt_f32_f64_e32 v2, v[0:1]
	v_and_b32_e32 v7, 0x7fffffff, v2
	s_mov_b32 s2, 0x47800000
	v_cmp_gt_u32_e32 vcc, s2, v7
                                        ; implicit-def: $vgpr3
	s_and_saveexec_b64 s[2:3], vcc
	s_xor_b64 s[2:3], exec, s[2:3]
	s_cbranch_execz .LBB62_1980
; %bb.1975:
	s_mov_b32 s4, 0x387fffff
	v_cmp_lt_u32_e32 vcc, s4, v7
                                        ; implicit-def: $vgpr3
	s_and_saveexec_b64 s[4:5], vcc
	s_xor_b64 s[4:5], exec, s[4:5]
; %bb.1976:
	v_bfe_u32 v3, v2, 21, 1
	s_mov_b32 s8, 0x80fffff
	v_add3_u32 v3, v2, v3, s8
	v_lshrrev_b32_e32 v3, 21, v3
; %bb.1977:
	s_andn2_saveexec_b64 s[4:5], s[4:5]
; %bb.1978:
	s_mov_b32 s8, 0x43000000
	v_add_f32_e64 v3, |v2|, s8
; %bb.1979:
	s_or_b64 exec, exec, s[4:5]
                                        ; implicit-def: $vgpr7
.LBB62_1980:
	s_andn2_saveexec_b64 s[2:3], s[2:3]
; %bb.1981:
	s_mov_b32 s4, 0x7f800000
	v_mov_b32_e32 v3, 0x7c
	v_mov_b32_e32 v8, 0x7f
	v_cmp_lt_u32_e32 vcc, s4, v7
	v_cndmask_b32_e32 v3, v3, v8, vcc
; %bb.1982:
	s_or_b64 exec, exec, s[2:3]
	v_lshrrev_b32_e32 v2, 24, v2
	s_movk_i32 s2, 0x80
	v_and_or_b32 v2, v2, s2, v3
	global_store_byte v[4:5], v2, off
.LBB62_1983:
	s_mov_b64 s[2:3], 0
.LBB62_1984:
	s_andn2_b64 vcc, exec, s[2:3]
	s_mov_b64 s[2:3], 0
	s_cbranch_vccnz .LBB62_1991
; %bb.1985:
	v_cmp_lt_i16_e32 vcc, 14, v6
	s_mov_b64 s[4:5], -1
	s_cbranch_vccz .LBB62_1989
; %bb.1986:
	v_cmp_eq_u16_e32 vcc, 15, v6
	s_mov_b64 s[0:1], -1
	s_cbranch_vccz .LBB62_1988
; %bb.1987:
	v_cvt_f32_f64_e32 v2, v[0:1]
	v_bfe_u32 v3, v2, 16, 1
	s_movk_i32 s0, 0x7fff
	v_add3_u32 v3, v2, v3, s0
	v_lshrrev_b32_e32 v3, 16, v3
	v_mov_b32_e32 v7, 0x7fc0
	v_cmp_o_f32_e32 vcc, v2, v2
	v_cndmask_b32_e32 v2, v7, v3, vcc
	global_store_short v[4:5], v2, off
	s_mov_b64 s[0:1], 0
.LBB62_1988:
	s_mov_b64 s[4:5], 0
.LBB62_1989:
	s_and_b64 vcc, exec, s[4:5]
	s_cbranch_vccz .LBB62_1991
; %bb.1990:
	v_cmp_ne_u16_e64 s[0:1], 11, v6
	s_mov_b64 s[2:3], -1
.LBB62_1991:
	s_and_b64 vcc, exec, s[0:1]
	s_cbranch_vccnz .LBB62_2046
.LBB62_1992:
	s_mov_b64 s[0:1], 0
	s_branch .LBB62_1994
.LBB62_1993:
	s_mov_b64 s[0:1], 0
	s_mov_b64 s[2:3], 0
                                        ; implicit-def: $vgpr6
                                        ; implicit-def: $vgpr4_vgpr5
                                        ; implicit-def: $vgpr0_vgpr1
.LBB62_1994:
	s_and_b64 s[4:5], s[2:3], exec
	s_andn2_b64 s[2:3], s[14:15], exec
	s_and_b64 s[8:9], s[16:17], exec
	s_and_b64 s[0:1], s[0:1], exec
	s_or_b64 s[14:15], s[2:3], s[8:9]
.LBB62_1995:
	s_or_b64 exec, exec, s[6:7]
	s_and_saveexec_b64 s[2:3], s[14:15]
	s_cbranch_execz .LBB62_1998
; %bb.1996:
	; divergent unreachable
	s_or_b64 exec, exec, s[2:3]
	s_and_saveexec_b64 s[2:3], s[4:5]
	s_xor_b64 s[2:3], exec, s[2:3]
	s_cbranch_execnz .LBB62_1999
.LBB62_1997:
	s_or_b64 exec, exec, s[2:3]
	s_and_saveexec_b64 s[2:3], s[0:1]
	s_cbranch_execnz .LBB62_2000
	s_branch .LBB62_2037
.LBB62_1998:
	s_or_b64 exec, exec, s[2:3]
	s_and_saveexec_b64 s[2:3], s[4:5]
	s_xor_b64 s[2:3], exec, s[2:3]
	s_cbranch_execz .LBB62_1997
.LBB62_1999:
	s_waitcnt vmcnt(0)
	v_cmp_neq_f64_e32 vcc, 0, v[0:1]
	v_cndmask_b32_e64 v2, 0, 1, vcc
	global_store_byte v[4:5], v2, off
	s_or_b64 exec, exec, s[2:3]
	s_and_saveexec_b64 s[2:3], s[0:1]
	s_cbranch_execz .LBB62_2037
.LBB62_2000:
	s_waitcnt vmcnt(0)
	v_cmp_gt_i16_e32 vcc, 5, v6
	s_mov_b64 s[0:1], -1
	s_cbranch_vccnz .LBB62_2021
; %bb.2001:
	v_cmp_gt_i16_e32 vcc, 8, v6
	s_cbranch_vccnz .LBB62_2011
; %bb.2002:
	v_cmp_gt_i16_e32 vcc, 9, v6
	s_cbranch_vccnz .LBB62_2008
; %bb.2003:
	v_cmp_lt_i16_e32 vcc, 9, v6
	s_cbranch_vccz .LBB62_2005
; %bb.2004:
	v_mov_b32_e32 v2, 0
	v_mov_b32_e32 v3, v2
	global_store_dwordx4 v[4:5], v[0:3], off
	s_mov_b64 s[0:1], 0
.LBB62_2005:
	s_andn2_b64 vcc, exec, s[0:1]
	s_cbranch_vccnz .LBB62_2007
; %bb.2006:
	v_cvt_f32_f64_e32 v2, v[0:1]
	v_mov_b32_e32 v3, 0
	global_store_dwordx2 v[4:5], v[2:3], off
.LBB62_2007:
	s_mov_b64 s[0:1], 0
.LBB62_2008:
	s_andn2_b64 vcc, exec, s[0:1]
	s_cbranch_vccnz .LBB62_2010
; %bb.2009:
	v_cvt_f32_f64_e32 v2, v[0:1]
	v_cvt_f16_f32_e32 v2, v2
	global_store_dword v[4:5], v2, off
.LBB62_2010:
	s_mov_b64 s[0:1], 0
.LBB62_2011:
	s_andn2_b64 vcc, exec, s[0:1]
	s_cbranch_vccnz .LBB62_2020
; %bb.2012:
	v_cmp_gt_i16_e32 vcc, 6, v6
	s_mov_b64 s[0:1], -1
	s_cbranch_vccnz .LBB62_2018
; %bb.2013:
	v_cmp_lt_i16_e32 vcc, 6, v6
	s_cbranch_vccz .LBB62_2015
; %bb.2014:
	global_store_dwordx2 v[4:5], v[0:1], off
	s_mov_b64 s[0:1], 0
.LBB62_2015:
	s_andn2_b64 vcc, exec, s[0:1]
	s_cbranch_vccnz .LBB62_2017
; %bb.2016:
	v_cvt_f32_f64_e32 v2, v[0:1]
	global_store_dword v[4:5], v2, off
.LBB62_2017:
	s_mov_b64 s[0:1], 0
.LBB62_2018:
	s_andn2_b64 vcc, exec, s[0:1]
	s_cbranch_vccnz .LBB62_2020
; %bb.2019:
	v_cvt_f32_f64_e32 v2, v[0:1]
	v_cvt_f16_f32_e32 v2, v2
	global_store_short v[4:5], v2, off
.LBB62_2020:
	s_mov_b64 s[0:1], 0
.LBB62_2021:
	s_andn2_b64 vcc, exec, s[0:1]
	s_cbranch_vccnz .LBB62_2037
; %bb.2022:
	v_cmp_gt_i16_e32 vcc, 2, v6
	s_mov_b64 s[0:1], -1
	s_cbranch_vccnz .LBB62_2032
; %bb.2023:
	v_cmp_gt_i16_e32 vcc, 3, v6
	s_cbranch_vccnz .LBB62_2029
; %bb.2024:
	v_cmp_lt_i16_e32 vcc, 3, v6
	s_cbranch_vccz .LBB62_2026
; %bb.2025:
	v_trunc_f64_e32 v[2:3], v[0:1]
	s_movk_i32 s0, 0xffe0
	v_ldexp_f64 v[8:9], v[2:3], s0
	v_floor_f64_e32 v[8:9], v[8:9]
	v_fmac_f64_e32 v[2:3], 0xc1f00000, v[8:9]
	v_cvt_i32_f64_e32 v11, v[8:9]
	v_cvt_u32_f64_e32 v10, v[2:3]
	global_store_dwordx2 v[4:5], v[10:11], off
	s_mov_b64 s[0:1], 0
.LBB62_2026:
	s_andn2_b64 vcc, exec, s[0:1]
	s_cbranch_vccnz .LBB62_2028
; %bb.2027:
	v_cvt_i32_f64_e32 v2, v[0:1]
	global_store_dword v[4:5], v2, off
.LBB62_2028:
	s_mov_b64 s[0:1], 0
.LBB62_2029:
	s_andn2_b64 vcc, exec, s[0:1]
	s_cbranch_vccnz .LBB62_2031
; %bb.2030:
	v_cvt_i32_f64_e32 v2, v[0:1]
	global_store_short v[4:5], v2, off
.LBB62_2031:
	s_mov_b64 s[0:1], 0
.LBB62_2032:
	s_andn2_b64 vcc, exec, s[0:1]
	s_cbranch_vccnz .LBB62_2037
; %bb.2033:
	v_cmp_lt_i16_e32 vcc, 0, v6
	s_mov_b64 s[0:1], -1
	s_cbranch_vccz .LBB62_2035
; %bb.2034:
	v_cvt_i32_f64_e32 v2, v[0:1]
	global_store_byte v[4:5], v2, off
	s_mov_b64 s[0:1], 0
.LBB62_2035:
	s_andn2_b64 vcc, exec, s[0:1]
	s_cbranch_vccnz .LBB62_2037
; %bb.2036:
	v_trunc_f64_e32 v[0:1], v[0:1]
	s_movk_i32 s0, 0xffe0
	v_ldexp_f64 v[2:3], v[0:1], s0
	v_floor_f64_e32 v[2:3], v[2:3]
	v_fmac_f64_e32 v[0:1], 0xc1f00000, v[2:3]
	v_cvt_u32_f64_e32 v0, v[0:1]
	global_store_byte v[4:5], v0, off
	s_endpgm
.LBB62_2037:
	s_endpgm
.LBB62_2038:
	s_mov_b64 s[2:3], 0
	s_mov_b64 s[0:1], -1
	s_branch .LBB62_1994
.LBB62_2039:
	s_or_saveexec_b64 s[18:19], s[18:19]
                                        ; implicit-def: $sgpr20
	s_xor_b64 exec, exec, s[18:19]
	s_cbranch_execz .LBB62_1827
.LBB62_2040:
	s_mov_b32 s20, 0x46000000
	v_add_f32_e64 v6, |v5|, s20
	v_and_b32_e32 v6, 0xff, v6
	v_cmp_ne_u32_e32 vcc, 0, v6
	s_andn2_b64 s[12:13], s[12:13], exec
	s_and_b64 s[22:23], vcc, exec
	s_mov_b32 s20, 0
	s_or_b64 s[12:13], s[12:13], s[22:23]
	s_or_b64 exec, exec, s[18:19]
	v_mov_b32_e32 v7, s20
	s_and_saveexec_b64 s[18:19], s[12:13]
	s_cbranch_execnz .LBB62_1828
	s_branch .LBB62_1829
.LBB62_2041:
	s_trap 2
	s_or_b64 s[16:17], s[16:17], exec
	s_cbranch_execz .LBB62_1875
	s_branch .LBB62_1876
.LBB62_2042:
	s_or_saveexec_b64 s[12:13], s[12:13]
                                        ; implicit-def: $sgpr18
	s_xor_b64 exec, exec, s[12:13]
	s_cbranch_execz .LBB62_1840
.LBB62_2043:
	s_mov_b32 s18, 0x42800000
	v_add_f32_e64 v6, |v5|, s18
	v_and_b32_e32 v6, 0xff, v6
	v_cmp_ne_u32_e32 vcc, 0, v6
	s_andn2_b64 s[10:11], s[10:11], exec
	s_and_b64 s[20:21], vcc, exec
	s_mov_b32 s18, 0
	s_or_b64 s[10:11], s[10:11], s[20:21]
	s_or_b64 exec, exec, s[12:13]
	v_mov_b32_e32 v7, s18
	s_and_saveexec_b64 s[12:13], s[10:11]
	s_cbranch_execnz .LBB62_1841
	s_branch .LBB62_1842
.LBB62_2044:
	s_or_saveexec_b64 s[10:11], s[10:11]
                                        ; implicit-def: $sgpr12
	s_xor_b64 exec, exec, s[10:11]
	s_cbranch_execz .LBB62_1946
.LBB62_2045:
	s_mov_b32 s12, 0x46000000
	v_add_f32_e64 v3, |v2|, s12
	v_and_b32_e32 v3, 0xff, v3
	v_cmp_ne_u32_e32 vcc, 0, v3
	s_andn2_b64 s[8:9], s[8:9], exec
	s_and_b64 s[18:19], vcc, exec
	s_mov_b32 s12, 0
	s_or_b64 s[8:9], s[8:9], s[18:19]
	s_or_b64 exec, exec, s[10:11]
	v_mov_b32_e32 v7, s12
	s_and_saveexec_b64 s[10:11], s[8:9]
	s_cbranch_execnz .LBB62_1947
	s_branch .LBB62_1948
.LBB62_2046:
	s_mov_b64 s[2:3], 0
	s_or_b64 s[16:17], s[16:17], exec
	s_trap 2
	s_branch .LBB62_1992
.LBB62_2047:
	s_or_saveexec_b64 s[8:9], s[8:9]
                                        ; implicit-def: $sgpr10
	s_xor_b64 exec, exec, s[8:9]
	s_cbranch_execz .LBB62_1958
.LBB62_2048:
	s_mov_b32 s10, 0x42800000
	v_add_f32_e64 v3, |v2|, s10
	v_and_b32_e32 v3, 0xff, v3
	v_cmp_ne_u32_e32 vcc, 0, v3
	s_andn2_b64 s[4:5], s[4:5], exec
	s_and_b64 s[12:13], vcc, exec
	s_mov_b32 s10, 0
	s_or_b64 s[4:5], s[4:5], s[12:13]
	s_or_b64 exec, exec, s[8:9]
	v_mov_b32_e32 v7, s10
	s_and_saveexec_b64 s[8:9], s[4:5]
	s_cbranch_execnz .LBB62_1959
	s_branch .LBB62_1960
	.section	.rodata,"a",@progbits
	.p2align	6, 0x0
	.amdhsa_kernel _ZN2at6native32elementwise_kernel_manual_unrollILi128ELi4EZNS0_15gpu_kernel_implINS0_13BUnaryFunctorIdddZZZNS0_20copysign_kernel_cudaERNS_18TensorIteratorBaseEENKUlvE_clEvENKUlvE_clEvEUlddE_EEEEvS5_RKT_EUlibE_EEviT1_
		.amdhsa_group_segment_fixed_size 0
		.amdhsa_private_segment_fixed_size 0
		.amdhsa_kernarg_size 56
		.amdhsa_user_sgpr_count 6
		.amdhsa_user_sgpr_private_segment_buffer 1
		.amdhsa_user_sgpr_dispatch_ptr 0
		.amdhsa_user_sgpr_queue_ptr 0
		.amdhsa_user_sgpr_kernarg_segment_ptr 1
		.amdhsa_user_sgpr_dispatch_id 0
		.amdhsa_user_sgpr_flat_scratch_init 0
		.amdhsa_user_sgpr_kernarg_preload_length 0
		.amdhsa_user_sgpr_kernarg_preload_offset 0
		.amdhsa_user_sgpr_private_segment_size 0
		.amdhsa_uses_dynamic_stack 0
		.amdhsa_system_sgpr_private_segment_wavefront_offset 0
		.amdhsa_system_sgpr_workgroup_id_x 1
		.amdhsa_system_sgpr_workgroup_id_y 0
		.amdhsa_system_sgpr_workgroup_id_z 0
		.amdhsa_system_sgpr_workgroup_info 0
		.amdhsa_system_vgpr_workitem_id 0
		.amdhsa_next_free_vgpr 18
		.amdhsa_next_free_sgpr 46
		.amdhsa_accum_offset 20
		.amdhsa_reserve_vcc 1
		.amdhsa_reserve_flat_scratch 0
		.amdhsa_float_round_mode_32 0
		.amdhsa_float_round_mode_16_64 0
		.amdhsa_float_denorm_mode_32 3
		.amdhsa_float_denorm_mode_16_64 3
		.amdhsa_dx10_clamp 1
		.amdhsa_ieee_mode 1
		.amdhsa_fp16_overflow 0
		.amdhsa_tg_split 0
		.amdhsa_exception_fp_ieee_invalid_op 0
		.amdhsa_exception_fp_denorm_src 0
		.amdhsa_exception_fp_ieee_div_zero 0
		.amdhsa_exception_fp_ieee_overflow 0
		.amdhsa_exception_fp_ieee_underflow 0
		.amdhsa_exception_fp_ieee_inexact 0
		.amdhsa_exception_int_div_zero 0
	.end_amdhsa_kernel
	.section	.text._ZN2at6native32elementwise_kernel_manual_unrollILi128ELi4EZNS0_15gpu_kernel_implINS0_13BUnaryFunctorIdddZZZNS0_20copysign_kernel_cudaERNS_18TensorIteratorBaseEENKUlvE_clEvENKUlvE_clEvEUlddE_EEEEvS5_RKT_EUlibE_EEviT1_,"axG",@progbits,_ZN2at6native32elementwise_kernel_manual_unrollILi128ELi4EZNS0_15gpu_kernel_implINS0_13BUnaryFunctorIdddZZZNS0_20copysign_kernel_cudaERNS_18TensorIteratorBaseEENKUlvE_clEvENKUlvE_clEvEUlddE_EEEEvS5_RKT_EUlibE_EEviT1_,comdat
.Lfunc_end62:
	.size	_ZN2at6native32elementwise_kernel_manual_unrollILi128ELi4EZNS0_15gpu_kernel_implINS0_13BUnaryFunctorIdddZZZNS0_20copysign_kernel_cudaERNS_18TensorIteratorBaseEENKUlvE_clEvENKUlvE_clEvEUlddE_EEEEvS5_RKT_EUlibE_EEviT1_, .Lfunc_end62-_ZN2at6native32elementwise_kernel_manual_unrollILi128ELi4EZNS0_15gpu_kernel_implINS0_13BUnaryFunctorIdddZZZNS0_20copysign_kernel_cudaERNS_18TensorIteratorBaseEENKUlvE_clEvENKUlvE_clEvEUlddE_EEEEvS5_RKT_EUlibE_EEviT1_
                                        ; -- End function
	.section	.AMDGPU.csdata,"",@progbits
; Kernel info:
; codeLenInByte = 34188
; NumSgprs: 50
; NumVgprs: 18
; NumAgprs: 0
; TotalNumVgprs: 18
; ScratchSize: 0
; MemoryBound: 1
; FloatMode: 240
; IeeeMode: 1
; LDSByteSize: 0 bytes/workgroup (compile time only)
; SGPRBlocks: 6
; VGPRBlocks: 2
; NumSGPRsForWavesPerEU: 50
; NumVGPRsForWavesPerEU: 18
; AccumOffset: 20
; Occupancy: 8
; WaveLimiterHint : 0
; COMPUTE_PGM_RSRC2:SCRATCH_EN: 0
; COMPUTE_PGM_RSRC2:USER_SGPR: 6
; COMPUTE_PGM_RSRC2:TRAP_HANDLER: 0
; COMPUTE_PGM_RSRC2:TGID_X_EN: 1
; COMPUTE_PGM_RSRC2:TGID_Y_EN: 0
; COMPUTE_PGM_RSRC2:TGID_Z_EN: 0
; COMPUTE_PGM_RSRC2:TIDIG_COMP_CNT: 0
; COMPUTE_PGM_RSRC3_GFX90A:ACCUM_OFFSET: 4
; COMPUTE_PGM_RSRC3_GFX90A:TG_SPLIT: 0
	.section	.text._ZN2at6native32elementwise_kernel_manual_unrollILi128ELi4EZNS0_15gpu_kernel_implINS0_13BUnaryFunctorIdddZZZNS0_20copysign_kernel_cudaERNS_18TensorIteratorBaseEENKUlvE_clEvENKUlvE_clEvEUlddE_EEEEvS5_RKT_EUlibE0_EEviT1_,"axG",@progbits,_ZN2at6native32elementwise_kernel_manual_unrollILi128ELi4EZNS0_15gpu_kernel_implINS0_13BUnaryFunctorIdddZZZNS0_20copysign_kernel_cudaERNS_18TensorIteratorBaseEENKUlvE_clEvENKUlvE_clEvEUlddE_EEEEvS5_RKT_EUlibE0_EEviT1_,comdat
	.globl	_ZN2at6native32elementwise_kernel_manual_unrollILi128ELi4EZNS0_15gpu_kernel_implINS0_13BUnaryFunctorIdddZZZNS0_20copysign_kernel_cudaERNS_18TensorIteratorBaseEENKUlvE_clEvENKUlvE_clEvEUlddE_EEEEvS5_RKT_EUlibE0_EEviT1_ ; -- Begin function _ZN2at6native32elementwise_kernel_manual_unrollILi128ELi4EZNS0_15gpu_kernel_implINS0_13BUnaryFunctorIdddZZZNS0_20copysign_kernel_cudaERNS_18TensorIteratorBaseEENKUlvE_clEvENKUlvE_clEvEUlddE_EEEEvS5_RKT_EUlibE0_EEviT1_
	.p2align	8
	.type	_ZN2at6native32elementwise_kernel_manual_unrollILi128ELi4EZNS0_15gpu_kernel_implINS0_13BUnaryFunctorIdddZZZNS0_20copysign_kernel_cudaERNS_18TensorIteratorBaseEENKUlvE_clEvENKUlvE_clEvEUlddE_EEEEvS5_RKT_EUlibE0_EEviT1_,@function
_ZN2at6native32elementwise_kernel_manual_unrollILi128ELi4EZNS0_15gpu_kernel_implINS0_13BUnaryFunctorIdddZZZNS0_20copysign_kernel_cudaERNS_18TensorIteratorBaseEENKUlvE_clEvENKUlvE_clEvEUlddE_EEEEvS5_RKT_EUlibE0_EEviT1_: ; @_ZN2at6native32elementwise_kernel_manual_unrollILi128ELi4EZNS0_15gpu_kernel_implINS0_13BUnaryFunctorIdddZZZNS0_20copysign_kernel_cudaERNS_18TensorIteratorBaseEENKUlvE_clEvENKUlvE_clEvEUlddE_EEEEvS5_RKT_EUlibE0_EEviT1_
; %bb.0:
	s_load_dword s74, s[4:5], 0x0
	s_load_dword s33, s[4:5], 0x8
	s_or_b32 s34, s4, 8
	v_lshl_or_b32 v10, s6, 9, v0
	v_or_b32_e32 v16, 0x180, v10
	s_mov_b32 s35, s5
	s_waitcnt lgkmcnt(0)
	s_add_i32 s76, s33, -1
	s_cmp_gt_u32 s76, 1
	v_cmp_le_i32_e32 vcc, s74, v16
	s_cselect_b64 s[40:41], -1, 0
	s_mov_b64 s[6:7], 0
	s_mov_b64 s[28:29], 0
	s_and_saveexec_b64 s[0:1], vcc
	s_xor_b64 s[42:43], exec, s[0:1]
	s_cbranch_execz .LBB63_1090
; %bb.1:
	s_load_dwordx4 s[28:31], s[34:35], 0x4
	s_load_dwordx2 s[46:47], s[34:35], 0x14
	s_load_dwordx2 s[44:45], s[34:35], 0x160
	s_waitcnt lgkmcnt(0)
	s_load_dword s44, s[34:35], 0x168
	s_cmp_lg_u32 s33, 0
	s_load_dwordx4 s[36:39], s[34:35], 0xc4
	s_load_dwordx4 s[24:27], s[34:35], 0x148
	s_cselect_b64 s[52:53], -1, 0
	s_add_u32 s50, s34, 0xc4
	s_addc_u32 s51, s35, 0
	s_min_u32 s75, s76, 15
	s_cmp_gt_u32 s33, 1
	s_cselect_b64 s[48:49], -1, 0
	s_waitcnt lgkmcnt(0)
	v_lshrrev_b16_e64 v6, 8, s44
	v_cmp_gt_i32_e32 vcc, s74, v10
	s_mov_b64 s[2:3], -1
	s_mov_b64 s[62:63], 0
	s_mov_b64 s[56:57], 0
	;; [unrolled: 1-line block ×3, first 2 shown]
	s_and_saveexec_b64 s[58:59], vcc
	s_cbranch_execz .LBB63_267
; %bb.2:
	s_andn2_b64 vcc, exec, s[40:41]
	s_cbranch_vccnz .LBB63_8
; %bb.3:
	s_mov_b32 s54, 0
	s_andn2_b64 vcc, exec, s[52:53]
	v_mov_b32_e32 v0, 0
	v_mov_b32_e32 v2, 0
	s_cbranch_vccnz .LBB63_14
; %bb.4:
	s_add_i32 s64, s75, 1
	s_cmp_eq_u32 s76, 2
	s_cbranch_scc1 .LBB63_9
; %bb.5:
	s_and_b32 s54, s64, 28
	s_mov_b32 s55, 0
	v_mov_b32_e32 v2, 0
	s_mov_b64 s[56:57], s[34:35]
	s_mov_b64 s[60:61], s[50:51]
	v_mov_b32_e32 v1, v10
	v_mov_b32_e32 v0, 0
.LBB63_6:                               ; =>This Inner Loop Header: Depth=1
	s_load_dwordx8 s[16:23], s[56:57], 0x4
	s_load_dwordx4 s[0:3], s[56:57], 0x24
	s_load_dwordx8 s[8:15], s[60:61], 0x0
	s_add_u32 s56, s56, 48
	s_addc_u32 s57, s57, 0
	s_waitcnt lgkmcnt(0)
	v_mul_hi_u32 v3, s17, v1
	v_add_u32_e32 v3, v1, v3
	v_lshrrev_b32_e32 v3, s18, v3
	v_mul_lo_u32 v4, v3, s16
	v_mul_hi_u32 v5, s20, v3
	v_sub_u32_e32 v1, v1, v4
	v_add_u32_e32 v4, v3, v5
	v_lshrrev_b32_e32 v4, s21, v4
	v_mul_lo_u32 v7, v4, s19
	v_mul_hi_u32 v8, s23, v4
	v_sub_u32_e32 v3, v3, v7
	v_add_u32_e32 v7, v4, v8
	v_mul_lo_u32 v5, v1, s9
	v_mul_lo_u32 v1, v1, s8
	;; [unrolled: 1-line block ×4, first 2 shown]
	v_lshrrev_b32_e32 v7, s0, v7
	v_add3_u32 v2, v1, v2, v3
	v_mul_lo_u32 v1, v7, s22
	v_mul_hi_u32 v3, s2, v7
	v_sub_u32_e32 v1, v4, v1
	v_add_u32_e32 v3, v7, v3
	v_add3_u32 v0, v5, v0, v8
	v_mul_lo_u32 v4, v1, s12
	v_mul_lo_u32 v5, v1, s13
	v_lshrrev_b32_e32 v1, s3, v3
	s_add_i32 s55, s55, 4
	v_mul_lo_u32 v3, v1, s1
	s_add_u32 s60, s60, 32
	v_sub_u32_e32 v3, v7, v3
	s_addc_u32 s61, s61, 0
	v_mul_lo_u32 v7, v3, s14
	v_mul_lo_u32 v3, v3, s15
	s_cmp_lg_u32 s54, s55
	v_add3_u32 v0, v5, v0, v3
	v_add3_u32 v2, v4, v2, v7
	s_cbranch_scc1 .LBB63_6
; %bb.7:
	v_mov_b32_e32 v3, v0
	s_branch .LBB63_10
.LBB63_8:
                                        ; implicit-def: $vgpr0
                                        ; implicit-def: $vgpr2
	s_branch .LBB63_15
.LBB63_9:
	s_mov_b32 s55, s54
	v_pk_mov_b32 v[2:3], s[54:55], s[54:55] op_sel:[0,1]
                                        ; implicit-def: $vgpr0
	v_mov_b32_e32 v1, v10
.LBB63_10:
	s_and_b32 s8, s64, 3
	s_cmp_eq_u32 s8, 0
	s_cbranch_scc1 .LBB63_14
; %bb.11:
	s_lshl_b32 s0, s54, 3
	s_add_u32 s0, s0, s34
	s_addc_u32 s1, s35, 0
	s_add_u32 s0, s0, 0xc4
	s_addc_u32 s1, s1, 0
	s_mul_i32 s2, s54, 12
	s_add_u32 s2, s34, s2
	s_addc_u32 s3, s35, 0
.LBB63_12:                              ; =>This Inner Loop Header: Depth=1
	s_load_dwordx2 s[10:11], s[2:3], 0x4
	s_load_dword s9, s[2:3], 0xc
	s_load_dwordx2 s[12:13], s[0:1], 0x0
	v_mov_b32_e32 v0, v3
	s_add_u32 s2, s2, 12
	s_waitcnt lgkmcnt(0)
	v_mul_hi_u32 v3, s11, v1
	v_add_u32_e32 v3, v1, v3
	v_lshrrev_b32_e32 v3, s9, v3
	s_addc_u32 s3, s3, 0
	v_mul_lo_u32 v4, v3, s10
	s_add_u32 s0, s0, 8
	v_sub_u32_e32 v7, v1, v4
	v_mov_b32_e32 v1, v3
	s_addc_u32 s1, s1, 0
	s_add_i32 s8, s8, -1
	v_mad_u64_u32 v[4:5], s[10:11], v7, s13, v[0:1]
	v_mad_u64_u32 v[2:3], s[10:11], v7, s12, v[2:3]
	s_cmp_lg_u32 s8, 0
	v_mov_b32_e32 v3, v4
	s_cbranch_scc1 .LBB63_12
; %bb.13:
	v_mov_b32_e32 v0, v3
.LBB63_14:
	s_cbranch_execnz .LBB63_17
.LBB63_15:
	v_mul_hi_u32 v0, s29, v10
	v_add_u32_e32 v0, v10, v0
	v_lshrrev_b32_e32 v1, s30, v0
	v_mul_lo_u32 v0, v1, s28
	v_sub_u32_e32 v2, v10, v0
	v_mul_lo_u32 v0, v2, s37
	s_andn2_b64 vcc, exec, s[48:49]
	v_mul_lo_u32 v2, v2, s36
	s_cbranch_vccnz .LBB63_17
; %bb.16:
	v_mul_hi_u32 v3, s46, v1
	v_add_u32_e32 v3, v1, v3
	v_lshrrev_b32_e32 v3, s47, v3
	v_mul_lo_u32 v3, v3, s31
	v_sub_u32_e32 v1, v1, v3
	v_mad_u64_u32 v[2:3], s[0:1], v1, s38, v[2:3]
	v_mad_u64_u32 v[0:1], s[0:1], v1, s39, v[0:1]
.LBB63_17:
	v_mov_b32_e32 v1, s27
	v_add_co_u32_e32 v4, vcc, s26, v0
	v_addc_co_u32_e32 v5, vcc, 0, v1, vcc
	v_cmp_gt_i16_e32 vcc, 11, v6
	s_cbranch_vccnz .LBB63_24
; %bb.18:
	v_cmp_lt_i16_e32 vcc, 25, v6
	s_cbranch_vccz .LBB63_33
; %bb.19:
	v_cmp_lt_i16_e32 vcc, 28, v6
	s_cbranch_vccz .LBB63_36
	;; [unrolled: 3-line block ×4, first 2 shown]
; %bb.22:
	v_cmp_eq_u16_e32 vcc, 46, v6
	s_mov_b64 s[8:9], 0
	s_cbranch_vccz .LBB63_42
; %bb.23:
	global_load_dword v0, v[4:5], off
	s_mov_b64 s[0:1], -1
	s_mov_b64 s[2:3], 0
	s_waitcnt vmcnt(0)
	v_lshlrev_b32_e32 v0, 16, v0
	v_cvt_f64_f32_e32 v[0:1], v0
	s_branch .LBB63_44
.LBB63_24:
	s_mov_b64 s[2:3], 0
                                        ; implicit-def: $vgpr0_vgpr1
	s_mov_b64 s[0:1], 0
	s_cbranch_execnz .LBB63_217
.LBB63_25:
	s_andn2_b64 vcc, exec, s[0:1]
	s_cbranch_vccnz .LBB63_264
.LBB63_26:
	s_brev_b32 s0, -2
	v_mov_b32_e32 v3, s45
	s_waitcnt vmcnt(0)
	v_bfi_b32 v1, s0, v1, v3
	v_mov_b32_e32 v3, s25
	v_add_co_u32_e32 v4, vcc, s24, v2
	v_mov_b32_e32 v2, 11
	v_addc_co_u32_e32 v5, vcc, 0, v3, vcc
	v_cmp_lt_i16_sdwa s[0:1], s44, v2 src0_sel:BYTE_0 src1_sel:DWORD
	s_and_b64 vcc, exec, s[0:1]
	s_cbranch_vccnz .LBB63_34
; %bb.27:
	v_mov_b32_e32 v2, 25
	v_cmp_gt_i16_sdwa s[0:1], s44, v2 src0_sel:BYTE_0 src1_sel:DWORD
	s_and_b64 vcc, exec, s[0:1]
	s_cbranch_vccz .LBB63_37
; %bb.28:
	v_mov_b32_e32 v2, 28
	v_cmp_gt_i16_sdwa s[0:1], s44, v2 src0_sel:BYTE_0 src1_sel:DWORD
	s_and_b64 vcc, exec, s[0:1]
	s_cbranch_vccz .LBB63_39
	;; [unrolled: 5-line block ×4, first 2 shown]
; %bb.31:
	v_mov_b32_e32 v2, 46
	v_cmp_eq_u16_sdwa s[8:9], s44, v2 src0_sel:BYTE_0 src1_sel:DWORD
	s_mov_b64 s[10:11], 0
	s_mov_b64 s[0:1], -1
	s_and_b64 vcc, exec, s[8:9]
	s_mov_b64 s[8:9], 0
	s_cbranch_vccz .LBB63_48
; %bb.32:
	v_cvt_f32_f64_e32 v2, v[0:1]
	v_bfe_u32 v3, v2, 16, 1
	s_movk_i32 s0, 0x7fff
	v_add3_u32 v3, v2, v3, s0
	v_lshrrev_b32_e32 v3, 16, v3
	v_mov_b32_e32 v7, 0x7fc0
	v_cmp_o_f32_e32 vcc, v2, v2
	v_cndmask_b32_e32 v2, v7, v3, vcc
	global_store_dword v[4:5], v2, off
	s_mov_b64 s[8:9], -1
	s_mov_b64 s[0:1], 0
	s_branch .LBB63_48
.LBB63_33:
	s_mov_b64 s[2:3], 0
	s_mov_b64 s[0:1], 0
                                        ; implicit-def: $vgpr0_vgpr1
	s_cbranch_execnz .LBB63_182
	s_branch .LBB63_216
.LBB63_34:
	s_mov_b64 s[0:1], 0
	s_mov_b64 s[8:9], 0
	s_cbranch_execnz .LBB63_117
.LBB63_35:
	s_andn2_b64 vcc, exec, s[8:9]
	s_cbranch_vccnz .LBB63_265
	s_branch .LBB63_155
.LBB63_36:
	s_mov_b64 s[8:9], -1
	s_mov_b64 s[2:3], 0
	s_mov_b64 s[0:1], 0
                                        ; implicit-def: $vgpr0_vgpr1
	s_branch .LBB63_163
.LBB63_37:
	s_mov_b64 s[10:11], -1
	s_mov_b64 s[0:1], 0
	s_mov_b64 s[8:9], 0
	s_branch .LBB63_75
.LBB63_38:
	s_mov_b64 s[8:9], -1
	s_mov_b64 s[2:3], 0
	s_mov_b64 s[0:1], 0
                                        ; implicit-def: $vgpr0_vgpr1
	s_branch .LBB63_158
.LBB63_39:
	s_mov_b64 s[10:11], -1
	s_mov_b64 s[0:1], 0
	s_mov_b64 s[8:9], 0
	s_branch .LBB63_58
.LBB63_40:
	s_mov_b64 s[8:9], -1
	s_mov_b64 s[2:3], 0
	s_branch .LBB63_43
.LBB63_41:
	s_mov_b64 s[10:11], -1
	s_mov_b64 s[0:1], 0
	s_mov_b64 s[8:9], 0
	s_branch .LBB63_54
.LBB63_42:
	s_mov_b64 s[2:3], -1
.LBB63_43:
	s_mov_b64 s[0:1], 0
                                        ; implicit-def: $vgpr0_vgpr1
.LBB63_44:
	s_and_b64 vcc, exec, s[8:9]
	s_cbranch_vccz .LBB63_157
; %bb.45:
	v_cmp_eq_u16_e32 vcc, 44, v6
	s_cbranch_vccz .LBB63_156
; %bb.46:
	global_load_ubyte v3, v[4:5], off
	s_movk_i32 s2, 0xff
	v_bfrev_b32_e32 v7, 4
	v_mov_b32_e32 v8, 0x7ff80000
	v_bfrev_b32_e32 v9, 28
	s_mov_b64 s[0:1], -1
	s_waitcnt vmcnt(0)
	v_lshlrev_b32_e32 v0, 23, v3
	v_cvt_f64_f32_e32 v[0:1], v0
	v_cmp_ne_u32_e32 vcc, s2, v3
	v_cndmask_b32_e32 v0, v7, v0, vcc
	v_cndmask_b32_e32 v1, v8, v1, vcc
	v_cmp_ne_u32_e32 vcc, 0, v3
	v_cndmask_b32_e32 v1, v9, v1, vcc
	v_cndmask_b32_e32 v0, 0, v0, vcc
	s_mov_b64 s[2:3], 0
	s_branch .LBB63_157
.LBB63_47:
	s_mov_b64 s[10:11], -1
	s_mov_b64 s[0:1], 0
	s_mov_b64 s[8:9], 0
.LBB63_48:
	s_and_b64 vcc, exec, s[10:11]
	s_cbranch_vccz .LBB63_53
; %bb.49:
	v_mov_b32_e32 v2, 44
	v_cmp_eq_u16_sdwa s[10:11], s44, v2 src0_sel:BYTE_0 src1_sel:DWORD
	s_mov_b64 s[0:1], -1
	s_and_b64 vcc, exec, s[10:11]
	s_cbranch_vccz .LBB63_53
; %bb.50:
	v_cvt_f32_f64_e32 v2, v[0:1]
	v_bfe_u32 v3, v2, 23, 8
	s_movk_i32 s0, 0xff
	v_cmp_ne_u32_e32 vcc, s0, v3
	v_mov_b32_e32 v7, 0xff
	s_and_saveexec_b64 s[8:9], vcc
; %bb.51:
	s_mov_b32 s0, 0x3fffff
	v_lshrrev_b32_e32 v7, 23, v2
	v_and_b32_e32 v8, 0x400000, v2
	v_and_or_b32 v2, v2, s0, v3
	v_cmp_ne_u32_e32 vcc, 0, v8
	v_cmp_ne_u32_e64 s[0:1], 0, v2
	s_and_b64 s[0:1], vcc, s[0:1]
	v_cndmask_b32_e64 v2, 0, 1, s[0:1]
	v_add_u32_e32 v7, v7, v2
; %bb.52:
	s_or_b64 exec, exec, s[8:9]
	s_mov_b64 s[8:9], -1
	s_mov_b64 s[0:1], 0
	global_store_byte v[4:5], v7, off
.LBB63_53:
	s_mov_b64 s[10:11], 0
.LBB63_54:
	s_and_b64 vcc, exec, s[10:11]
	s_cbranch_vccz .LBB63_57
; %bb.55:
	v_mov_b32_e32 v2, 29
	v_cmp_eq_u16_sdwa s[10:11], s44, v2 src0_sel:BYTE_0 src1_sel:DWORD
	s_mov_b64 s[0:1], -1
	s_and_b64 vcc, exec, s[10:11]
	s_cbranch_vccz .LBB63_57
; %bb.56:
	v_trunc_f64_e32 v[2:3], v[0:1]
	s_movk_i32 s0, 0xffe0
	v_ldexp_f64 v[8:9], v[2:3], s0
	v_floor_f64_e32 v[8:9], v[8:9]
	v_fmac_f64_e32 v[2:3], 0xc1f00000, v[8:9]
	v_cvt_u32_f64_e32 v13, v[8:9]
	v_cvt_u32_f64_e32 v12, v[2:3]
	global_store_dwordx2 v[4:5], v[12:13], off
	s_mov_b64 s[8:9], -1
	s_mov_b64 s[0:1], 0
.LBB63_57:
	s_mov_b64 s[10:11], 0
.LBB63_58:
	s_and_b64 vcc, exec, s[10:11]
	s_cbranch_vccz .LBB63_74
; %bb.59:
	v_mov_b32_e32 v2, 27
	v_cmp_lt_i16_sdwa s[10:11], s44, v2 src0_sel:BYTE_0 src1_sel:DWORD
	s_mov_b64 s[8:9], -1
	s_and_b64 vcc, exec, s[10:11]
	s_cbranch_vccnz .LBB63_65
; %bb.60:
	v_cmp_gt_i16_sdwa s[10:11], s44, v2 src0_sel:BYTE_0 src1_sel:DWORD
	s_and_b64 vcc, exec, s[10:11]
	v_cvt_u32_f64_e32 v2, v[0:1]
	s_cbranch_vccz .LBB63_62
; %bb.61:
	s_mov_b64 s[8:9], 0
	global_store_dword v[4:5], v2, off
.LBB63_62:
	s_andn2_b64 vcc, exec, s[8:9]
	s_cbranch_vccnz .LBB63_64
; %bb.63:
	global_store_short v[4:5], v2, off
.LBB63_64:
	s_mov_b64 s[8:9], 0
.LBB63_65:
	s_andn2_b64 vcc, exec, s[8:9]
	s_cbranch_vccnz .LBB63_73
; %bb.66:
	v_cvt_f32_f64_e32 v2, v[0:1]
	v_and_b32_e32 v3, 0x7fffffff, v2
	s_mov_b32 s8, 0x43800000
	v_cmp_gt_u32_e32 vcc, s8, v3
	v_mov_b32_e32 v7, 0x80
	s_and_saveexec_b64 s[8:9], vcc
	s_cbranch_execz .LBB63_72
; %bb.67:
	s_mov_b32 s10, 0x3bffffff
	v_cmp_lt_u32_e32 vcc, s10, v3
	s_mov_b64 s[10:11], 0
                                        ; implicit-def: $vgpr3
	s_and_saveexec_b64 s[12:13], vcc
	s_xor_b64 s[12:13], exec, s[12:13]
	s_cbranch_execz .LBB63_309
; %bb.68:
	v_bfe_u32 v3, v2, 20, 1
	s_mov_b32 s14, 0x487ffff
	v_add3_u32 v3, v2, v3, s14
	s_mov_b64 s[10:11], exec
	v_lshrrev_b32_e32 v3, 20, v3
	s_or_saveexec_b64 s[12:13], s[12:13]
                                        ; implicit-def: $sgpr14
	s_xor_b64 exec, exec, s[12:13]
	s_cbranch_execnz .LBB63_310
.LBB63_69:
	s_or_b64 exec, exec, s[12:13]
	v_mov_b32_e32 v7, s14
	s_and_saveexec_b64 s[12:13], s[10:11]
.LBB63_70:
	v_lshrrev_b32_e32 v2, 24, v2
	s_movk_i32 s10, 0x80
	v_and_or_b32 v7, v2, s10, v3
.LBB63_71:
	s_or_b64 exec, exec, s[12:13]
.LBB63_72:
	s_or_b64 exec, exec, s[8:9]
	global_store_byte v[4:5], v7, off
.LBB63_73:
	s_mov_b64 s[8:9], -1
.LBB63_74:
	s_mov_b64 s[10:11], 0
.LBB63_75:
	s_and_b64 vcc, exec, s[10:11]
	s_cbranch_vccz .LBB63_116
; %bb.76:
	v_mov_b32_e32 v2, 22
	v_cmp_gt_i16_sdwa s[12:13], s44, v2 src0_sel:BYTE_0 src1_sel:DWORD
	s_mov_b64 s[10:11], -1
	s_and_b64 vcc, exec, s[12:13]
	s_cbranch_vccz .LBB63_108
; %bb.77:
	v_mov_b32_e32 v2, 24
	v_cmp_lt_i16_sdwa s[10:11], s44, v2 src0_sel:BYTE_0 src1_sel:DWORD
	s_mov_b64 s[8:9], -1
	s_and_b64 vcc, exec, s[10:11]
	s_cbranch_vccnz .LBB63_97
; %bb.78:
	v_cmp_gt_i16_sdwa s[10:11], s44, v2 src0_sel:BYTE_0 src1_sel:DWORD
	s_and_b64 vcc, exec, s[10:11]
	s_cbranch_vccz .LBB63_86
; %bb.79:
	v_cvt_f32_f64_e32 v2, v[0:1]
	v_and_b32_e32 v3, 0x7fffffff, v2
	s_mov_b32 s8, 0x47800000
	v_cmp_gt_u32_e32 vcc, s8, v3
	v_mov_b32_e32 v7, 0x80
	s_and_saveexec_b64 s[8:9], vcc
	s_cbranch_execz .LBB63_85
; %bb.80:
	s_mov_b32 s10, 0x37ffffff
	v_cmp_lt_u32_e32 vcc, s10, v3
	s_mov_b64 s[10:11], 0
                                        ; implicit-def: $vgpr3
	s_and_saveexec_b64 s[12:13], vcc
	s_xor_b64 s[12:13], exec, s[12:13]
	s_cbranch_execz .LBB63_313
; %bb.81:
	v_bfe_u32 v3, v2, 21, 1
	s_mov_b32 s14, 0x88fffff
	v_add3_u32 v3, v2, v3, s14
	s_mov_b64 s[10:11], exec
	v_lshrrev_b32_e32 v3, 21, v3
	s_or_saveexec_b64 s[12:13], s[12:13]
                                        ; implicit-def: $sgpr14
	s_xor_b64 exec, exec, s[12:13]
	s_cbranch_execnz .LBB63_314
.LBB63_82:
	s_or_b64 exec, exec, s[12:13]
	v_mov_b32_e32 v7, s14
	s_and_saveexec_b64 s[12:13], s[10:11]
.LBB63_83:
	v_lshrrev_b32_e32 v2, 24, v2
	s_movk_i32 s10, 0x80
	v_and_or_b32 v7, v2, s10, v3
.LBB63_84:
	s_or_b64 exec, exec, s[12:13]
.LBB63_85:
	s_or_b64 exec, exec, s[8:9]
	s_mov_b64 s[8:9], 0
	global_store_byte v[4:5], v7, off
.LBB63_86:
	s_and_b64 vcc, exec, s[8:9]
	s_cbranch_vccz .LBB63_96
; %bb.87:
	v_cvt_f32_f64_e32 v2, v[0:1]
	v_and_b32_e32 v7, 0x7fffffff, v2
	s_mov_b32 s8, 0x43f00000
	v_cmp_gt_u32_e32 vcc, s8, v7
                                        ; implicit-def: $vgpr3
	s_and_saveexec_b64 s[8:9], vcc
	s_xor_b64 s[8:9], exec, s[8:9]
	s_cbranch_execz .LBB63_93
; %bb.88:
	s_mov_b32 s10, 0x3c7fffff
	v_cmp_lt_u32_e32 vcc, s10, v7
                                        ; implicit-def: $vgpr3
	s_and_saveexec_b64 s[10:11], vcc
	s_xor_b64 s[10:11], exec, s[10:11]
; %bb.89:
	v_bfe_u32 v3, v2, 20, 1
	s_mov_b32 s12, 0x407ffff
	v_add3_u32 v3, v2, v3, s12
	v_lshrrev_b32_e32 v7, 20, v3
	v_and_b32_e32 v3, 0xff00000, v3
	s_mov_b32 s12, 0x7f00000
	v_mov_b32_e32 v8, 0x7e
	v_cmp_ne_u32_e32 vcc, s12, v3
	v_cndmask_b32_e32 v3, v8, v7, vcc
; %bb.90:
	s_andn2_saveexec_b64 s[10:11], s[10:11]
; %bb.91:
	s_mov_b32 s12, 0x46800000
	v_add_f32_e64 v3, |v2|, s12
; %bb.92:
	s_or_b64 exec, exec, s[10:11]
                                        ; implicit-def: $vgpr7
.LBB63_93:
	s_andn2_saveexec_b64 s[8:9], s[8:9]
; %bb.94:
	s_mov_b32 s10, 0x7f800000
	v_mov_b32_e32 v3, 0x7e
	v_mov_b32_e32 v8, 0x7f
	v_cmp_lt_u32_e32 vcc, s10, v7
	v_cndmask_b32_e32 v3, v3, v8, vcc
; %bb.95:
	s_or_b64 exec, exec, s[8:9]
	v_lshrrev_b32_e32 v2, 24, v2
	s_movk_i32 s8, 0x80
	v_and_or_b32 v2, v2, s8, v3
	global_store_byte v[4:5], v2, off
.LBB63_96:
	s_mov_b64 s[8:9], 0
.LBB63_97:
	s_andn2_b64 vcc, exec, s[8:9]
	s_cbranch_vccnz .LBB63_107
; %bb.98:
	v_cvt_f32_f64_e32 v2, v[0:1]
	v_and_b32_e32 v7, 0x7fffffff, v2
	s_mov_b32 s8, 0x47800000
	v_cmp_gt_u32_e32 vcc, s8, v7
                                        ; implicit-def: $vgpr3
	s_and_saveexec_b64 s[8:9], vcc
	s_xor_b64 s[8:9], exec, s[8:9]
	s_cbranch_execz .LBB63_104
; %bb.99:
	s_mov_b32 s10, 0x387fffff
	v_cmp_lt_u32_e32 vcc, s10, v7
                                        ; implicit-def: $vgpr3
	s_and_saveexec_b64 s[10:11], vcc
	s_xor_b64 s[10:11], exec, s[10:11]
; %bb.100:
	v_bfe_u32 v3, v2, 21, 1
	s_mov_b32 s12, 0x80fffff
	v_add3_u32 v3, v2, v3, s12
	v_lshrrev_b32_e32 v3, 21, v3
; %bb.101:
	s_andn2_saveexec_b64 s[10:11], s[10:11]
; %bb.102:
	s_mov_b32 s12, 0x43000000
	v_add_f32_e64 v3, |v2|, s12
; %bb.103:
	s_or_b64 exec, exec, s[10:11]
                                        ; implicit-def: $vgpr7
.LBB63_104:
	s_andn2_saveexec_b64 s[8:9], s[8:9]
; %bb.105:
	s_mov_b32 s10, 0x7f800000
	v_mov_b32_e32 v3, 0x7c
	v_mov_b32_e32 v8, 0x7f
	v_cmp_lt_u32_e32 vcc, s10, v7
	v_cndmask_b32_e32 v3, v3, v8, vcc
; %bb.106:
	s_or_b64 exec, exec, s[8:9]
	v_lshrrev_b32_e32 v2, 24, v2
	s_movk_i32 s8, 0x80
	v_and_or_b32 v2, v2, s8, v3
	global_store_byte v[4:5], v2, off
.LBB63_107:
	s_mov_b64 s[10:11], 0
	s_mov_b64 s[8:9], -1
.LBB63_108:
	s_andn2_b64 vcc, exec, s[10:11]
	s_cbranch_vccnz .LBB63_116
; %bb.109:
	v_mov_b32_e32 v2, 14
	v_cmp_gt_i16_sdwa s[12:13], s44, v2 src0_sel:BYTE_0 src1_sel:DWORD
	s_mov_b64 s[10:11], -1
	s_and_b64 vcc, exec, s[12:13]
	s_cbranch_vccz .LBB63_113
; %bb.110:
	v_mov_b32_e32 v2, 15
	v_cmp_eq_u16_sdwa s[10:11], s44, v2 src0_sel:BYTE_0 src1_sel:DWORD
	s_mov_b64 s[0:1], -1
	s_and_b64 vcc, exec, s[10:11]
	s_cbranch_vccz .LBB63_112
; %bb.111:
	v_cvt_f32_f64_e32 v2, v[0:1]
	v_bfe_u32 v3, v2, 16, 1
	s_movk_i32 s0, 0x7fff
	v_add3_u32 v3, v2, v3, s0
	v_lshrrev_b32_e32 v3, 16, v3
	v_mov_b32_e32 v7, 0x7fc0
	v_cmp_o_f32_e32 vcc, v2, v2
	v_cndmask_b32_e32 v2, v7, v3, vcc
	global_store_short v[4:5], v2, off
	s_mov_b64 s[8:9], -1
	s_mov_b64 s[0:1], 0
.LBB63_112:
	s_mov_b64 s[10:11], 0
.LBB63_113:
	s_and_b64 vcc, exec, s[10:11]
	s_cbranch_vccz .LBB63_116
; %bb.114:
	v_mov_b32_e32 v2, 11
	v_cmp_eq_u16_sdwa s[10:11], s44, v2 src0_sel:BYTE_0 src1_sel:DWORD
	s_mov_b64 s[0:1], -1
	s_and_b64 vcc, exec, s[10:11]
	s_cbranch_vccz .LBB63_116
; %bb.115:
	v_cmp_neq_f64_e32 vcc, 0, v[0:1]
	s_mov_b64 s[0:1], 0
	v_cndmask_b32_e64 v2, 0, 1, vcc
	s_mov_b64 s[8:9], -1
	global_store_byte v[4:5], v2, off
.LBB63_116:
	s_branch .LBB63_35
.LBB63_117:
	v_mov_b32_e32 v2, 5
	v_cmp_lt_i16_sdwa s[10:11], s44, v2 src0_sel:BYTE_0 src1_sel:DWORD
	s_mov_b64 s[8:9], -1
	s_and_b64 vcc, exec, s[10:11]
	s_cbranch_vccnz .LBB63_138
; %bb.118:
	v_mov_b32_e32 v2, 8
	v_cmp_lt_i16_sdwa s[10:11], s44, v2 src0_sel:BYTE_0 src1_sel:DWORD
	s_and_b64 vcc, exec, s[10:11]
	s_cbranch_vccnz .LBB63_128
; %bb.119:
	v_mov_b32_e32 v2, 9
	v_cmp_lt_i16_sdwa s[10:11], s44, v2 src0_sel:BYTE_0 src1_sel:DWORD
	s_and_b64 vcc, exec, s[10:11]
	s_cbranch_vccnz .LBB63_125
; %bb.120:
	v_cmp_gt_i16_sdwa s[10:11], s44, v2 src0_sel:BYTE_0 src1_sel:DWORD
	s_and_b64 vcc, exec, s[10:11]
	s_cbranch_vccz .LBB63_122
; %bb.121:
	v_mov_b32_e32 v2, 0
	v_mov_b32_e32 v3, v2
	global_store_dwordx4 v[4:5], v[0:3], off
	s_mov_b64 s[8:9], 0
.LBB63_122:
	s_andn2_b64 vcc, exec, s[8:9]
	s_cbranch_vccnz .LBB63_124
; %bb.123:
	v_cvt_f32_f64_e32 v2, v[0:1]
	v_mov_b32_e32 v3, 0
	global_store_dwordx2 v[4:5], v[2:3], off
.LBB63_124:
	s_mov_b64 s[8:9], 0
.LBB63_125:
	s_andn2_b64 vcc, exec, s[8:9]
	s_cbranch_vccnz .LBB63_127
; %bb.126:
	v_cvt_f32_f64_e32 v2, v[0:1]
	v_cvt_f16_f32_e32 v2, v2
	global_store_dword v[4:5], v2, off
.LBB63_127:
	s_mov_b64 s[8:9], 0
.LBB63_128:
	s_andn2_b64 vcc, exec, s[8:9]
	s_cbranch_vccnz .LBB63_137
; %bb.129:
	v_mov_b32_e32 v2, 6
	v_cmp_lt_i16_sdwa s[10:11], s44, v2 src0_sel:BYTE_0 src1_sel:DWORD
	s_mov_b64 s[8:9], -1
	s_and_b64 vcc, exec, s[10:11]
	s_cbranch_vccnz .LBB63_135
; %bb.130:
	v_cmp_gt_i16_sdwa s[10:11], s44, v2 src0_sel:BYTE_0 src1_sel:DWORD
	s_and_b64 vcc, exec, s[10:11]
	s_cbranch_vccz .LBB63_132
; %bb.131:
	global_store_dwordx2 v[4:5], v[0:1], off
	s_mov_b64 s[8:9], 0
.LBB63_132:
	s_andn2_b64 vcc, exec, s[8:9]
	s_cbranch_vccnz .LBB63_134
; %bb.133:
	v_cvt_f32_f64_e32 v2, v[0:1]
	global_store_dword v[4:5], v2, off
.LBB63_134:
	s_mov_b64 s[8:9], 0
.LBB63_135:
	s_andn2_b64 vcc, exec, s[8:9]
	s_cbranch_vccnz .LBB63_137
; %bb.136:
	v_cvt_f32_f64_e32 v2, v[0:1]
	v_cvt_f16_f32_e32 v2, v2
	global_store_short v[4:5], v2, off
.LBB63_137:
	s_mov_b64 s[8:9], 0
.LBB63_138:
	s_andn2_b64 vcc, exec, s[8:9]
	s_cbranch_vccnz .LBB63_154
; %bb.139:
	v_mov_b32_e32 v2, 2
	v_cmp_lt_i16_sdwa s[10:11], s44, v2 src0_sel:BYTE_0 src1_sel:DWORD
	s_mov_b64 s[8:9], -1
	s_and_b64 vcc, exec, s[10:11]
	s_cbranch_vccnz .LBB63_149
; %bb.140:
	v_mov_b32_e32 v2, 3
	v_cmp_lt_i16_sdwa s[10:11], s44, v2 src0_sel:BYTE_0 src1_sel:DWORD
	s_and_b64 vcc, exec, s[10:11]
	s_cbranch_vccnz .LBB63_146
; %bb.141:
	v_cmp_gt_i16_sdwa s[10:11], s44, v2 src0_sel:BYTE_0 src1_sel:DWORD
	s_and_b64 vcc, exec, s[10:11]
	s_cbranch_vccz .LBB63_143
; %bb.142:
	v_trunc_f64_e32 v[2:3], v[0:1]
	s_movk_i32 s8, 0xffe0
	v_ldexp_f64 v[8:9], v[2:3], s8
	v_floor_f64_e32 v[8:9], v[8:9]
	v_fmac_f64_e32 v[2:3], 0xc1f00000, v[8:9]
	v_cvt_i32_f64_e32 v13, v[8:9]
	v_cvt_u32_f64_e32 v12, v[2:3]
	global_store_dwordx2 v[4:5], v[12:13], off
	s_mov_b64 s[8:9], 0
.LBB63_143:
	s_andn2_b64 vcc, exec, s[8:9]
	s_cbranch_vccnz .LBB63_145
; %bb.144:
	v_cvt_i32_f64_e32 v2, v[0:1]
	global_store_dword v[4:5], v2, off
.LBB63_145:
	s_mov_b64 s[8:9], 0
.LBB63_146:
	s_andn2_b64 vcc, exec, s[8:9]
	s_cbranch_vccnz .LBB63_148
; %bb.147:
	v_cvt_i32_f64_e32 v2, v[0:1]
	global_store_short v[4:5], v2, off
.LBB63_148:
	s_mov_b64 s[8:9], 0
.LBB63_149:
	s_andn2_b64 vcc, exec, s[8:9]
	s_cbranch_vccnz .LBB63_154
; %bb.150:
	v_mov_b32_e32 v2, 0
	v_cmp_gt_i16_sdwa s[10:11], s44, v2 src0_sel:BYTE_0 src1_sel:DWORD
	s_mov_b64 s[8:9], -1
	s_and_b64 vcc, exec, s[10:11]
	s_cbranch_vccz .LBB63_152
; %bb.151:
	v_cvt_i32_f64_e32 v2, v[0:1]
	global_store_byte v[4:5], v2, off
	s_mov_b64 s[8:9], 0
.LBB63_152:
	s_andn2_b64 vcc, exec, s[8:9]
	s_cbranch_vccnz .LBB63_154
; %bb.153:
	v_trunc_f64_e32 v[0:1], v[0:1]
	s_movk_i32 s8, 0xffe0
	v_ldexp_f64 v[2:3], v[0:1], s8
	v_floor_f64_e32 v[2:3], v[2:3]
	v_fmac_f64_e32 v[0:1], 0xc1f00000, v[2:3]
	v_cvt_u32_f64_e32 v0, v[0:1]
	global_store_byte v[4:5], v0, off
.LBB63_154:
.LBB63_155:
	v_add_u32_e32 v10, 0x80, v10
	s_mov_b64 s[8:9], -1
	s_branch .LBB63_266
.LBB63_156:
	s_mov_b64 s[2:3], -1
                                        ; implicit-def: $vgpr0_vgpr1
.LBB63_157:
	s_mov_b64 s[8:9], 0
.LBB63_158:
	s_and_b64 vcc, exec, s[8:9]
	s_cbranch_vccz .LBB63_162
; %bb.159:
	v_cmp_eq_u16_e32 vcc, 29, v6
	s_cbranch_vccz .LBB63_161
; %bb.160:
	global_load_dwordx2 v[0:1], v[4:5], off
	s_mov_b64 s[0:1], -1
	s_mov_b64 s[2:3], 0
	s_mov_b64 s[8:9], 0
	s_waitcnt vmcnt(0)
	v_cvt_f64_u32_e32 v[8:9], v1
	v_cvt_f64_u32_e32 v[0:1], v0
	v_ldexp_f64 v[8:9], v[8:9], 32
	v_add_f64 v[0:1], v[8:9], v[0:1]
	s_branch .LBB63_163
.LBB63_161:
	s_mov_b64 s[2:3], -1
                                        ; implicit-def: $vgpr0_vgpr1
.LBB63_162:
	s_mov_b64 s[8:9], 0
.LBB63_163:
	s_and_b64 vcc, exec, s[8:9]
	s_cbranch_vccz .LBB63_181
; %bb.164:
	v_cmp_gt_i16_e32 vcc, 27, v6
	s_cbranch_vccnz .LBB63_167
; %bb.165:
	v_cmp_lt_i16_e32 vcc, 27, v6
	s_cbranch_vccz .LBB63_168
; %bb.166:
	global_load_dword v0, v[4:5], off
	s_mov_b64 s[0:1], 0
	s_waitcnt vmcnt(0)
	v_cvt_f64_u32_e32 v[0:1], v0
	s_branch .LBB63_169
.LBB63_167:
	s_mov_b64 s[0:1], -1
                                        ; implicit-def: $vgpr0_vgpr1
	s_branch .LBB63_172
.LBB63_168:
	s_mov_b64 s[0:1], -1
                                        ; implicit-def: $vgpr0_vgpr1
.LBB63_169:
	s_andn2_b64 vcc, exec, s[0:1]
	s_cbranch_vccnz .LBB63_171
; %bb.170:
	global_load_ushort v0, v[4:5], off
	s_waitcnt vmcnt(0)
	v_cvt_f64_u32_e32 v[0:1], v0
.LBB63_171:
	s_mov_b64 s[0:1], 0
.LBB63_172:
	s_andn2_b64 vcc, exec, s[0:1]
	s_cbranch_vccnz .LBB63_180
; %bb.173:
	global_load_ubyte v3, v[4:5], off
	s_movk_i32 s0, 0x7f
                                        ; implicit-def: $sgpr8_sgpr9
	s_waitcnt vmcnt(0)
	v_cmp_lt_i16_e32 vcc, s0, v3
	s_mov_b64 s[0:1], 0
	s_and_saveexec_b64 s[10:11], vcc
	s_xor_b64 s[10:11], exec, s[10:11]
	s_cbranch_execz .LBB63_193
; %bb.174:
	s_movk_i32 s0, 0x80
	v_cmp_eq_u16_e32 vcc, s0, v3
	s_mov_b64 s[12:13], -1
                                        ; implicit-def: $sgpr8_sgpr9
	s_and_saveexec_b64 s[0:1], vcc
; %bb.175:
	s_mov_b32 s9, 0x7ff80000
	s_brev_b32 s8, 4
	s_xor_b64 s[12:13], exec, -1
; %bb.176:
	s_or_b64 exec, exec, s[0:1]
	s_and_b64 s[0:1], s[12:13], exec
	s_or_saveexec_b64 s[10:11], s[10:11]
	v_pk_mov_b32 v[0:1], s[8:9], s[8:9] op_sel:[0,1]
	s_xor_b64 exec, exec, s[10:11]
	s_cbranch_execnz .LBB63_194
.LBB63_177:
	s_or_b64 exec, exec, s[10:11]
	s_and_saveexec_b64 s[8:9], s[0:1]
	s_cbranch_execz .LBB63_179
.LBB63_178:
	v_and_b32_e32 v1, 0xffff, v3
	v_lshlrev_b32_e32 v0, 24, v3
	v_and_b32_e32 v3, 7, v1
	v_ffbh_u32_e32 v8, v3
	v_min_u32_e32 v8, 32, v8
	v_subrev_u32_e32 v9, 28, v8
	v_bfe_u32 v7, v1, 3, 4
	v_lshlrev_b32_e32 v1, v9, v1
	v_sub_u32_e32 v8, 29, v8
	v_and_b32_e32 v1, 7, v1
	v_cmp_eq_u32_e32 vcc, 0, v7
	v_cndmask_b32_e32 v7, v7, v8, vcc
	v_cndmask_b32_e32 v1, v3, v1, vcc
	v_mov_b32_e32 v3, 0x3b800000
	v_lshlrev_b32_e32 v1, 20, v1
	v_and_b32_e32 v0, 0x80000000, v0
	v_lshl_add_u32 v3, v7, 23, v3
	v_or3_b32 v0, v0, v3, v1
	v_cvt_f64_f32_e32 v[0:1], v0
.LBB63_179:
	s_or_b64 exec, exec, s[8:9]
.LBB63_180:
	s_mov_b64 s[0:1], -1
.LBB63_181:
	s_branch .LBB63_216
.LBB63_182:
	v_cmp_lt_i16_e32 vcc, 22, v6
	s_cbranch_vccz .LBB63_192
; %bb.183:
	v_cmp_gt_i16_e32 vcc, 24, v6
	s_cbranch_vccnz .LBB63_195
; %bb.184:
	v_cmp_lt_i16_e32 vcc, 24, v6
	s_cbranch_vccz .LBB63_196
; %bb.185:
	global_load_ubyte v3, v[4:5], off
	s_movk_i32 s0, 0x7f
                                        ; implicit-def: $sgpr8_sgpr9
	s_waitcnt vmcnt(0)
	v_cmp_lt_i16_e32 vcc, s0, v3
	s_mov_b64 s[0:1], 0
	s_and_saveexec_b64 s[10:11], vcc
	s_xor_b64 s[10:11], exec, s[10:11]
	s_cbranch_execz .LBB63_208
; %bb.186:
	s_movk_i32 s0, 0x80
	v_cmp_eq_u16_e32 vcc, s0, v3
	s_mov_b64 s[12:13], -1
                                        ; implicit-def: $sgpr8_sgpr9
	s_and_saveexec_b64 s[0:1], vcc
; %bb.187:
	s_mov_b32 s9, 0x7ff80000
	s_brev_b32 s8, 4
	s_xor_b64 s[12:13], exec, -1
; %bb.188:
	s_or_b64 exec, exec, s[0:1]
	s_and_b64 s[0:1], s[12:13], exec
	s_or_saveexec_b64 s[10:11], s[10:11]
	v_pk_mov_b32 v[0:1], s[8:9], s[8:9] op_sel:[0,1]
	s_xor_b64 exec, exec, s[10:11]
	s_cbranch_execnz .LBB63_209
.LBB63_189:
	s_or_b64 exec, exec, s[10:11]
	s_and_saveexec_b64 s[8:9], s[0:1]
	s_cbranch_execz .LBB63_191
.LBB63_190:
	v_and_b32_e32 v1, 0xffff, v3
	v_lshlrev_b32_e32 v0, 24, v3
	v_and_b32_e32 v3, 3, v1
	v_ffbh_u32_e32 v8, v3
	v_min_u32_e32 v8, 32, v8
	v_subrev_u32_e32 v9, 29, v8
	v_bfe_u32 v7, v1, 2, 5
	v_lshlrev_b32_e32 v1, v9, v1
	v_sub_u32_e32 v8, 30, v8
	v_and_b32_e32 v1, 3, v1
	v_cmp_eq_u32_e32 vcc, 0, v7
	v_cndmask_b32_e32 v7, v7, v8, vcc
	v_cndmask_b32_e32 v1, v3, v1, vcc
	v_mov_b32_e32 v3, 0x37800000
	v_lshlrev_b32_e32 v1, 21, v1
	v_and_b32_e32 v0, 0x80000000, v0
	v_lshl_add_u32 v3, v7, 23, v3
	v_or3_b32 v0, v0, v3, v1
	v_cvt_f64_f32_e32 v[0:1], v0
.LBB63_191:
	s_or_b64 exec, exec, s[8:9]
	s_mov_b64 s[0:1], 0
	s_branch .LBB63_197
.LBB63_192:
	s_mov_b64 s[8:9], -1
                                        ; implicit-def: $vgpr0_vgpr1
	s_branch .LBB63_203
.LBB63_193:
	s_or_saveexec_b64 s[10:11], s[10:11]
	v_pk_mov_b32 v[0:1], s[8:9], s[8:9] op_sel:[0,1]
	s_xor_b64 exec, exec, s[10:11]
	s_cbranch_execz .LBB63_177
.LBB63_194:
	v_cmp_ne_u16_e32 vcc, 0, v3
	s_andn2_b64 s[0:1], s[0:1], exec
	s_and_b64 s[8:9], vcc, exec
	v_pk_mov_b32 v[0:1], 0, 0
	s_or_b64 s[0:1], s[0:1], s[8:9]
	s_or_b64 exec, exec, s[10:11]
	s_and_saveexec_b64 s[8:9], s[0:1]
	s_cbranch_execnz .LBB63_178
	s_branch .LBB63_179
.LBB63_195:
	s_mov_b64 s[0:1], -1
                                        ; implicit-def: $vgpr0_vgpr1
	s_branch .LBB63_200
.LBB63_196:
	s_mov_b64 s[0:1], -1
                                        ; implicit-def: $vgpr0_vgpr1
.LBB63_197:
	s_and_b64 vcc, exec, s[0:1]
	s_cbranch_vccz .LBB63_199
; %bb.198:
	global_load_ubyte v0, v[4:5], off
	s_mov_b32 s0, 0x7f800000
	s_waitcnt vmcnt(0)
	v_lshlrev_b32_e32 v0, 24, v0
	v_and_b32_e32 v1, 0x7f000000, v0
	v_ffbh_u32_e32 v3, v1
	v_min_u32_e32 v3, 32, v3
	v_sub_u32_e64 v3, v3, 4 clamp
	v_lshlrev_b32_e32 v8, v3, v1
	v_lshlrev_b32_e32 v3, 23, v3
	v_lshrrev_b32_e32 v8, 4, v8
	v_add_u32_e32 v7, 0x1000000, v1
	v_sub_u32_e32 v3, v8, v3
	v_ashrrev_i32_e32 v7, 8, v7
	v_add_u32_e32 v3, 0x3c000000, v3
	v_and_or_b32 v3, v7, s0, v3
	v_cmp_ne_u32_e32 vcc, 0, v1
	v_cndmask_b32_e32 v1, 0, v3, vcc
	s_brev_b32 s0, 1
	v_and_or_b32 v0, v0, s0, v1
	v_cvt_f64_f32_e32 v[0:1], v0
.LBB63_199:
	s_mov_b64 s[0:1], 0
.LBB63_200:
	s_andn2_b64 vcc, exec, s[0:1]
	s_cbranch_vccnz .LBB63_202
; %bb.201:
	global_load_ubyte v0, v[4:5], off
	s_movk_i32 s0, 0x7f00
	s_brev_b32 s1, 16
	s_waitcnt vmcnt(0)
	v_lshlrev_b16_e32 v1, 8, v0
	v_lshlrev_b32_e32 v0, 25, v0
	v_lshrrev_b32_e32 v3, 4, v0
	v_and_or_b32 v7, v1, s0, 0.5
	v_or_b32_e32 v3, 0x70000000, v3
	v_add_f32_e32 v7, -0.5, v7
	v_mul_f32_e32 v3, 0x7800000, v3
	v_cmp_gt_u32_e32 vcc, s1, v0
	v_bfe_i32 v1, v1, 0, 16
	v_cndmask_b32_e32 v0, v3, v7, vcc
	s_brev_b32 s0, 1
	v_and_or_b32 v0, v1, s0, v0
	v_cvt_f64_f32_e32 v[0:1], v0
.LBB63_202:
	s_mov_b64 s[8:9], 0
	s_mov_b64 s[0:1], -1
.LBB63_203:
	s_andn2_b64 vcc, exec, s[8:9]
	s_cbranch_vccnz .LBB63_216
; %bb.204:
	v_cmp_lt_i16_e32 vcc, 14, v6
	s_cbranch_vccz .LBB63_207
; %bb.205:
	v_cmp_eq_u16_e32 vcc, 15, v6
	s_cbranch_vccz .LBB63_210
; %bb.206:
	global_load_ushort v0, v[4:5], off
	s_mov_b64 s[0:1], -1
	s_mov_b64 s[2:3], 0
	s_waitcnt vmcnt(0)
	v_lshlrev_b32_e32 v0, 16, v0
	v_cvt_f64_f32_e32 v[0:1], v0
	s_branch .LBB63_211
.LBB63_207:
	s_mov_b64 s[8:9], -1
                                        ; implicit-def: $vgpr0_vgpr1
	s_branch .LBB63_212
.LBB63_208:
	s_or_saveexec_b64 s[10:11], s[10:11]
	v_pk_mov_b32 v[0:1], s[8:9], s[8:9] op_sel:[0,1]
	s_xor_b64 exec, exec, s[10:11]
	s_cbranch_execz .LBB63_189
.LBB63_209:
	v_cmp_ne_u16_e32 vcc, 0, v3
	s_andn2_b64 s[0:1], s[0:1], exec
	s_and_b64 s[8:9], vcc, exec
	v_pk_mov_b32 v[0:1], 0, 0
	s_or_b64 s[0:1], s[0:1], s[8:9]
	s_or_b64 exec, exec, s[10:11]
	s_and_saveexec_b64 s[8:9], s[0:1]
	s_cbranch_execnz .LBB63_190
	s_branch .LBB63_191
.LBB63_210:
	s_mov_b64 s[2:3], -1
                                        ; implicit-def: $vgpr0_vgpr1
.LBB63_211:
	s_mov_b64 s[8:9], 0
.LBB63_212:
	s_and_b64 vcc, exec, s[8:9]
	s_cbranch_vccz .LBB63_216
; %bb.213:
	v_cmp_eq_u16_e32 vcc, 11, v6
	s_cbranch_vccz .LBB63_215
; %bb.214:
	global_load_ubyte v1, v[4:5], off
	v_mov_b32_e32 v3, 0x3ff00000
	v_mov_b32_e32 v0, 0
	s_mov_b64 s[0:1], -1
	s_mov_b64 s[2:3], 0
	s_waitcnt vmcnt(0)
	v_cmp_ne_u16_e32 vcc, 0, v1
	v_cndmask_b32_e32 v1, 0, v3, vcc
	s_branch .LBB63_216
.LBB63_215:
	s_mov_b64 s[2:3], -1
                                        ; implicit-def: $vgpr0_vgpr1
.LBB63_216:
	s_branch .LBB63_25
.LBB63_217:
	v_cmp_gt_i16_e32 vcc, 5, v6
	s_cbranch_vccnz .LBB63_222
; %bb.218:
	v_cmp_gt_i16_e32 vcc, 8, v6
	s_cbranch_vccnz .LBB63_223
; %bb.219:
	;; [unrolled: 3-line block ×3, first 2 shown]
	v_cmp_lt_i16_e32 vcc, 9, v6
	s_cbranch_vccz .LBB63_225
; %bb.221:
	global_load_dwordx2 v[0:1], v[4:5], off
	s_mov_b64 s[0:1], 0
	s_branch .LBB63_226
.LBB63_222:
                                        ; implicit-def: $vgpr0_vgpr1
	s_branch .LBB63_244
.LBB63_223:
	s_mov_b64 s[0:1], -1
                                        ; implicit-def: $vgpr0_vgpr1
	s_branch .LBB63_232
.LBB63_224:
	s_mov_b64 s[0:1], -1
                                        ; implicit-def: $vgpr0_vgpr1
	s_branch .LBB63_229
.LBB63_225:
	s_mov_b64 s[0:1], -1
                                        ; implicit-def: $vgpr0_vgpr1
.LBB63_226:
	s_andn2_b64 vcc, exec, s[0:1]
	s_cbranch_vccnz .LBB63_228
; %bb.227:
	global_load_dword v0, v[4:5], off
	s_waitcnt vmcnt(0)
	v_cvt_f64_f32_e32 v[0:1], v0
.LBB63_228:
	s_mov_b64 s[0:1], 0
.LBB63_229:
	s_andn2_b64 vcc, exec, s[0:1]
	s_cbranch_vccnz .LBB63_231
; %bb.230:
	global_load_dword v0, v[4:5], off
	s_waitcnt vmcnt(0)
	v_cvt_f32_f16_e32 v0, v0
	v_cvt_f64_f32_e32 v[0:1], v0
.LBB63_231:
	s_mov_b64 s[0:1], 0
.LBB63_232:
	s_andn2_b64 vcc, exec, s[0:1]
	s_cbranch_vccnz .LBB63_243
; %bb.233:
	v_cmp_gt_i16_e32 vcc, 6, v6
	s_cbranch_vccnz .LBB63_236
; %bb.234:
	v_cmp_lt_i16_e32 vcc, 6, v6
	s_cbranch_vccz .LBB63_237
; %bb.235:
	global_load_dwordx2 v[0:1], v[4:5], off
	s_mov_b64 s[0:1], 0
	s_branch .LBB63_238
.LBB63_236:
	s_mov_b64 s[0:1], -1
                                        ; implicit-def: $vgpr0_vgpr1
	s_branch .LBB63_241
.LBB63_237:
	s_mov_b64 s[0:1], -1
                                        ; implicit-def: $vgpr0_vgpr1
.LBB63_238:
	s_andn2_b64 vcc, exec, s[0:1]
	s_cbranch_vccnz .LBB63_240
; %bb.239:
	global_load_dword v0, v[4:5], off
	s_waitcnt vmcnt(0)
	v_cvt_f64_f32_e32 v[0:1], v0
.LBB63_240:
	s_mov_b64 s[0:1], 0
.LBB63_241:
	s_andn2_b64 vcc, exec, s[0:1]
	s_cbranch_vccnz .LBB63_243
; %bb.242:
	global_load_ushort v0, v[4:5], off
	s_waitcnt vmcnt(0)
	v_cvt_f32_f16_e32 v0, v0
	v_cvt_f64_f32_e32 v[0:1], v0
.LBB63_243:
	s_cbranch_execnz .LBB63_263
.LBB63_244:
	v_cmp_gt_i16_e32 vcc, 2, v6
	s_cbranch_vccnz .LBB63_248
; %bb.245:
	v_cmp_gt_i16_e32 vcc, 3, v6
	s_cbranch_vccnz .LBB63_249
; %bb.246:
	v_cmp_lt_i16_e32 vcc, 3, v6
	s_cbranch_vccz .LBB63_250
; %bb.247:
	global_load_dwordx2 v[0:1], v[4:5], off
	s_mov_b64 s[0:1], 0
	s_waitcnt vmcnt(0)
	v_cvt_f64_i32_e32 v[8:9], v1
	v_cvt_f64_u32_e32 v[0:1], v0
	v_ldexp_f64 v[8:9], v[8:9], 32
	v_add_f64 v[0:1], v[8:9], v[0:1]
	s_branch .LBB63_251
.LBB63_248:
	s_mov_b64 s[0:1], -1
                                        ; implicit-def: $vgpr0_vgpr1
	s_branch .LBB63_257
.LBB63_249:
	s_mov_b64 s[0:1], -1
                                        ; implicit-def: $vgpr0_vgpr1
	s_branch .LBB63_254
.LBB63_250:
	s_mov_b64 s[0:1], -1
                                        ; implicit-def: $vgpr0_vgpr1
.LBB63_251:
	s_andn2_b64 vcc, exec, s[0:1]
	s_cbranch_vccnz .LBB63_253
; %bb.252:
	global_load_dword v0, v[4:5], off
	s_waitcnt vmcnt(0)
	v_cvt_f64_i32_e32 v[0:1], v0
.LBB63_253:
	s_mov_b64 s[0:1], 0
.LBB63_254:
	s_andn2_b64 vcc, exec, s[0:1]
	s_cbranch_vccnz .LBB63_256
; %bb.255:
	global_load_sshort v0, v[4:5], off
	s_waitcnt vmcnt(0)
	v_cvt_f64_i32_e32 v[0:1], v0
.LBB63_256:
	s_mov_b64 s[0:1], 0
.LBB63_257:
	s_andn2_b64 vcc, exec, s[0:1]
	s_cbranch_vccnz .LBB63_263
; %bb.258:
	v_cmp_lt_i16_e32 vcc, 0, v6
	s_cbranch_vccz .LBB63_260
; %bb.259:
	global_load_sbyte v0, v[4:5], off
	s_mov_b64 s[0:1], 0
	s_waitcnt vmcnt(0)
	v_cvt_f64_i32_e32 v[0:1], v0
	s_branch .LBB63_261
.LBB63_260:
	s_mov_b64 s[0:1], -1
                                        ; implicit-def: $vgpr0_vgpr1
.LBB63_261:
	s_andn2_b64 vcc, exec, s[0:1]
	s_cbranch_vccnz .LBB63_263
; %bb.262:
	global_load_ubyte v0, v[4:5], off
	s_waitcnt vmcnt(0)
	v_cvt_f64_u32_e32 v[0:1], v0
.LBB63_263:
	s_branch .LBB63_26
.LBB63_264:
	s_mov_b64 s[0:1], 0
.LBB63_265:
	s_mov_b64 s[8:9], 0
                                        ; implicit-def: $vgpr10
.LBB63_266:
	s_and_b64 s[54:55], s[0:1], exec
	s_and_b64 s[56:57], s[2:3], exec
	s_orn2_b64 s[2:3], s[8:9], exec
.LBB63_267:
	s_or_b64 exec, exec, s[58:59]
	s_mov_b64 s[10:11], 0
	s_mov_b64 s[0:1], 0
                                        ; implicit-def: $vgpr4_vgpr5
                                        ; implicit-def: $vgpr2
                                        ; implicit-def: $vgpr0_vgpr1
	s_and_saveexec_b64 s[58:59], s[2:3]
	s_cbranch_execz .LBB63_275
; %bb.268:
	v_cmp_gt_i32_e32 vcc, s74, v10
	s_mov_b64 s[0:1], -1
	s_mov_b64 s[60:61], s[56:57]
	s_mov_b64 s[62:63], s[54:55]
	s_and_saveexec_b64 s[64:65], vcc
	s_cbranch_execz .LBB63_544
; %bb.269:
	s_andn2_b64 vcc, exec, s[40:41]
	s_cbranch_vccnz .LBB63_278
; %bb.270:
	s_mov_b32 s60, 0
	s_andn2_b64 vcc, exec, s[52:53]
	s_waitcnt vmcnt(0)
	v_mov_b32_e32 v0, 0
	v_mov_b32_e32 v2, 0
	s_cbranch_vccnz .LBB63_284
; %bb.271:
	s_add_i32 s68, s75, 1
	s_cmp_eq_u32 s76, 2
	s_cbranch_scc1 .LBB63_279
; %bb.272:
	s_and_b32 s60, s68, 28
	s_mov_b32 s61, 0
	v_mov_b32_e32 v2, 0
	s_mov_b64 s[62:63], s[34:35]
	s_mov_b64 s[66:67], s[50:51]
	v_mov_b32_e32 v1, v10
	v_mov_b32_e32 v0, 0
.LBB63_273:                             ; =>This Inner Loop Header: Depth=1
	s_load_dwordx8 s[16:23], s[62:63], 0x4
	s_load_dwordx4 s[0:3], s[62:63], 0x24
	s_load_dwordx8 s[8:15], s[66:67], 0x0
	s_add_u32 s62, s62, 48
	s_addc_u32 s63, s63, 0
	s_waitcnt lgkmcnt(0)
	v_mul_hi_u32 v3, s17, v1
	v_add_u32_e32 v3, v1, v3
	v_lshrrev_b32_e32 v3, s18, v3
	v_mul_lo_u32 v4, v3, s16
	v_mul_hi_u32 v5, s20, v3
	v_sub_u32_e32 v1, v1, v4
	v_add_u32_e32 v4, v3, v5
	v_lshrrev_b32_e32 v4, s21, v4
	v_mul_lo_u32 v7, v4, s19
	v_mul_hi_u32 v8, s23, v4
	v_sub_u32_e32 v3, v3, v7
	v_add_u32_e32 v7, v4, v8
	v_mul_lo_u32 v5, v1, s9
	v_mul_lo_u32 v1, v1, s8
	;; [unrolled: 1-line block ×4, first 2 shown]
	v_lshrrev_b32_e32 v7, s0, v7
	v_add3_u32 v2, v1, v2, v3
	v_mul_lo_u32 v1, v7, s22
	v_mul_hi_u32 v3, s2, v7
	v_sub_u32_e32 v1, v4, v1
	v_add_u32_e32 v3, v7, v3
	v_add3_u32 v0, v5, v0, v8
	v_mul_lo_u32 v4, v1, s12
	v_mul_lo_u32 v5, v1, s13
	v_lshrrev_b32_e32 v1, s3, v3
	s_add_i32 s61, s61, 4
	v_mul_lo_u32 v3, v1, s1
	s_add_u32 s66, s66, 32
	v_sub_u32_e32 v3, v7, v3
	s_addc_u32 s67, s67, 0
	v_mul_lo_u32 v7, v3, s14
	v_mul_lo_u32 v3, v3, s15
	s_cmp_eq_u32 s60, s61
	v_add3_u32 v0, v5, v0, v3
	v_add3_u32 v2, v4, v2, v7
	s_cbranch_scc0 .LBB63_273
; %bb.274:
	v_mov_b32_e32 v3, v0
	s_branch .LBB63_280
.LBB63_275:
	s_or_b64 exec, exec, s[58:59]
	s_mov_b64 s[2:3], 0
	s_and_saveexec_b64 s[8:9], s[56:57]
	s_cbranch_execnz .LBB63_922
.LBB63_276:
	s_or_b64 exec, exec, s[8:9]
	s_and_saveexec_b64 s[8:9], s[62:63]
	s_xor_b64 s[8:9], exec, s[8:9]
	s_cbranch_execz .LBB63_923
.LBB63_277:
	global_load_ubyte v1, v[4:5], off
	v_mov_b32_e32 v3, 0x3ff00000
	s_waitcnt vmcnt(1)
	v_mov_b32_e32 v0, 0
	s_or_b64 s[0:1], s[0:1], exec
	s_waitcnt vmcnt(0)
	v_cmp_ne_u16_e32 vcc, 0, v1
	v_cndmask_b32_e32 v1, 0, v3, vcc
	s_or_b64 exec, exec, s[8:9]
	s_and_saveexec_b64 s[8:9], s[10:11]
	s_cbranch_execz .LBB63_969
	s_branch .LBB63_924
.LBB63_278:
                                        ; implicit-def: $vgpr0
                                        ; implicit-def: $vgpr2
	s_andn2_b64 vcc, exec, s[0:1]
	s_cbranch_vccz .LBB63_285
	s_branch .LBB63_287
.LBB63_279:
	s_mov_b32 s61, s60
	v_pk_mov_b32 v[2:3], s[60:61], s[60:61] op_sel:[0,1]
                                        ; implicit-def: $vgpr0
	v_mov_b32_e32 v1, v10
.LBB63_280:
	s_and_b32 s8, s68, 3
	s_cmp_eq_u32 s8, 0
	s_cbranch_scc1 .LBB63_284
; %bb.281:
	s_lshl_b32 s0, s60, 3
	s_add_u32 s0, s0, s34
	s_addc_u32 s1, s35, 0
	s_add_u32 s0, s0, 0xc4
	s_addc_u32 s1, s1, 0
	s_mul_i32 s2, s60, 12
	s_add_u32 s2, s34, s2
	s_addc_u32 s3, s35, 0
.LBB63_282:                             ; =>This Inner Loop Header: Depth=1
	s_load_dwordx2 s[10:11], s[2:3], 0x4
	s_load_dword s9, s[2:3], 0xc
	s_load_dwordx2 s[12:13], s[0:1], 0x0
	v_mov_b32_e32 v0, v3
	s_add_u32 s2, s2, 12
	s_waitcnt lgkmcnt(0)
	v_mul_hi_u32 v3, s11, v1
	v_add_u32_e32 v3, v1, v3
	v_lshrrev_b32_e32 v3, s9, v3
	s_addc_u32 s3, s3, 0
	v_mul_lo_u32 v4, v3, s10
	s_add_u32 s0, s0, 8
	v_sub_u32_e32 v7, v1, v4
	v_mov_b32_e32 v1, v3
	s_addc_u32 s1, s1, 0
	s_add_i32 s8, s8, -1
	v_mad_u64_u32 v[4:5], s[10:11], v7, s13, v[0:1]
	v_mad_u64_u32 v[2:3], s[10:11], v7, s12, v[2:3]
	s_cmp_lg_u32 s8, 0
	v_mov_b32_e32 v3, v4
	s_cbranch_scc1 .LBB63_282
; %bb.283:
	v_mov_b32_e32 v0, v3
.LBB63_284:
	s_cbranch_execnz .LBB63_287
.LBB63_285:
	s_waitcnt vmcnt(0)
	v_mul_hi_u32 v0, s29, v10
	v_add_u32_e32 v0, v10, v0
	v_lshrrev_b32_e32 v1, s30, v0
	v_mul_lo_u32 v0, v1, s28
	v_sub_u32_e32 v2, v10, v0
	v_mul_lo_u32 v0, v2, s37
	s_andn2_b64 vcc, exec, s[48:49]
	v_mul_lo_u32 v2, v2, s36
	s_cbranch_vccnz .LBB63_287
; %bb.286:
	v_mul_hi_u32 v3, s46, v1
	v_add_u32_e32 v3, v1, v3
	v_lshrrev_b32_e32 v3, s47, v3
	v_mul_lo_u32 v3, v3, s31
	v_sub_u32_e32 v1, v1, v3
	v_mad_u64_u32 v[2:3], s[0:1], v1, s38, v[2:3]
	v_mad_u64_u32 v[0:1], s[0:1], v1, s39, v[0:1]
.LBB63_287:
	s_waitcnt vmcnt(0)
	v_mov_b32_e32 v1, s27
	v_add_co_u32_e32 v4, vcc, s26, v0
	v_addc_co_u32_e32 v5, vcc, 0, v1, vcc
	v_cmp_gt_i16_e32 vcc, 11, v6
	s_cbranch_vccnz .LBB63_294
; %bb.288:
	v_cmp_lt_i16_e32 vcc, 25, v6
	s_cbranch_vccz .LBB63_303
; %bb.289:
	v_cmp_lt_i16_e32 vcc, 28, v6
	s_cbranch_vccz .LBB63_305
	;; [unrolled: 3-line block ×4, first 2 shown]
; %bb.292:
	v_cmp_eq_u16_e32 vcc, 46, v6
	s_mov_b64 s[8:9], 0
	s_cbranch_vccz .LBB63_315
; %bb.293:
	global_load_dword v0, v[4:5], off
	s_mov_b64 s[0:1], -1
	s_mov_b64 s[2:3], 0
	s_waitcnt vmcnt(0)
	v_lshlrev_b32_e32 v0, 16, v0
	v_cvt_f64_f32_e32 v[0:1], v0
	s_branch .LBB63_316
.LBB63_294:
	s_mov_b64 s[0:1], 0
                                        ; implicit-def: $vgpr0_vgpr1
	s_mov_b64 s[2:3], s[56:57]
	s_cbranch_execnz .LBB63_493
.LBB63_295:
	s_andn2_b64 vcc, exec, s[0:1]
	s_cbranch_vccnz .LBB63_541
.LBB63_296:
	s_brev_b32 s0, -2
	v_mov_b32_e32 v3, s45
	s_waitcnt vmcnt(0)
	v_bfi_b32 v1, s0, v1, v3
	v_mov_b32_e32 v3, s25
	v_add_co_u32_e32 v4, vcc, s24, v2
	v_mov_b32_e32 v2, 11
	v_addc_co_u32_e32 v5, vcc, 0, v3, vcc
	v_cmp_lt_i16_sdwa s[0:1], s44, v2 src0_sel:BYTE_0 src1_sel:DWORD
	s_and_b64 vcc, exec, s[0:1]
	s_cbranch_vccnz .LBB63_304
; %bb.297:
	v_mov_b32_e32 v2, 25
	v_cmp_gt_i16_sdwa s[0:1], s44, v2 src0_sel:BYTE_0 src1_sel:DWORD
	s_and_b64 vcc, exec, s[0:1]
	s_cbranch_vccz .LBB63_306
; %bb.298:
	v_mov_b32_e32 v2, 28
	v_cmp_gt_i16_sdwa s[0:1], s44, v2 src0_sel:BYTE_0 src1_sel:DWORD
	s_and_b64 vcc, exec, s[0:1]
	s_cbranch_vccz .LBB63_308
	;; [unrolled: 5-line block ×4, first 2 shown]
; %bb.301:
	v_mov_b32_e32 v2, 46
	v_cmp_eq_u16_sdwa s[8:9], s44, v2 src0_sel:BYTE_0 src1_sel:DWORD
	s_mov_b64 s[10:11], 0
	s_mov_b64 s[0:1], -1
	s_and_b64 vcc, exec, s[8:9]
	s_mov_b64 s[8:9], 0
	s_cbranch_vccz .LBB63_320
; %bb.302:
	v_cvt_f32_f64_e32 v2, v[0:1]
	v_bfe_u32 v3, v2, 16, 1
	s_movk_i32 s0, 0x7fff
	v_add3_u32 v3, v2, v3, s0
	v_lshrrev_b32_e32 v3, 16, v3
	v_mov_b32_e32 v7, 0x7fc0
	v_cmp_o_f32_e32 vcc, v2, v2
	v_cndmask_b32_e32 v2, v7, v3, vcc
	global_store_dword v[4:5], v2, off
	s_mov_b64 s[8:9], -1
	s_mov_b64 s[0:1], 0
	s_branch .LBB63_320
.LBB63_303:
	s_mov_b64 s[8:9], -1
	s_mov_b64 s[0:1], 0
	s_mov_b64 s[2:3], s[56:57]
                                        ; implicit-def: $vgpr0_vgpr1
	s_branch .LBB63_457
.LBB63_304:
	s_mov_b64 s[10:11], -1
	s_mov_b64 s[8:9], 0
	s_mov_b64 s[0:1], s[54:55]
	s_branch .LBB63_389
.LBB63_305:
	s_mov_b64 s[8:9], -1
	s_mov_b64 s[0:1], 0
	s_mov_b64 s[2:3], s[56:57]
                                        ; implicit-def: $vgpr0_vgpr1
	s_branch .LBB63_438
.LBB63_306:
	s_mov_b64 s[10:11], -1
	s_mov_b64 s[8:9], 0
	s_mov_b64 s[0:1], s[54:55]
	s_branch .LBB63_347
.LBB63_307:
	s_mov_b64 s[8:9], -1
	s_mov_b64 s[0:1], 0
	s_mov_b64 s[2:3], s[56:57]
                                        ; implicit-def: $vgpr0_vgpr1
	s_branch .LBB63_433
.LBB63_308:
	s_mov_b64 s[10:11], -1
	s_mov_b64 s[8:9], 0
	s_mov_b64 s[0:1], s[54:55]
	s_branch .LBB63_330
.LBB63_309:
	s_or_saveexec_b64 s[12:13], s[12:13]
                                        ; implicit-def: $sgpr14
	s_xor_b64 exec, exec, s[12:13]
	s_cbranch_execz .LBB63_69
.LBB63_310:
	s_mov_b32 s14, 0x46000000
	v_add_f32_e64 v3, |v2|, s14
	v_and_b32_e32 v3, 0xff, v3
	v_cmp_ne_u32_e32 vcc, 0, v3
	s_andn2_b64 s[10:11], s[10:11], exec
	s_and_b64 s[16:17], vcc, exec
	s_mov_b32 s14, 0
	s_or_b64 s[10:11], s[10:11], s[16:17]
	s_or_b64 exec, exec, s[12:13]
	v_mov_b32_e32 v7, s14
	s_and_saveexec_b64 s[12:13], s[10:11]
	s_cbranch_execnz .LBB63_70
	s_branch .LBB63_71
.LBB63_311:
	s_mov_b64 s[8:9], -1
	s_mov_b64 s[0:1], 0
	s_mov_b64 s[2:3], s[56:57]
                                        ; implicit-def: $vgpr0_vgpr1
	s_branch .LBB63_316
.LBB63_312:
	s_mov_b64 s[10:11], -1
	s_mov_b64 s[8:9], 0
	s_mov_b64 s[0:1], s[54:55]
	s_branch .LBB63_326
.LBB63_313:
	s_or_saveexec_b64 s[12:13], s[12:13]
                                        ; implicit-def: $sgpr14
	s_xor_b64 exec, exec, s[12:13]
	s_cbranch_execz .LBB63_82
.LBB63_314:
	s_mov_b32 s14, 0x42800000
	v_add_f32_e64 v3, |v2|, s14
	v_and_b32_e32 v3, 0xff, v3
	v_cmp_ne_u32_e32 vcc, 0, v3
	s_andn2_b64 s[10:11], s[10:11], exec
	s_and_b64 s[16:17], vcc, exec
	s_mov_b32 s14, 0
	s_or_b64 s[10:11], s[10:11], s[16:17]
	s_or_b64 exec, exec, s[12:13]
	v_mov_b32_e32 v7, s14
	s_and_saveexec_b64 s[12:13], s[10:11]
	s_cbranch_execnz .LBB63_83
	s_branch .LBB63_84
.LBB63_315:
	s_mov_b64 s[2:3], -1
                                        ; implicit-def: $vgpr0_vgpr1
	s_mov_b64 s[0:1], 0
.LBB63_316:
	s_and_b64 vcc, exec, s[8:9]
	s_cbranch_vccz .LBB63_432
; %bb.317:
	v_cmp_eq_u16_e32 vcc, 44, v6
	s_cbranch_vccz .LBB63_431
; %bb.318:
	global_load_ubyte v3, v[4:5], off
	s_movk_i32 s2, 0xff
	v_bfrev_b32_e32 v7, 4
	v_mov_b32_e32 v8, 0x7ff80000
	v_bfrev_b32_e32 v9, 28
	s_mov_b64 s[0:1], -1
	s_waitcnt vmcnt(0)
	v_lshlrev_b32_e32 v0, 23, v3
	v_cvt_f64_f32_e32 v[0:1], v0
	v_cmp_ne_u32_e32 vcc, s2, v3
	v_cndmask_b32_e32 v0, v7, v0, vcc
	v_cndmask_b32_e32 v1, v8, v1, vcc
	v_cmp_ne_u32_e32 vcc, 0, v3
	v_cndmask_b32_e32 v1, v9, v1, vcc
	v_cndmask_b32_e32 v0, 0, v0, vcc
	s_mov_b64 s[2:3], 0
	s_branch .LBB63_432
.LBB63_319:
	s_mov_b64 s[10:11], -1
	s_mov_b64 s[8:9], 0
	s_mov_b64 s[0:1], s[54:55]
.LBB63_320:
	s_and_b64 vcc, exec, s[10:11]
	s_cbranch_vccz .LBB63_325
; %bb.321:
	v_mov_b32_e32 v2, 44
	v_cmp_eq_u16_sdwa s[10:11], s44, v2 src0_sel:BYTE_0 src1_sel:DWORD
	s_mov_b64 s[0:1], -1
	s_and_b64 vcc, exec, s[10:11]
	s_cbranch_vccz .LBB63_325
; %bb.322:
	v_cvt_f32_f64_e32 v2, v[0:1]
	v_bfe_u32 v3, v2, 23, 8
	s_movk_i32 s0, 0xff
	v_cmp_ne_u32_e32 vcc, s0, v3
	v_mov_b32_e32 v7, 0xff
	s_and_saveexec_b64 s[8:9], vcc
; %bb.323:
	s_mov_b32 s0, 0x3fffff
	v_lshrrev_b32_e32 v7, 23, v2
	v_and_b32_e32 v8, 0x400000, v2
	v_and_or_b32 v2, v2, s0, v3
	v_cmp_ne_u32_e32 vcc, 0, v8
	v_cmp_ne_u32_e64 s[0:1], 0, v2
	s_and_b64 s[0:1], vcc, s[0:1]
	v_cndmask_b32_e64 v2, 0, 1, s[0:1]
	v_add_u32_e32 v7, v7, v2
; %bb.324:
	s_or_b64 exec, exec, s[8:9]
	s_mov_b64 s[8:9], -1
	s_mov_b64 s[0:1], 0
	global_store_byte v[4:5], v7, off
.LBB63_325:
	s_mov_b64 s[10:11], 0
.LBB63_326:
	s_and_b64 vcc, exec, s[10:11]
	s_cbranch_vccz .LBB63_329
; %bb.327:
	v_mov_b32_e32 v2, 29
	v_cmp_eq_u16_sdwa s[10:11], s44, v2 src0_sel:BYTE_0 src1_sel:DWORD
	s_mov_b64 s[0:1], -1
	s_and_b64 vcc, exec, s[10:11]
	s_cbranch_vccz .LBB63_329
; %bb.328:
	v_trunc_f64_e32 v[2:3], v[0:1]
	s_movk_i32 s0, 0xffe0
	v_ldexp_f64 v[8:9], v[2:3], s0
	v_floor_f64_e32 v[8:9], v[8:9]
	v_fmac_f64_e32 v[2:3], 0xc1f00000, v[8:9]
	v_cvt_u32_f64_e32 v13, v[8:9]
	v_cvt_u32_f64_e32 v12, v[2:3]
	global_store_dwordx2 v[4:5], v[12:13], off
	s_mov_b64 s[8:9], -1
	s_mov_b64 s[0:1], 0
.LBB63_329:
	s_mov_b64 s[10:11], 0
.LBB63_330:
	s_and_b64 vcc, exec, s[10:11]
	s_cbranch_vccz .LBB63_346
; %bb.331:
	v_mov_b32_e32 v2, 27
	v_cmp_lt_i16_sdwa s[10:11], s44, v2 src0_sel:BYTE_0 src1_sel:DWORD
	s_mov_b64 s[8:9], -1
	s_and_b64 vcc, exec, s[10:11]
	s_cbranch_vccnz .LBB63_337
; %bb.332:
	v_cmp_gt_i16_sdwa s[10:11], s44, v2 src0_sel:BYTE_0 src1_sel:DWORD
	s_and_b64 vcc, exec, s[10:11]
	v_cvt_u32_f64_e32 v2, v[0:1]
	s_cbranch_vccz .LBB63_334
; %bb.333:
	s_mov_b64 s[8:9], 0
	global_store_dword v[4:5], v2, off
.LBB63_334:
	s_andn2_b64 vcc, exec, s[8:9]
	s_cbranch_vccnz .LBB63_336
; %bb.335:
	global_store_short v[4:5], v2, off
.LBB63_336:
	s_mov_b64 s[8:9], 0
.LBB63_337:
	s_andn2_b64 vcc, exec, s[8:9]
	s_cbranch_vccnz .LBB63_345
; %bb.338:
	v_cvt_f32_f64_e32 v2, v[0:1]
	v_and_b32_e32 v3, 0x7fffffff, v2
	s_mov_b32 s8, 0x43800000
	v_cmp_gt_u32_e32 vcc, s8, v3
	v_mov_b32_e32 v7, 0x80
	s_and_saveexec_b64 s[8:9], vcc
	s_cbranch_execz .LBB63_344
; %bb.339:
	s_mov_b32 s10, 0x3bffffff
	v_cmp_lt_u32_e32 vcc, s10, v3
	s_mov_b64 s[10:11], 0
                                        ; implicit-def: $vgpr3
	s_and_saveexec_b64 s[12:13], vcc
	s_xor_b64 s[12:13], exec, s[12:13]
	s_cbranch_execz .LBB63_573
; %bb.340:
	v_bfe_u32 v3, v2, 20, 1
	s_mov_b32 s14, 0x487ffff
	v_add3_u32 v3, v2, v3, s14
	s_mov_b64 s[10:11], exec
	v_lshrrev_b32_e32 v3, 20, v3
	s_or_saveexec_b64 s[12:13], s[12:13]
                                        ; implicit-def: $sgpr14
	s_xor_b64 exec, exec, s[12:13]
	s_cbranch_execnz .LBB63_574
.LBB63_341:
	s_or_b64 exec, exec, s[12:13]
	v_mov_b32_e32 v7, s14
	s_and_saveexec_b64 s[12:13], s[10:11]
.LBB63_342:
	v_lshrrev_b32_e32 v2, 24, v2
	s_movk_i32 s10, 0x80
	v_and_or_b32 v7, v2, s10, v3
.LBB63_343:
	s_or_b64 exec, exec, s[12:13]
.LBB63_344:
	s_or_b64 exec, exec, s[8:9]
	global_store_byte v[4:5], v7, off
.LBB63_345:
	s_mov_b64 s[8:9], -1
.LBB63_346:
	s_mov_b64 s[10:11], 0
.LBB63_347:
	s_and_b64 vcc, exec, s[10:11]
	s_cbranch_vccz .LBB63_388
; %bb.348:
	v_mov_b32_e32 v2, 22
	v_cmp_gt_i16_sdwa s[12:13], s44, v2 src0_sel:BYTE_0 src1_sel:DWORD
	s_mov_b64 s[10:11], -1
	s_and_b64 vcc, exec, s[12:13]
	s_cbranch_vccz .LBB63_380
; %bb.349:
	v_mov_b32_e32 v2, 24
	v_cmp_lt_i16_sdwa s[10:11], s44, v2 src0_sel:BYTE_0 src1_sel:DWORD
	s_mov_b64 s[8:9], -1
	s_and_b64 vcc, exec, s[10:11]
	s_cbranch_vccnz .LBB63_369
; %bb.350:
	v_cmp_gt_i16_sdwa s[10:11], s44, v2 src0_sel:BYTE_0 src1_sel:DWORD
	s_and_b64 vcc, exec, s[10:11]
	s_cbranch_vccz .LBB63_358
; %bb.351:
	v_cvt_f32_f64_e32 v2, v[0:1]
	v_and_b32_e32 v3, 0x7fffffff, v2
	s_mov_b32 s8, 0x47800000
	v_cmp_gt_u32_e32 vcc, s8, v3
	v_mov_b32_e32 v7, 0x80
	s_and_saveexec_b64 s[8:9], vcc
	s_cbranch_execz .LBB63_357
; %bb.352:
	s_mov_b32 s10, 0x37ffffff
	v_cmp_lt_u32_e32 vcc, s10, v3
	s_mov_b64 s[10:11], 0
                                        ; implicit-def: $vgpr3
	s_and_saveexec_b64 s[12:13], vcc
	s_xor_b64 s[12:13], exec, s[12:13]
	s_cbranch_execz .LBB63_576
; %bb.353:
	v_bfe_u32 v3, v2, 21, 1
	s_mov_b32 s14, 0x88fffff
	v_add3_u32 v3, v2, v3, s14
	s_mov_b64 s[10:11], exec
	v_lshrrev_b32_e32 v3, 21, v3
	s_or_saveexec_b64 s[12:13], s[12:13]
                                        ; implicit-def: $sgpr14
	s_xor_b64 exec, exec, s[12:13]
	s_cbranch_execnz .LBB63_577
.LBB63_354:
	s_or_b64 exec, exec, s[12:13]
	v_mov_b32_e32 v7, s14
	s_and_saveexec_b64 s[12:13], s[10:11]
.LBB63_355:
	v_lshrrev_b32_e32 v2, 24, v2
	s_movk_i32 s10, 0x80
	v_and_or_b32 v7, v2, s10, v3
.LBB63_356:
	s_or_b64 exec, exec, s[12:13]
.LBB63_357:
	s_or_b64 exec, exec, s[8:9]
	s_mov_b64 s[8:9], 0
	global_store_byte v[4:5], v7, off
.LBB63_358:
	s_and_b64 vcc, exec, s[8:9]
	s_cbranch_vccz .LBB63_368
; %bb.359:
	v_cvt_f32_f64_e32 v2, v[0:1]
	v_and_b32_e32 v7, 0x7fffffff, v2
	s_mov_b32 s8, 0x43f00000
	v_cmp_gt_u32_e32 vcc, s8, v7
                                        ; implicit-def: $vgpr3
	s_and_saveexec_b64 s[8:9], vcc
	s_xor_b64 s[8:9], exec, s[8:9]
	s_cbranch_execz .LBB63_365
; %bb.360:
	s_mov_b32 s10, 0x3c7fffff
	v_cmp_lt_u32_e32 vcc, s10, v7
                                        ; implicit-def: $vgpr3
	s_and_saveexec_b64 s[10:11], vcc
	s_xor_b64 s[10:11], exec, s[10:11]
; %bb.361:
	v_bfe_u32 v3, v2, 20, 1
	s_mov_b32 s12, 0x407ffff
	v_add3_u32 v3, v2, v3, s12
	v_lshrrev_b32_e32 v7, 20, v3
	v_and_b32_e32 v3, 0xff00000, v3
	s_mov_b32 s12, 0x7f00000
	v_mov_b32_e32 v8, 0x7e
	v_cmp_ne_u32_e32 vcc, s12, v3
	v_cndmask_b32_e32 v3, v8, v7, vcc
; %bb.362:
	s_andn2_saveexec_b64 s[10:11], s[10:11]
; %bb.363:
	s_mov_b32 s12, 0x46800000
	v_add_f32_e64 v3, |v2|, s12
; %bb.364:
	s_or_b64 exec, exec, s[10:11]
                                        ; implicit-def: $vgpr7
.LBB63_365:
	s_andn2_saveexec_b64 s[8:9], s[8:9]
; %bb.366:
	s_mov_b32 s10, 0x7f800000
	v_mov_b32_e32 v3, 0x7e
	v_mov_b32_e32 v8, 0x7f
	v_cmp_lt_u32_e32 vcc, s10, v7
	v_cndmask_b32_e32 v3, v3, v8, vcc
; %bb.367:
	s_or_b64 exec, exec, s[8:9]
	v_lshrrev_b32_e32 v2, 24, v2
	s_movk_i32 s8, 0x80
	v_and_or_b32 v2, v2, s8, v3
	global_store_byte v[4:5], v2, off
.LBB63_368:
	s_mov_b64 s[8:9], 0
.LBB63_369:
	s_andn2_b64 vcc, exec, s[8:9]
	s_cbranch_vccnz .LBB63_379
; %bb.370:
	v_cvt_f32_f64_e32 v2, v[0:1]
	v_and_b32_e32 v7, 0x7fffffff, v2
	s_mov_b32 s8, 0x47800000
	v_cmp_gt_u32_e32 vcc, s8, v7
                                        ; implicit-def: $vgpr3
	s_and_saveexec_b64 s[8:9], vcc
	s_xor_b64 s[8:9], exec, s[8:9]
	s_cbranch_execz .LBB63_376
; %bb.371:
	s_mov_b32 s10, 0x387fffff
	v_cmp_lt_u32_e32 vcc, s10, v7
                                        ; implicit-def: $vgpr3
	s_and_saveexec_b64 s[10:11], vcc
	s_xor_b64 s[10:11], exec, s[10:11]
; %bb.372:
	v_bfe_u32 v3, v2, 21, 1
	s_mov_b32 s12, 0x80fffff
	v_add3_u32 v3, v2, v3, s12
	v_lshrrev_b32_e32 v3, 21, v3
; %bb.373:
	s_andn2_saveexec_b64 s[10:11], s[10:11]
; %bb.374:
	s_mov_b32 s12, 0x43000000
	v_add_f32_e64 v3, |v2|, s12
; %bb.375:
	s_or_b64 exec, exec, s[10:11]
                                        ; implicit-def: $vgpr7
.LBB63_376:
	s_andn2_saveexec_b64 s[8:9], s[8:9]
; %bb.377:
	s_mov_b32 s10, 0x7f800000
	v_mov_b32_e32 v3, 0x7c
	v_mov_b32_e32 v8, 0x7f
	v_cmp_lt_u32_e32 vcc, s10, v7
	v_cndmask_b32_e32 v3, v3, v8, vcc
; %bb.378:
	s_or_b64 exec, exec, s[8:9]
	v_lshrrev_b32_e32 v2, 24, v2
	s_movk_i32 s8, 0x80
	v_and_or_b32 v2, v2, s8, v3
	global_store_byte v[4:5], v2, off
.LBB63_379:
	s_mov_b64 s[10:11], 0
	s_mov_b64 s[8:9], -1
.LBB63_380:
	s_andn2_b64 vcc, exec, s[10:11]
	s_cbranch_vccnz .LBB63_388
; %bb.381:
	v_mov_b32_e32 v2, 14
	v_cmp_gt_i16_sdwa s[12:13], s44, v2 src0_sel:BYTE_0 src1_sel:DWORD
	s_mov_b64 s[10:11], -1
	s_and_b64 vcc, exec, s[12:13]
	s_cbranch_vccz .LBB63_385
; %bb.382:
	v_mov_b32_e32 v2, 15
	v_cmp_eq_u16_sdwa s[10:11], s44, v2 src0_sel:BYTE_0 src1_sel:DWORD
	s_mov_b64 s[0:1], -1
	s_and_b64 vcc, exec, s[10:11]
	s_cbranch_vccz .LBB63_384
; %bb.383:
	v_cvt_f32_f64_e32 v2, v[0:1]
	v_bfe_u32 v3, v2, 16, 1
	s_movk_i32 s0, 0x7fff
	v_add3_u32 v3, v2, v3, s0
	v_lshrrev_b32_e32 v3, 16, v3
	v_mov_b32_e32 v7, 0x7fc0
	v_cmp_o_f32_e32 vcc, v2, v2
	v_cndmask_b32_e32 v2, v7, v3, vcc
	global_store_short v[4:5], v2, off
	s_mov_b64 s[8:9], -1
	s_mov_b64 s[0:1], 0
.LBB63_384:
	s_mov_b64 s[10:11], 0
.LBB63_385:
	s_and_b64 vcc, exec, s[10:11]
	s_cbranch_vccz .LBB63_388
; %bb.386:
	v_mov_b32_e32 v2, 11
	v_cmp_eq_u16_sdwa s[10:11], s44, v2 src0_sel:BYTE_0 src1_sel:DWORD
	s_mov_b64 s[0:1], -1
	s_and_b64 vcc, exec, s[10:11]
	s_cbranch_vccz .LBB63_388
; %bb.387:
	v_cmp_neq_f64_e32 vcc, 0, v[0:1]
	s_mov_b64 s[0:1], 0
	v_cndmask_b32_e64 v2, 0, 1, vcc
	s_mov_b64 s[8:9], -1
	global_store_byte v[4:5], v2, off
.LBB63_388:
	s_mov_b64 s[10:11], 0
.LBB63_389:
	s_and_b64 vcc, exec, s[10:11]
	s_cbranch_vccz .LBB63_428
; %bb.390:
	v_mov_b32_e32 v2, 5
	v_cmp_lt_i16_sdwa s[10:11], s44, v2 src0_sel:BYTE_0 src1_sel:DWORD
	s_mov_b64 s[8:9], -1
	s_and_b64 vcc, exec, s[10:11]
	s_cbranch_vccnz .LBB63_411
; %bb.391:
	v_mov_b32_e32 v2, 8
	v_cmp_lt_i16_sdwa s[10:11], s44, v2 src0_sel:BYTE_0 src1_sel:DWORD
	s_and_b64 vcc, exec, s[10:11]
	s_cbranch_vccnz .LBB63_401
; %bb.392:
	v_mov_b32_e32 v2, 9
	v_cmp_lt_i16_sdwa s[10:11], s44, v2 src0_sel:BYTE_0 src1_sel:DWORD
	s_and_b64 vcc, exec, s[10:11]
	s_cbranch_vccnz .LBB63_398
; %bb.393:
	v_cmp_gt_i16_sdwa s[10:11], s44, v2 src0_sel:BYTE_0 src1_sel:DWORD
	s_and_b64 vcc, exec, s[10:11]
	s_cbranch_vccz .LBB63_395
; %bb.394:
	v_mov_b32_e32 v2, 0
	v_mov_b32_e32 v3, v2
	s_mov_b64 s[8:9], 0
	global_store_dwordx4 v[4:5], v[0:3], off
.LBB63_395:
	s_andn2_b64 vcc, exec, s[8:9]
	s_cbranch_vccnz .LBB63_397
; %bb.396:
	v_cvt_f32_f64_e32 v2, v[0:1]
	v_mov_b32_e32 v3, 0
	global_store_dwordx2 v[4:5], v[2:3], off
.LBB63_397:
	s_mov_b64 s[8:9], 0
.LBB63_398:
	s_andn2_b64 vcc, exec, s[8:9]
	s_cbranch_vccnz .LBB63_400
; %bb.399:
	v_cvt_f32_f64_e32 v2, v[0:1]
	v_cvt_f16_f32_e32 v2, v2
	global_store_dword v[4:5], v2, off
.LBB63_400:
	s_mov_b64 s[8:9], 0
.LBB63_401:
	s_andn2_b64 vcc, exec, s[8:9]
	s_cbranch_vccnz .LBB63_410
; %bb.402:
	v_mov_b32_e32 v2, 6
	v_cmp_lt_i16_sdwa s[10:11], s44, v2 src0_sel:BYTE_0 src1_sel:DWORD
	s_mov_b64 s[8:9], -1
	s_and_b64 vcc, exec, s[10:11]
	s_cbranch_vccnz .LBB63_408
; %bb.403:
	v_cmp_gt_i16_sdwa s[10:11], s44, v2 src0_sel:BYTE_0 src1_sel:DWORD
	s_and_b64 vcc, exec, s[10:11]
	s_cbranch_vccz .LBB63_405
; %bb.404:
	s_mov_b64 s[8:9], 0
	global_store_dwordx2 v[4:5], v[0:1], off
.LBB63_405:
	s_andn2_b64 vcc, exec, s[8:9]
	s_cbranch_vccnz .LBB63_407
; %bb.406:
	v_cvt_f32_f64_e32 v2, v[0:1]
	global_store_dword v[4:5], v2, off
.LBB63_407:
	s_mov_b64 s[8:9], 0
.LBB63_408:
	s_andn2_b64 vcc, exec, s[8:9]
	s_cbranch_vccnz .LBB63_410
; %bb.409:
	v_cvt_f32_f64_e32 v2, v[0:1]
	v_cvt_f16_f32_e32 v2, v2
	global_store_short v[4:5], v2, off
.LBB63_410:
	s_mov_b64 s[8:9], 0
.LBB63_411:
	s_andn2_b64 vcc, exec, s[8:9]
	s_cbranch_vccnz .LBB63_427
; %bb.412:
	v_mov_b32_e32 v2, 2
	v_cmp_lt_i16_sdwa s[10:11], s44, v2 src0_sel:BYTE_0 src1_sel:DWORD
	s_mov_b64 s[8:9], -1
	s_and_b64 vcc, exec, s[10:11]
	s_cbranch_vccnz .LBB63_422
; %bb.413:
	v_mov_b32_e32 v2, 3
	v_cmp_lt_i16_sdwa s[10:11], s44, v2 src0_sel:BYTE_0 src1_sel:DWORD
	s_and_b64 vcc, exec, s[10:11]
	s_cbranch_vccnz .LBB63_419
; %bb.414:
	v_cmp_gt_i16_sdwa s[10:11], s44, v2 src0_sel:BYTE_0 src1_sel:DWORD
	s_and_b64 vcc, exec, s[10:11]
	s_cbranch_vccz .LBB63_416
; %bb.415:
	v_trunc_f64_e32 v[2:3], v[0:1]
	s_movk_i32 s8, 0xffe0
	v_ldexp_f64 v[8:9], v[2:3], s8
	v_floor_f64_e32 v[8:9], v[8:9]
	v_fmac_f64_e32 v[2:3], 0xc1f00000, v[8:9]
	v_cvt_i32_f64_e32 v13, v[8:9]
	v_cvt_u32_f64_e32 v12, v[2:3]
	s_mov_b64 s[8:9], 0
	global_store_dwordx2 v[4:5], v[12:13], off
.LBB63_416:
	s_andn2_b64 vcc, exec, s[8:9]
	s_cbranch_vccnz .LBB63_418
; %bb.417:
	v_cvt_i32_f64_e32 v2, v[0:1]
	global_store_dword v[4:5], v2, off
.LBB63_418:
	s_mov_b64 s[8:9], 0
.LBB63_419:
	s_andn2_b64 vcc, exec, s[8:9]
	s_cbranch_vccnz .LBB63_421
; %bb.420:
	v_cvt_i32_f64_e32 v2, v[0:1]
	global_store_short v[4:5], v2, off
.LBB63_421:
	s_mov_b64 s[8:9], 0
.LBB63_422:
	s_andn2_b64 vcc, exec, s[8:9]
	s_cbranch_vccnz .LBB63_427
; %bb.423:
	v_mov_b32_e32 v2, 0
	v_cmp_gt_i16_sdwa s[10:11], s44, v2 src0_sel:BYTE_0 src1_sel:DWORD
	s_mov_b64 s[8:9], -1
	s_and_b64 vcc, exec, s[10:11]
	s_cbranch_vccz .LBB63_425
; %bb.424:
	v_cvt_i32_f64_e32 v2, v[0:1]
	s_mov_b64 s[8:9], 0
	global_store_byte v[4:5], v2, off
.LBB63_425:
	s_andn2_b64 vcc, exec, s[8:9]
	s_cbranch_vccnz .LBB63_427
; %bb.426:
	v_trunc_f64_e32 v[0:1], v[0:1]
	s_movk_i32 s8, 0xffe0
	v_ldexp_f64 v[2:3], v[0:1], s8
	v_floor_f64_e32 v[2:3], v[2:3]
	v_fmac_f64_e32 v[0:1], 0xc1f00000, v[2:3]
	v_cvt_u32_f64_e32 v0, v[0:1]
	global_store_byte v[4:5], v0, off
.LBB63_427:
	s_mov_b64 s[8:9], -1
.LBB63_428:
	s_andn2_b64 vcc, exec, s[8:9]
	s_cbranch_vccnz .LBB63_430
; %bb.429:
	v_add_u32_e32 v10, 0x80, v10
	s_mov_b64 s[8:9], -1
	s_branch .LBB63_543
.LBB63_430:
	s_mov_b64 s[8:9], 0
	s_branch .LBB63_542
.LBB63_431:
	s_mov_b64 s[2:3], -1
                                        ; implicit-def: $vgpr0_vgpr1
.LBB63_432:
	s_mov_b64 s[8:9], 0
.LBB63_433:
	s_and_b64 vcc, exec, s[8:9]
	s_cbranch_vccz .LBB63_437
; %bb.434:
	v_cmp_eq_u16_e32 vcc, 29, v6
	s_cbranch_vccz .LBB63_436
; %bb.435:
	global_load_dwordx2 v[0:1], v[4:5], off
	s_mov_b64 s[0:1], -1
	s_mov_b64 s[2:3], 0
	s_mov_b64 s[8:9], 0
	s_waitcnt vmcnt(0)
	v_cvt_f64_u32_e32 v[8:9], v1
	v_cvt_f64_u32_e32 v[0:1], v0
	v_ldexp_f64 v[8:9], v[8:9], 32
	v_add_f64 v[0:1], v[8:9], v[0:1]
	s_branch .LBB63_438
.LBB63_436:
	s_mov_b64 s[2:3], -1
                                        ; implicit-def: $vgpr0_vgpr1
.LBB63_437:
	s_mov_b64 s[8:9], 0
.LBB63_438:
	s_and_b64 vcc, exec, s[8:9]
	s_cbranch_vccz .LBB63_456
; %bb.439:
	v_cmp_gt_i16_e32 vcc, 27, v6
	s_cbranch_vccnz .LBB63_442
; %bb.440:
	v_cmp_lt_i16_e32 vcc, 27, v6
	s_cbranch_vccz .LBB63_443
; %bb.441:
	global_load_dword v0, v[4:5], off
	s_mov_b64 s[0:1], 0
	s_waitcnt vmcnt(0)
	v_cvt_f64_u32_e32 v[0:1], v0
	s_branch .LBB63_444
.LBB63_442:
	s_mov_b64 s[0:1], -1
                                        ; implicit-def: $vgpr0_vgpr1
	s_branch .LBB63_447
.LBB63_443:
	s_mov_b64 s[0:1], -1
                                        ; implicit-def: $vgpr0_vgpr1
.LBB63_444:
	s_andn2_b64 vcc, exec, s[0:1]
	s_cbranch_vccnz .LBB63_446
; %bb.445:
	global_load_ushort v0, v[4:5], off
	s_waitcnt vmcnt(0)
	v_cvt_f64_u32_e32 v[0:1], v0
.LBB63_446:
	s_mov_b64 s[0:1], 0
.LBB63_447:
	s_andn2_b64 vcc, exec, s[0:1]
	s_cbranch_vccnz .LBB63_455
; %bb.448:
	global_load_ubyte v3, v[4:5], off
	s_movk_i32 s0, 0x7f
                                        ; implicit-def: $sgpr8_sgpr9
	s_waitcnt vmcnt(0)
	v_cmp_lt_i16_e32 vcc, s0, v3
	s_mov_b64 s[0:1], 0
	s_and_saveexec_b64 s[10:11], vcc
	s_xor_b64 s[10:11], exec, s[10:11]
	s_cbranch_execz .LBB63_469
; %bb.449:
	s_movk_i32 s0, 0x80
	v_cmp_eq_u16_e32 vcc, s0, v3
	s_mov_b64 s[12:13], -1
                                        ; implicit-def: $sgpr8_sgpr9
	s_and_saveexec_b64 s[0:1], vcc
; %bb.450:
	s_mov_b32 s9, 0x7ff80000
	s_brev_b32 s8, 4
	s_xor_b64 s[12:13], exec, -1
; %bb.451:
	s_or_b64 exec, exec, s[0:1]
	s_and_b64 s[0:1], s[12:13], exec
	s_or_saveexec_b64 s[10:11], s[10:11]
	v_pk_mov_b32 v[0:1], s[8:9], s[8:9] op_sel:[0,1]
	s_xor_b64 exec, exec, s[10:11]
	s_cbranch_execnz .LBB63_470
.LBB63_452:
	s_or_b64 exec, exec, s[10:11]
	s_and_saveexec_b64 s[8:9], s[0:1]
	s_cbranch_execz .LBB63_454
.LBB63_453:
	v_and_b32_e32 v1, 0xffff, v3
	v_lshlrev_b32_e32 v0, 24, v3
	v_and_b32_e32 v3, 7, v1
	v_ffbh_u32_e32 v8, v3
	v_min_u32_e32 v8, 32, v8
	v_subrev_u32_e32 v9, 28, v8
	v_bfe_u32 v7, v1, 3, 4
	v_lshlrev_b32_e32 v1, v9, v1
	v_sub_u32_e32 v8, 29, v8
	v_and_b32_e32 v1, 7, v1
	v_cmp_eq_u32_e32 vcc, 0, v7
	v_cndmask_b32_e32 v7, v7, v8, vcc
	v_cndmask_b32_e32 v1, v3, v1, vcc
	v_mov_b32_e32 v3, 0x3b800000
	v_lshlrev_b32_e32 v1, 20, v1
	v_and_b32_e32 v0, 0x80000000, v0
	v_lshl_add_u32 v3, v7, 23, v3
	v_or3_b32 v0, v0, v3, v1
	v_cvt_f64_f32_e32 v[0:1], v0
.LBB63_454:
	s_or_b64 exec, exec, s[8:9]
.LBB63_455:
	s_mov_b64 s[0:1], -1
.LBB63_456:
	s_mov_b64 s[8:9], 0
.LBB63_457:
	s_and_b64 vcc, exec, s[8:9]
	s_cbranch_vccz .LBB63_492
; %bb.458:
	v_cmp_lt_i16_e32 vcc, 22, v6
	s_cbranch_vccz .LBB63_468
; %bb.459:
	v_cmp_gt_i16_e32 vcc, 24, v6
	s_cbranch_vccnz .LBB63_471
; %bb.460:
	v_cmp_lt_i16_e32 vcc, 24, v6
	s_cbranch_vccz .LBB63_472
; %bb.461:
	global_load_ubyte v3, v[4:5], off
	s_movk_i32 s0, 0x7f
                                        ; implicit-def: $sgpr8_sgpr9
	s_waitcnt vmcnt(0)
	v_cmp_lt_i16_e32 vcc, s0, v3
	s_mov_b64 s[0:1], 0
	s_and_saveexec_b64 s[10:11], vcc
	s_xor_b64 s[10:11], exec, s[10:11]
	s_cbranch_execz .LBB63_484
; %bb.462:
	s_movk_i32 s0, 0x80
	v_cmp_eq_u16_e32 vcc, s0, v3
	s_mov_b64 s[12:13], -1
                                        ; implicit-def: $sgpr8_sgpr9
	s_and_saveexec_b64 s[0:1], vcc
; %bb.463:
	s_mov_b32 s9, 0x7ff80000
	s_brev_b32 s8, 4
	s_xor_b64 s[12:13], exec, -1
; %bb.464:
	s_or_b64 exec, exec, s[0:1]
	s_and_b64 s[0:1], s[12:13], exec
	s_or_saveexec_b64 s[10:11], s[10:11]
	v_pk_mov_b32 v[0:1], s[8:9], s[8:9] op_sel:[0,1]
	s_xor_b64 exec, exec, s[10:11]
	s_cbranch_execnz .LBB63_485
.LBB63_465:
	s_or_b64 exec, exec, s[10:11]
	s_and_saveexec_b64 s[8:9], s[0:1]
	s_cbranch_execz .LBB63_467
.LBB63_466:
	v_and_b32_e32 v1, 0xffff, v3
	v_lshlrev_b32_e32 v0, 24, v3
	v_and_b32_e32 v3, 3, v1
	v_ffbh_u32_e32 v8, v3
	v_min_u32_e32 v8, 32, v8
	v_subrev_u32_e32 v9, 29, v8
	v_bfe_u32 v7, v1, 2, 5
	v_lshlrev_b32_e32 v1, v9, v1
	v_sub_u32_e32 v8, 30, v8
	v_and_b32_e32 v1, 3, v1
	v_cmp_eq_u32_e32 vcc, 0, v7
	v_cndmask_b32_e32 v7, v7, v8, vcc
	v_cndmask_b32_e32 v1, v3, v1, vcc
	v_mov_b32_e32 v3, 0x37800000
	v_lshlrev_b32_e32 v1, 21, v1
	v_and_b32_e32 v0, 0x80000000, v0
	v_lshl_add_u32 v3, v7, 23, v3
	v_or3_b32 v0, v0, v3, v1
	v_cvt_f64_f32_e32 v[0:1], v0
.LBB63_467:
	s_or_b64 exec, exec, s[8:9]
	s_mov_b64 s[0:1], 0
	s_branch .LBB63_473
.LBB63_468:
	s_mov_b64 s[8:9], -1
                                        ; implicit-def: $vgpr0_vgpr1
	s_branch .LBB63_479
.LBB63_469:
	s_or_saveexec_b64 s[10:11], s[10:11]
	v_pk_mov_b32 v[0:1], s[8:9], s[8:9] op_sel:[0,1]
	s_xor_b64 exec, exec, s[10:11]
	s_cbranch_execz .LBB63_452
.LBB63_470:
	v_cmp_ne_u16_e32 vcc, 0, v3
	s_andn2_b64 s[0:1], s[0:1], exec
	s_and_b64 s[8:9], vcc, exec
	v_pk_mov_b32 v[0:1], 0, 0
	s_or_b64 s[0:1], s[0:1], s[8:9]
	s_or_b64 exec, exec, s[10:11]
	s_and_saveexec_b64 s[8:9], s[0:1]
	s_cbranch_execnz .LBB63_453
	s_branch .LBB63_454
.LBB63_471:
	s_mov_b64 s[0:1], -1
                                        ; implicit-def: $vgpr0_vgpr1
	s_branch .LBB63_476
.LBB63_472:
	s_mov_b64 s[0:1], -1
                                        ; implicit-def: $vgpr0_vgpr1
.LBB63_473:
	s_and_b64 vcc, exec, s[0:1]
	s_cbranch_vccz .LBB63_475
; %bb.474:
	global_load_ubyte v0, v[4:5], off
	s_mov_b32 s0, 0x7f800000
	s_waitcnt vmcnt(0)
	v_lshlrev_b32_e32 v0, 24, v0
	v_and_b32_e32 v1, 0x7f000000, v0
	v_ffbh_u32_e32 v3, v1
	v_min_u32_e32 v3, 32, v3
	v_sub_u32_e64 v3, v3, 4 clamp
	v_lshlrev_b32_e32 v8, v3, v1
	v_lshlrev_b32_e32 v3, 23, v3
	v_lshrrev_b32_e32 v8, 4, v8
	v_add_u32_e32 v7, 0x1000000, v1
	v_sub_u32_e32 v3, v8, v3
	v_ashrrev_i32_e32 v7, 8, v7
	v_add_u32_e32 v3, 0x3c000000, v3
	v_and_or_b32 v3, v7, s0, v3
	v_cmp_ne_u32_e32 vcc, 0, v1
	v_cndmask_b32_e32 v1, 0, v3, vcc
	s_brev_b32 s0, 1
	v_and_or_b32 v0, v0, s0, v1
	v_cvt_f64_f32_e32 v[0:1], v0
.LBB63_475:
	s_mov_b64 s[0:1], 0
.LBB63_476:
	s_andn2_b64 vcc, exec, s[0:1]
	s_cbranch_vccnz .LBB63_478
; %bb.477:
	global_load_ubyte v0, v[4:5], off
	s_movk_i32 s0, 0x7f00
	s_brev_b32 s1, 16
	s_waitcnt vmcnt(0)
	v_lshlrev_b16_e32 v1, 8, v0
	v_lshlrev_b32_e32 v0, 25, v0
	v_lshrrev_b32_e32 v3, 4, v0
	v_and_or_b32 v7, v1, s0, 0.5
	v_or_b32_e32 v3, 0x70000000, v3
	v_add_f32_e32 v7, -0.5, v7
	v_mul_f32_e32 v3, 0x7800000, v3
	v_cmp_gt_u32_e32 vcc, s1, v0
	v_bfe_i32 v1, v1, 0, 16
	v_cndmask_b32_e32 v0, v3, v7, vcc
	s_brev_b32 s0, 1
	v_and_or_b32 v0, v1, s0, v0
	v_cvt_f64_f32_e32 v[0:1], v0
.LBB63_478:
	s_mov_b64 s[8:9], 0
	s_mov_b64 s[0:1], -1
.LBB63_479:
	s_andn2_b64 vcc, exec, s[8:9]
	s_cbranch_vccnz .LBB63_492
; %bb.480:
	v_cmp_lt_i16_e32 vcc, 14, v6
	s_cbranch_vccz .LBB63_483
; %bb.481:
	v_cmp_eq_u16_e32 vcc, 15, v6
	s_cbranch_vccz .LBB63_486
; %bb.482:
	global_load_ushort v0, v[4:5], off
	s_mov_b64 s[0:1], -1
	s_mov_b64 s[2:3], 0
	s_waitcnt vmcnt(0)
	v_lshlrev_b32_e32 v0, 16, v0
	v_cvt_f64_f32_e32 v[0:1], v0
	s_branch .LBB63_487
.LBB63_483:
	s_mov_b64 s[8:9], -1
                                        ; implicit-def: $vgpr0_vgpr1
	s_branch .LBB63_488
.LBB63_484:
	s_or_saveexec_b64 s[10:11], s[10:11]
	v_pk_mov_b32 v[0:1], s[8:9], s[8:9] op_sel:[0,1]
	s_xor_b64 exec, exec, s[10:11]
	s_cbranch_execz .LBB63_465
.LBB63_485:
	v_cmp_ne_u16_e32 vcc, 0, v3
	s_andn2_b64 s[0:1], s[0:1], exec
	s_and_b64 s[8:9], vcc, exec
	v_pk_mov_b32 v[0:1], 0, 0
	s_or_b64 s[0:1], s[0:1], s[8:9]
	s_or_b64 exec, exec, s[10:11]
	s_and_saveexec_b64 s[8:9], s[0:1]
	s_cbranch_execnz .LBB63_466
	s_branch .LBB63_467
.LBB63_486:
	s_mov_b64 s[2:3], -1
                                        ; implicit-def: $vgpr0_vgpr1
.LBB63_487:
	s_mov_b64 s[8:9], 0
.LBB63_488:
	s_and_b64 vcc, exec, s[8:9]
	s_cbranch_vccz .LBB63_492
; %bb.489:
	v_cmp_eq_u16_e32 vcc, 11, v6
	s_cbranch_vccz .LBB63_491
; %bb.490:
	global_load_ubyte v1, v[4:5], off
	v_mov_b32_e32 v3, 0x3ff00000
	v_mov_b32_e32 v0, 0
	s_mov_b64 s[0:1], -1
	s_mov_b64 s[2:3], 0
	s_waitcnt vmcnt(0)
	v_cmp_ne_u16_e32 vcc, 0, v1
	v_cndmask_b32_e32 v1, 0, v3, vcc
	s_branch .LBB63_492
.LBB63_491:
	s_mov_b64 s[2:3], -1
                                        ; implicit-def: $vgpr0_vgpr1
.LBB63_492:
	s_branch .LBB63_295
.LBB63_493:
	v_cmp_gt_i16_e32 vcc, 5, v6
	s_cbranch_vccnz .LBB63_498
; %bb.494:
	v_cmp_gt_i16_e32 vcc, 8, v6
	s_cbranch_vccnz .LBB63_499
; %bb.495:
	;; [unrolled: 3-line block ×3, first 2 shown]
	v_cmp_lt_i16_e32 vcc, 9, v6
	s_cbranch_vccz .LBB63_501
; %bb.497:
	global_load_dwordx2 v[0:1], v[4:5], off
	s_mov_b64 s[0:1], 0
	s_branch .LBB63_502
.LBB63_498:
	s_mov_b64 s[0:1], -1
                                        ; implicit-def: $vgpr0_vgpr1
	s_branch .LBB63_520
.LBB63_499:
	s_mov_b64 s[0:1], -1
                                        ; implicit-def: $vgpr0_vgpr1
	s_branch .LBB63_508
.LBB63_500:
	s_mov_b64 s[0:1], -1
                                        ; implicit-def: $vgpr0_vgpr1
	s_branch .LBB63_505
.LBB63_501:
	s_mov_b64 s[0:1], -1
                                        ; implicit-def: $vgpr0_vgpr1
.LBB63_502:
	s_andn2_b64 vcc, exec, s[0:1]
	s_cbranch_vccnz .LBB63_504
; %bb.503:
	global_load_dword v0, v[4:5], off
	s_waitcnt vmcnt(0)
	v_cvt_f64_f32_e32 v[0:1], v0
.LBB63_504:
	s_mov_b64 s[0:1], 0
.LBB63_505:
	s_andn2_b64 vcc, exec, s[0:1]
	s_cbranch_vccnz .LBB63_507
; %bb.506:
	global_load_dword v0, v[4:5], off
	s_waitcnt vmcnt(0)
	v_cvt_f32_f16_e32 v0, v0
	v_cvt_f64_f32_e32 v[0:1], v0
.LBB63_507:
	s_mov_b64 s[0:1], 0
.LBB63_508:
	s_andn2_b64 vcc, exec, s[0:1]
	s_cbranch_vccnz .LBB63_519
; %bb.509:
	v_cmp_gt_i16_e32 vcc, 6, v6
	s_cbranch_vccnz .LBB63_512
; %bb.510:
	v_cmp_lt_i16_e32 vcc, 6, v6
	s_cbranch_vccz .LBB63_513
; %bb.511:
	global_load_dwordx2 v[0:1], v[4:5], off
	s_mov_b64 s[0:1], 0
	s_branch .LBB63_514
.LBB63_512:
	s_mov_b64 s[0:1], -1
                                        ; implicit-def: $vgpr0_vgpr1
	s_branch .LBB63_517
.LBB63_513:
	s_mov_b64 s[0:1], -1
                                        ; implicit-def: $vgpr0_vgpr1
.LBB63_514:
	s_andn2_b64 vcc, exec, s[0:1]
	s_cbranch_vccnz .LBB63_516
; %bb.515:
	global_load_dword v0, v[4:5], off
	s_waitcnt vmcnt(0)
	v_cvt_f64_f32_e32 v[0:1], v0
.LBB63_516:
	s_mov_b64 s[0:1], 0
.LBB63_517:
	s_andn2_b64 vcc, exec, s[0:1]
	s_cbranch_vccnz .LBB63_519
; %bb.518:
	global_load_ushort v0, v[4:5], off
	s_waitcnt vmcnt(0)
	v_cvt_f32_f16_e32 v0, v0
	v_cvt_f64_f32_e32 v[0:1], v0
.LBB63_519:
	s_mov_b64 s[0:1], 0
.LBB63_520:
	s_andn2_b64 vcc, exec, s[0:1]
	s_cbranch_vccnz .LBB63_540
; %bb.521:
	v_cmp_gt_i16_e32 vcc, 2, v6
	s_cbranch_vccnz .LBB63_525
; %bb.522:
	v_cmp_gt_i16_e32 vcc, 3, v6
	s_cbranch_vccnz .LBB63_526
; %bb.523:
	v_cmp_lt_i16_e32 vcc, 3, v6
	s_cbranch_vccz .LBB63_527
; %bb.524:
	global_load_dwordx2 v[0:1], v[4:5], off
	s_mov_b64 s[0:1], 0
	s_waitcnt vmcnt(0)
	v_cvt_f64_i32_e32 v[8:9], v1
	v_cvt_f64_u32_e32 v[0:1], v0
	v_ldexp_f64 v[8:9], v[8:9], 32
	v_add_f64 v[0:1], v[8:9], v[0:1]
	s_branch .LBB63_528
.LBB63_525:
	s_mov_b64 s[0:1], -1
                                        ; implicit-def: $vgpr0_vgpr1
	s_branch .LBB63_534
.LBB63_526:
	s_mov_b64 s[0:1], -1
                                        ; implicit-def: $vgpr0_vgpr1
	s_branch .LBB63_531
.LBB63_527:
	s_mov_b64 s[0:1], -1
                                        ; implicit-def: $vgpr0_vgpr1
.LBB63_528:
	s_andn2_b64 vcc, exec, s[0:1]
	s_cbranch_vccnz .LBB63_530
; %bb.529:
	global_load_dword v0, v[4:5], off
	s_waitcnt vmcnt(0)
	v_cvt_f64_i32_e32 v[0:1], v0
.LBB63_530:
	s_mov_b64 s[0:1], 0
.LBB63_531:
	s_andn2_b64 vcc, exec, s[0:1]
	s_cbranch_vccnz .LBB63_533
; %bb.532:
	global_load_sshort v0, v[4:5], off
	s_waitcnt vmcnt(0)
	v_cvt_f64_i32_e32 v[0:1], v0
.LBB63_533:
	s_mov_b64 s[0:1], 0
.LBB63_534:
	s_andn2_b64 vcc, exec, s[0:1]
	s_cbranch_vccnz .LBB63_540
; %bb.535:
	v_cmp_lt_i16_e32 vcc, 0, v6
	s_cbranch_vccz .LBB63_537
; %bb.536:
	global_load_sbyte v0, v[4:5], off
	s_mov_b64 s[0:1], 0
	s_waitcnt vmcnt(0)
	v_cvt_f64_i32_e32 v[0:1], v0
	s_branch .LBB63_538
.LBB63_537:
	s_mov_b64 s[0:1], -1
                                        ; implicit-def: $vgpr0_vgpr1
.LBB63_538:
	s_andn2_b64 vcc, exec, s[0:1]
	s_cbranch_vccnz .LBB63_540
; %bb.539:
	global_load_ubyte v0, v[4:5], off
	s_waitcnt vmcnt(0)
	v_cvt_f64_u32_e32 v[0:1], v0
.LBB63_540:
	s_branch .LBB63_296
.LBB63_541:
	s_mov_b64 s[8:9], 0
	s_mov_b64 s[0:1], s[54:55]
.LBB63_542:
                                        ; implicit-def: $vgpr10
.LBB63_543:
	s_andn2_b64 s[10:11], s[54:55], exec
	s_and_b64 s[0:1], s[0:1], exec
	s_or_b64 s[62:63], s[10:11], s[0:1]
	s_andn2_b64 s[0:1], s[56:57], exec
	s_and_b64 s[2:3], s[2:3], exec
	s_or_b64 s[60:61], s[0:1], s[2:3]
	s_orn2_b64 s[0:1], s[8:9], exec
.LBB63_544:
	s_or_b64 exec, exec, s[64:65]
	s_mov_b64 s[2:3], 0
	s_mov_b64 s[8:9], 0
	;; [unrolled: 1-line block ×3, first 2 shown]
                                        ; implicit-def: $vgpr4_vgpr5
                                        ; implicit-def: $vgpr2
                                        ; implicit-def: $vgpr0_vgpr1
	s_and_saveexec_b64 s[64:65], s[0:1]
	s_cbranch_execz .LBB63_921
; %bb.545:
	v_cmp_gt_i32_e32 vcc, s74, v10
	s_mov_b64 s[2:3], -1
	s_mov_b64 s[68:69], s[60:61]
	s_mov_b64 s[70:71], s[62:63]
	s_and_saveexec_b64 s[66:67], vcc
	s_cbranch_execz .LBB63_820
; %bb.546:
	s_andn2_b64 vcc, exec, s[40:41]
	s_cbranch_vccnz .LBB63_552
; %bb.547:
	s_mov_b32 s68, 0
	s_andn2_b64 vcc, exec, s[52:53]
	s_waitcnt vmcnt(0)
	v_mov_b32_e32 v0, 0
	v_mov_b32_e32 v2, 0
	s_cbranch_vccnz .LBB63_558
; %bb.548:
	s_add_i32 s77, s75, 1
	s_cmp_eq_u32 s76, 2
	s_cbranch_scc1 .LBB63_553
; %bb.549:
	s_and_b32 s68, s77, 28
	s_mov_b32 s69, 0
	v_mov_b32_e32 v2, 0
	s_mov_b64 s[70:71], s[34:35]
	s_mov_b64 s[72:73], s[50:51]
	v_mov_b32_e32 v1, v10
	v_mov_b32_e32 v0, 0
.LBB63_550:                             ; =>This Inner Loop Header: Depth=1
	s_load_dwordx8 s[16:23], s[70:71], 0x4
	s_load_dwordx4 s[0:3], s[70:71], 0x24
	s_load_dwordx8 s[8:15], s[72:73], 0x0
	s_add_u32 s70, s70, 48
	s_addc_u32 s71, s71, 0
	s_waitcnt lgkmcnt(0)
	v_mul_hi_u32 v3, s17, v1
	v_add_u32_e32 v3, v1, v3
	v_lshrrev_b32_e32 v3, s18, v3
	v_mul_lo_u32 v4, v3, s16
	v_mul_hi_u32 v5, s20, v3
	v_sub_u32_e32 v1, v1, v4
	v_add_u32_e32 v4, v3, v5
	v_lshrrev_b32_e32 v4, s21, v4
	v_mul_lo_u32 v7, v4, s19
	v_mul_hi_u32 v8, s23, v4
	v_sub_u32_e32 v3, v3, v7
	v_add_u32_e32 v7, v4, v8
	v_mul_lo_u32 v5, v1, s9
	v_mul_lo_u32 v1, v1, s8
	;; [unrolled: 1-line block ×4, first 2 shown]
	v_lshrrev_b32_e32 v7, s0, v7
	v_add3_u32 v2, v1, v2, v3
	v_mul_lo_u32 v1, v7, s22
	v_mul_hi_u32 v3, s2, v7
	v_sub_u32_e32 v1, v4, v1
	v_add_u32_e32 v3, v7, v3
	v_add3_u32 v0, v5, v0, v8
	v_mul_lo_u32 v4, v1, s12
	v_mul_lo_u32 v5, v1, s13
	v_lshrrev_b32_e32 v1, s3, v3
	s_add_i32 s69, s69, 4
	v_mul_lo_u32 v3, v1, s1
	s_add_u32 s72, s72, 32
	v_sub_u32_e32 v3, v7, v3
	s_addc_u32 s73, s73, 0
	v_mul_lo_u32 v7, v3, s14
	v_mul_lo_u32 v3, v3, s15
	s_cmp_eq_u32 s68, s69
	v_add3_u32 v0, v5, v0, v3
	v_add3_u32 v2, v4, v2, v7
	s_cbranch_scc0 .LBB63_550
; %bb.551:
	v_mov_b32_e32 v3, v0
	s_branch .LBB63_554
.LBB63_552:
	s_mov_b64 s[0:1], -1
                                        ; implicit-def: $vgpr0
                                        ; implicit-def: $vgpr2
	s_branch .LBB63_559
.LBB63_553:
	s_mov_b32 s69, s68
	v_pk_mov_b32 v[2:3], s[68:69], s[68:69] op_sel:[0,1]
                                        ; implicit-def: $vgpr0
	v_mov_b32_e32 v1, v10
.LBB63_554:
	s_and_b32 s8, s77, 3
	s_cmp_eq_u32 s8, 0
	s_cbranch_scc1 .LBB63_558
; %bb.555:
	s_lshl_b32 s0, s68, 3
	s_add_u32 s0, s0, s34
	s_addc_u32 s1, s35, 0
	s_add_u32 s0, s0, 0xc4
	s_addc_u32 s1, s1, 0
	s_mul_i32 s2, s68, 12
	s_add_u32 s2, s34, s2
	s_addc_u32 s3, s35, 0
.LBB63_556:                             ; =>This Inner Loop Header: Depth=1
	s_load_dwordx2 s[10:11], s[2:3], 0x4
	s_load_dword s9, s[2:3], 0xc
	s_load_dwordx2 s[12:13], s[0:1], 0x0
	v_mov_b32_e32 v0, v3
	s_add_u32 s2, s2, 12
	s_waitcnt lgkmcnt(0)
	v_mul_hi_u32 v3, s11, v1
	v_add_u32_e32 v3, v1, v3
	v_lshrrev_b32_e32 v3, s9, v3
	s_addc_u32 s3, s3, 0
	v_mul_lo_u32 v4, v3, s10
	s_add_u32 s0, s0, 8
	v_sub_u32_e32 v7, v1, v4
	v_mov_b32_e32 v1, v3
	s_addc_u32 s1, s1, 0
	s_add_i32 s8, s8, -1
	v_mad_u64_u32 v[4:5], s[10:11], v7, s13, v[0:1]
	v_mad_u64_u32 v[2:3], s[10:11], v7, s12, v[2:3]
	s_cmp_lg_u32 s8, 0
	v_mov_b32_e32 v3, v4
	s_cbranch_scc1 .LBB63_556
; %bb.557:
	v_mov_b32_e32 v0, v3
.LBB63_558:
	s_mov_b64 s[0:1], 0
.LBB63_559:
	s_andn2_b64 vcc, exec, s[0:1]
	s_cbranch_vccnz .LBB63_562
; %bb.560:
	s_waitcnt vmcnt(0)
	v_mul_hi_u32 v0, s29, v10
	v_add_u32_e32 v0, v10, v0
	v_lshrrev_b32_e32 v1, s30, v0
	v_mul_lo_u32 v0, v1, s28
	v_sub_u32_e32 v2, v10, v0
	v_mul_lo_u32 v0, v2, s37
	s_andn2_b64 vcc, exec, s[48:49]
	v_mul_lo_u32 v2, v2, s36
	s_cbranch_vccnz .LBB63_562
; %bb.561:
	v_mul_hi_u32 v3, s46, v1
	v_add_u32_e32 v3, v1, v3
	v_lshrrev_b32_e32 v3, s47, v3
	v_mul_lo_u32 v3, v3, s31
	v_sub_u32_e32 v1, v1, v3
	v_mad_u64_u32 v[2:3], s[0:1], v1, s38, v[2:3]
	v_mad_u64_u32 v[0:1], s[0:1], v1, s39, v[0:1]
.LBB63_562:
	s_waitcnt vmcnt(0)
	v_mov_b32_e32 v1, s27
	v_add_co_u32_e32 v4, vcc, s26, v0
	v_addc_co_u32_e32 v5, vcc, 0, v1, vcc
	v_cmp_gt_i16_e32 vcc, 11, v6
	s_cbranch_vccnz .LBB63_569
; %bb.563:
	v_cmp_lt_i16_e32 vcc, 25, v6
	s_cbranch_vccz .LBB63_570
; %bb.564:
	v_cmp_lt_i16_e32 vcc, 28, v6
	s_cbranch_vccz .LBB63_571
	;; [unrolled: 3-line block ×4, first 2 shown]
; %bb.567:
	v_cmp_eq_u16_e32 vcc, 46, v6
	s_mov_b64 s[8:9], 0
	s_cbranch_vccz .LBB63_578
; %bb.568:
	global_load_dword v0, v[4:5], off
	s_mov_b64 s[0:1], -1
	s_mov_b64 s[2:3], 0
	s_waitcnt vmcnt(0)
	v_lshlrev_b32_e32 v0, 16, v0
	v_cvt_f64_f32_e32 v[0:1], v0
	s_branch .LBB63_579
.LBB63_569:
	s_mov_b64 s[8:9], -1
	s_mov_b64 s[0:1], 0
                                        ; implicit-def: $vgpr0_vgpr1
	s_mov_b64 s[2:3], s[60:61]
	s_branch .LBB63_644
.LBB63_570:
	s_mov_b64 s[8:9], -1
	s_mov_b64 s[0:1], 0
	s_mov_b64 s[2:3], s[60:61]
                                        ; implicit-def: $vgpr0_vgpr1
	s_branch .LBB63_608
.LBB63_571:
	s_mov_b64 s[8:9], -1
	s_mov_b64 s[0:1], 0
	s_mov_b64 s[2:3], s[60:61]
                                        ; implicit-def: $vgpr0_vgpr1
	s_branch .LBB63_589
.LBB63_572:
	s_mov_b64 s[8:9], -1
	s_mov_b64 s[0:1], 0
	s_mov_b64 s[2:3], s[60:61]
                                        ; implicit-def: $vgpr0_vgpr1
	s_branch .LBB63_584
.LBB63_573:
	s_or_saveexec_b64 s[12:13], s[12:13]
                                        ; implicit-def: $sgpr14
	s_xor_b64 exec, exec, s[12:13]
	s_cbranch_execz .LBB63_341
.LBB63_574:
	s_mov_b32 s14, 0x46000000
	v_add_f32_e64 v3, |v2|, s14
	v_and_b32_e32 v3, 0xff, v3
	v_cmp_ne_u32_e32 vcc, 0, v3
	s_andn2_b64 s[10:11], s[10:11], exec
	s_and_b64 s[16:17], vcc, exec
	s_mov_b32 s14, 0
	s_or_b64 s[10:11], s[10:11], s[16:17]
	s_or_b64 exec, exec, s[12:13]
	v_mov_b32_e32 v7, s14
	s_and_saveexec_b64 s[12:13], s[10:11]
	s_cbranch_execnz .LBB63_342
	s_branch .LBB63_343
.LBB63_575:
	s_mov_b64 s[8:9], -1
	s_mov_b64 s[0:1], 0
	s_mov_b64 s[2:3], s[60:61]
                                        ; implicit-def: $vgpr0_vgpr1
	s_branch .LBB63_579
.LBB63_576:
	s_or_saveexec_b64 s[12:13], s[12:13]
                                        ; implicit-def: $sgpr14
	s_xor_b64 exec, exec, s[12:13]
	s_cbranch_execz .LBB63_354
.LBB63_577:
	s_mov_b32 s14, 0x42800000
	v_add_f32_e64 v3, |v2|, s14
	v_and_b32_e32 v3, 0xff, v3
	v_cmp_ne_u32_e32 vcc, 0, v3
	s_andn2_b64 s[10:11], s[10:11], exec
	s_and_b64 s[16:17], vcc, exec
	s_mov_b32 s14, 0
	s_or_b64 s[10:11], s[10:11], s[16:17]
	s_or_b64 exec, exec, s[12:13]
	v_mov_b32_e32 v7, s14
	s_and_saveexec_b64 s[12:13], s[10:11]
	s_cbranch_execnz .LBB63_355
	s_branch .LBB63_356
.LBB63_578:
	s_mov_b64 s[2:3], -1
                                        ; implicit-def: $vgpr0_vgpr1
	s_mov_b64 s[0:1], 0
.LBB63_579:
	s_and_b64 vcc, exec, s[8:9]
	s_cbranch_vccz .LBB63_583
; %bb.580:
	v_cmp_eq_u16_e32 vcc, 44, v6
	s_cbranch_vccz .LBB63_582
; %bb.581:
	global_load_ubyte v3, v[4:5], off
	s_movk_i32 s2, 0xff
	v_bfrev_b32_e32 v7, 4
	v_mov_b32_e32 v8, 0x7ff80000
	v_bfrev_b32_e32 v9, 28
	s_mov_b64 s[0:1], -1
	s_waitcnt vmcnt(0)
	v_lshlrev_b32_e32 v0, 23, v3
	v_cvt_f64_f32_e32 v[0:1], v0
	v_cmp_ne_u32_e32 vcc, s2, v3
	v_cndmask_b32_e32 v0, v7, v0, vcc
	v_cndmask_b32_e32 v1, v8, v1, vcc
	v_cmp_ne_u32_e32 vcc, 0, v3
	v_cndmask_b32_e32 v1, v9, v1, vcc
	v_cndmask_b32_e32 v0, 0, v0, vcc
	s_mov_b64 s[2:3], 0
	s_branch .LBB63_583
.LBB63_582:
	s_mov_b64 s[2:3], -1
                                        ; implicit-def: $vgpr0_vgpr1
.LBB63_583:
	s_mov_b64 s[8:9], 0
.LBB63_584:
	s_and_b64 vcc, exec, s[8:9]
	s_cbranch_vccz .LBB63_588
; %bb.585:
	v_cmp_eq_u16_e32 vcc, 29, v6
	s_cbranch_vccz .LBB63_587
; %bb.586:
	global_load_dwordx2 v[0:1], v[4:5], off
	s_mov_b64 s[0:1], -1
	s_mov_b64 s[2:3], 0
	s_mov_b64 s[8:9], 0
	s_waitcnt vmcnt(0)
	v_cvt_f64_u32_e32 v[8:9], v1
	v_cvt_f64_u32_e32 v[0:1], v0
	v_ldexp_f64 v[8:9], v[8:9], 32
	v_add_f64 v[0:1], v[8:9], v[0:1]
	s_branch .LBB63_589
.LBB63_587:
	s_mov_b64 s[2:3], -1
                                        ; implicit-def: $vgpr0_vgpr1
.LBB63_588:
	s_mov_b64 s[8:9], 0
.LBB63_589:
	s_and_b64 vcc, exec, s[8:9]
	s_cbranch_vccz .LBB63_607
; %bb.590:
	v_cmp_gt_i16_e32 vcc, 27, v6
	s_cbranch_vccnz .LBB63_593
; %bb.591:
	v_cmp_lt_i16_e32 vcc, 27, v6
	s_cbranch_vccz .LBB63_594
; %bb.592:
	global_load_dword v0, v[4:5], off
	s_mov_b64 s[0:1], 0
	s_waitcnt vmcnt(0)
	v_cvt_f64_u32_e32 v[0:1], v0
	s_branch .LBB63_595
.LBB63_593:
	s_mov_b64 s[0:1], -1
                                        ; implicit-def: $vgpr0_vgpr1
	s_branch .LBB63_598
.LBB63_594:
	s_mov_b64 s[0:1], -1
                                        ; implicit-def: $vgpr0_vgpr1
.LBB63_595:
	s_andn2_b64 vcc, exec, s[0:1]
	s_cbranch_vccnz .LBB63_597
; %bb.596:
	global_load_ushort v0, v[4:5], off
	s_waitcnt vmcnt(0)
	v_cvt_f64_u32_e32 v[0:1], v0
.LBB63_597:
	s_mov_b64 s[0:1], 0
.LBB63_598:
	s_andn2_b64 vcc, exec, s[0:1]
	s_cbranch_vccnz .LBB63_606
; %bb.599:
	global_load_ubyte v3, v[4:5], off
	s_movk_i32 s0, 0x7f
                                        ; implicit-def: $sgpr8_sgpr9
	s_waitcnt vmcnt(0)
	v_cmp_lt_i16_e32 vcc, s0, v3
	s_mov_b64 s[0:1], 0
	s_and_saveexec_b64 s[10:11], vcc
	s_xor_b64 s[10:11], exec, s[10:11]
	s_cbranch_execz .LBB63_620
; %bb.600:
	s_movk_i32 s0, 0x80
	v_cmp_eq_u16_e32 vcc, s0, v3
	s_mov_b64 s[12:13], -1
                                        ; implicit-def: $sgpr8_sgpr9
	s_and_saveexec_b64 s[0:1], vcc
; %bb.601:
	s_mov_b32 s9, 0x7ff80000
	s_brev_b32 s8, 4
	s_xor_b64 s[12:13], exec, -1
; %bb.602:
	s_or_b64 exec, exec, s[0:1]
	s_and_b64 s[0:1], s[12:13], exec
	s_or_saveexec_b64 s[10:11], s[10:11]
	v_pk_mov_b32 v[0:1], s[8:9], s[8:9] op_sel:[0,1]
	s_xor_b64 exec, exec, s[10:11]
	s_cbranch_execnz .LBB63_621
.LBB63_603:
	s_or_b64 exec, exec, s[10:11]
	s_and_saveexec_b64 s[8:9], s[0:1]
	s_cbranch_execz .LBB63_605
.LBB63_604:
	v_and_b32_e32 v1, 0xffff, v3
	v_lshlrev_b32_e32 v0, 24, v3
	v_and_b32_e32 v3, 7, v1
	v_ffbh_u32_e32 v8, v3
	v_min_u32_e32 v8, 32, v8
	v_subrev_u32_e32 v9, 28, v8
	v_bfe_u32 v7, v1, 3, 4
	v_lshlrev_b32_e32 v1, v9, v1
	v_sub_u32_e32 v8, 29, v8
	v_and_b32_e32 v1, 7, v1
	v_cmp_eq_u32_e32 vcc, 0, v7
	v_cndmask_b32_e32 v7, v7, v8, vcc
	v_cndmask_b32_e32 v1, v3, v1, vcc
	v_mov_b32_e32 v3, 0x3b800000
	v_lshlrev_b32_e32 v1, 20, v1
	v_and_b32_e32 v0, 0x80000000, v0
	v_lshl_add_u32 v3, v7, 23, v3
	v_or3_b32 v0, v0, v3, v1
	v_cvt_f64_f32_e32 v[0:1], v0
.LBB63_605:
	s_or_b64 exec, exec, s[8:9]
.LBB63_606:
	s_mov_b64 s[0:1], -1
.LBB63_607:
	s_mov_b64 s[8:9], 0
.LBB63_608:
	s_and_b64 vcc, exec, s[8:9]
	s_cbranch_vccz .LBB63_643
; %bb.609:
	v_cmp_lt_i16_e32 vcc, 22, v6
	s_cbranch_vccz .LBB63_619
; %bb.610:
	v_cmp_gt_i16_e32 vcc, 24, v6
	s_cbranch_vccnz .LBB63_622
; %bb.611:
	v_cmp_lt_i16_e32 vcc, 24, v6
	s_cbranch_vccz .LBB63_623
; %bb.612:
	global_load_ubyte v3, v[4:5], off
	s_movk_i32 s0, 0x7f
                                        ; implicit-def: $sgpr8_sgpr9
	s_waitcnt vmcnt(0)
	v_cmp_lt_i16_e32 vcc, s0, v3
	s_mov_b64 s[0:1], 0
	s_and_saveexec_b64 s[10:11], vcc
	s_xor_b64 s[10:11], exec, s[10:11]
	s_cbranch_execz .LBB63_635
; %bb.613:
	s_movk_i32 s0, 0x80
	v_cmp_eq_u16_e32 vcc, s0, v3
	s_mov_b64 s[12:13], -1
                                        ; implicit-def: $sgpr8_sgpr9
	s_and_saveexec_b64 s[0:1], vcc
; %bb.614:
	s_mov_b32 s9, 0x7ff80000
	s_brev_b32 s8, 4
	s_xor_b64 s[12:13], exec, -1
; %bb.615:
	s_or_b64 exec, exec, s[0:1]
	s_and_b64 s[0:1], s[12:13], exec
	s_or_saveexec_b64 s[10:11], s[10:11]
	v_pk_mov_b32 v[0:1], s[8:9], s[8:9] op_sel:[0,1]
	s_xor_b64 exec, exec, s[10:11]
	s_cbranch_execnz .LBB63_636
.LBB63_616:
	s_or_b64 exec, exec, s[10:11]
	s_and_saveexec_b64 s[8:9], s[0:1]
	s_cbranch_execz .LBB63_618
.LBB63_617:
	v_and_b32_e32 v1, 0xffff, v3
	v_lshlrev_b32_e32 v0, 24, v3
	v_and_b32_e32 v3, 3, v1
	v_ffbh_u32_e32 v8, v3
	v_min_u32_e32 v8, 32, v8
	v_subrev_u32_e32 v9, 29, v8
	v_bfe_u32 v7, v1, 2, 5
	v_lshlrev_b32_e32 v1, v9, v1
	v_sub_u32_e32 v8, 30, v8
	v_and_b32_e32 v1, 3, v1
	v_cmp_eq_u32_e32 vcc, 0, v7
	v_cndmask_b32_e32 v7, v7, v8, vcc
	v_cndmask_b32_e32 v1, v3, v1, vcc
	v_mov_b32_e32 v3, 0x37800000
	v_lshlrev_b32_e32 v1, 21, v1
	v_and_b32_e32 v0, 0x80000000, v0
	v_lshl_add_u32 v3, v7, 23, v3
	v_or3_b32 v0, v0, v3, v1
	v_cvt_f64_f32_e32 v[0:1], v0
.LBB63_618:
	s_or_b64 exec, exec, s[8:9]
	s_mov_b64 s[0:1], 0
	s_branch .LBB63_624
.LBB63_619:
	s_mov_b64 s[8:9], -1
                                        ; implicit-def: $vgpr0_vgpr1
	s_branch .LBB63_630
.LBB63_620:
	s_or_saveexec_b64 s[10:11], s[10:11]
	v_pk_mov_b32 v[0:1], s[8:9], s[8:9] op_sel:[0,1]
	s_xor_b64 exec, exec, s[10:11]
	s_cbranch_execz .LBB63_603
.LBB63_621:
	v_cmp_ne_u16_e32 vcc, 0, v3
	s_andn2_b64 s[0:1], s[0:1], exec
	s_and_b64 s[8:9], vcc, exec
	v_pk_mov_b32 v[0:1], 0, 0
	s_or_b64 s[0:1], s[0:1], s[8:9]
	s_or_b64 exec, exec, s[10:11]
	s_and_saveexec_b64 s[8:9], s[0:1]
	s_cbranch_execnz .LBB63_604
	s_branch .LBB63_605
.LBB63_622:
	s_mov_b64 s[0:1], -1
                                        ; implicit-def: $vgpr0_vgpr1
	s_branch .LBB63_627
.LBB63_623:
	s_mov_b64 s[0:1], -1
                                        ; implicit-def: $vgpr0_vgpr1
.LBB63_624:
	s_and_b64 vcc, exec, s[0:1]
	s_cbranch_vccz .LBB63_626
; %bb.625:
	global_load_ubyte v0, v[4:5], off
	s_mov_b32 s0, 0x7f800000
	s_waitcnt vmcnt(0)
	v_lshlrev_b32_e32 v0, 24, v0
	v_and_b32_e32 v1, 0x7f000000, v0
	v_ffbh_u32_e32 v3, v1
	v_min_u32_e32 v3, 32, v3
	v_sub_u32_e64 v3, v3, 4 clamp
	v_lshlrev_b32_e32 v8, v3, v1
	v_lshlrev_b32_e32 v3, 23, v3
	v_lshrrev_b32_e32 v8, 4, v8
	v_add_u32_e32 v7, 0x1000000, v1
	v_sub_u32_e32 v3, v8, v3
	v_ashrrev_i32_e32 v7, 8, v7
	v_add_u32_e32 v3, 0x3c000000, v3
	v_and_or_b32 v3, v7, s0, v3
	v_cmp_ne_u32_e32 vcc, 0, v1
	v_cndmask_b32_e32 v1, 0, v3, vcc
	s_brev_b32 s0, 1
	v_and_or_b32 v0, v0, s0, v1
	v_cvt_f64_f32_e32 v[0:1], v0
.LBB63_626:
	s_mov_b64 s[0:1], 0
.LBB63_627:
	s_andn2_b64 vcc, exec, s[0:1]
	s_cbranch_vccnz .LBB63_629
; %bb.628:
	global_load_ubyte v0, v[4:5], off
	s_movk_i32 s0, 0x7f00
	s_brev_b32 s1, 16
	s_waitcnt vmcnt(0)
	v_lshlrev_b16_e32 v1, 8, v0
	v_lshlrev_b32_e32 v0, 25, v0
	v_lshrrev_b32_e32 v3, 4, v0
	v_and_or_b32 v7, v1, s0, 0.5
	v_or_b32_e32 v3, 0x70000000, v3
	v_add_f32_e32 v7, -0.5, v7
	v_mul_f32_e32 v3, 0x7800000, v3
	v_cmp_gt_u32_e32 vcc, s1, v0
	v_bfe_i32 v1, v1, 0, 16
	v_cndmask_b32_e32 v0, v3, v7, vcc
	s_brev_b32 s0, 1
	v_and_or_b32 v0, v1, s0, v0
	v_cvt_f64_f32_e32 v[0:1], v0
.LBB63_629:
	s_mov_b64 s[8:9], 0
	s_mov_b64 s[0:1], -1
.LBB63_630:
	s_andn2_b64 vcc, exec, s[8:9]
	s_cbranch_vccnz .LBB63_643
; %bb.631:
	v_cmp_lt_i16_e32 vcc, 14, v6
	s_cbranch_vccz .LBB63_634
; %bb.632:
	v_cmp_eq_u16_e32 vcc, 15, v6
	s_cbranch_vccz .LBB63_637
; %bb.633:
	global_load_ushort v0, v[4:5], off
	s_mov_b64 s[0:1], -1
	s_mov_b64 s[2:3], 0
	s_waitcnt vmcnt(0)
	v_lshlrev_b32_e32 v0, 16, v0
	v_cvt_f64_f32_e32 v[0:1], v0
	s_branch .LBB63_638
.LBB63_634:
	s_mov_b64 s[8:9], -1
                                        ; implicit-def: $vgpr0_vgpr1
	s_branch .LBB63_639
.LBB63_635:
	s_or_saveexec_b64 s[10:11], s[10:11]
	v_pk_mov_b32 v[0:1], s[8:9], s[8:9] op_sel:[0,1]
	s_xor_b64 exec, exec, s[10:11]
	s_cbranch_execz .LBB63_616
.LBB63_636:
	v_cmp_ne_u16_e32 vcc, 0, v3
	s_andn2_b64 s[0:1], s[0:1], exec
	s_and_b64 s[8:9], vcc, exec
	v_pk_mov_b32 v[0:1], 0, 0
	s_or_b64 s[0:1], s[0:1], s[8:9]
	s_or_b64 exec, exec, s[10:11]
	s_and_saveexec_b64 s[8:9], s[0:1]
	s_cbranch_execnz .LBB63_617
	s_branch .LBB63_618
.LBB63_637:
	s_mov_b64 s[2:3], -1
                                        ; implicit-def: $vgpr0_vgpr1
.LBB63_638:
	s_mov_b64 s[8:9], 0
.LBB63_639:
	s_and_b64 vcc, exec, s[8:9]
	s_cbranch_vccz .LBB63_643
; %bb.640:
	v_cmp_eq_u16_e32 vcc, 11, v6
	s_cbranch_vccz .LBB63_642
; %bb.641:
	global_load_ubyte v1, v[4:5], off
	v_mov_b32_e32 v3, 0x3ff00000
	v_mov_b32_e32 v0, 0
	s_mov_b64 s[0:1], -1
	s_mov_b64 s[2:3], 0
	s_waitcnt vmcnt(0)
	v_cmp_ne_u16_e32 vcc, 0, v1
	v_cndmask_b32_e32 v1, 0, v3, vcc
	s_branch .LBB63_643
.LBB63_642:
	s_mov_b64 s[2:3], -1
                                        ; implicit-def: $vgpr0_vgpr1
.LBB63_643:
	s_mov_b64 s[8:9], 0
.LBB63_644:
	s_and_b64 vcc, exec, s[8:9]
	s_cbranch_vccz .LBB63_693
; %bb.645:
	v_cmp_gt_i16_e32 vcc, 5, v6
	s_cbranch_vccnz .LBB63_650
; %bb.646:
	v_cmp_gt_i16_e32 vcc, 8, v6
	s_cbranch_vccnz .LBB63_651
	;; [unrolled: 3-line block ×3, first 2 shown]
; %bb.648:
	v_cmp_lt_i16_e32 vcc, 9, v6
	s_cbranch_vccz .LBB63_653
; %bb.649:
	global_load_dwordx2 v[0:1], v[4:5], off
	s_mov_b64 s[0:1], 0
	s_branch .LBB63_654
.LBB63_650:
	s_mov_b64 s[0:1], -1
                                        ; implicit-def: $vgpr0_vgpr1
	s_branch .LBB63_672
.LBB63_651:
	s_mov_b64 s[0:1], -1
                                        ; implicit-def: $vgpr0_vgpr1
	s_branch .LBB63_660
.LBB63_652:
	s_mov_b64 s[0:1], -1
                                        ; implicit-def: $vgpr0_vgpr1
	s_branch .LBB63_657
.LBB63_653:
	s_mov_b64 s[0:1], -1
                                        ; implicit-def: $vgpr0_vgpr1
.LBB63_654:
	s_andn2_b64 vcc, exec, s[0:1]
	s_cbranch_vccnz .LBB63_656
; %bb.655:
	global_load_dword v0, v[4:5], off
	s_waitcnt vmcnt(0)
	v_cvt_f64_f32_e32 v[0:1], v0
.LBB63_656:
	s_mov_b64 s[0:1], 0
.LBB63_657:
	s_andn2_b64 vcc, exec, s[0:1]
	s_cbranch_vccnz .LBB63_659
; %bb.658:
	global_load_dword v0, v[4:5], off
	s_waitcnt vmcnt(0)
	v_cvt_f32_f16_e32 v0, v0
	v_cvt_f64_f32_e32 v[0:1], v0
.LBB63_659:
	s_mov_b64 s[0:1], 0
.LBB63_660:
	s_andn2_b64 vcc, exec, s[0:1]
	s_cbranch_vccnz .LBB63_671
; %bb.661:
	v_cmp_gt_i16_e32 vcc, 6, v6
	s_cbranch_vccnz .LBB63_664
; %bb.662:
	v_cmp_lt_i16_e32 vcc, 6, v6
	s_cbranch_vccz .LBB63_665
; %bb.663:
	global_load_dwordx2 v[0:1], v[4:5], off
	s_mov_b64 s[0:1], 0
	s_branch .LBB63_666
.LBB63_664:
	s_mov_b64 s[0:1], -1
                                        ; implicit-def: $vgpr0_vgpr1
	s_branch .LBB63_669
.LBB63_665:
	s_mov_b64 s[0:1], -1
                                        ; implicit-def: $vgpr0_vgpr1
.LBB63_666:
	s_andn2_b64 vcc, exec, s[0:1]
	s_cbranch_vccnz .LBB63_668
; %bb.667:
	global_load_dword v0, v[4:5], off
	s_waitcnt vmcnt(0)
	v_cvt_f64_f32_e32 v[0:1], v0
.LBB63_668:
	s_mov_b64 s[0:1], 0
.LBB63_669:
	s_andn2_b64 vcc, exec, s[0:1]
	s_cbranch_vccnz .LBB63_671
; %bb.670:
	global_load_ushort v0, v[4:5], off
	s_waitcnt vmcnt(0)
	v_cvt_f32_f16_e32 v0, v0
	v_cvt_f64_f32_e32 v[0:1], v0
.LBB63_671:
	s_mov_b64 s[0:1], 0
.LBB63_672:
	s_andn2_b64 vcc, exec, s[0:1]
	s_cbranch_vccnz .LBB63_692
; %bb.673:
	v_cmp_gt_i16_e32 vcc, 2, v6
	s_cbranch_vccnz .LBB63_677
; %bb.674:
	v_cmp_gt_i16_e32 vcc, 3, v6
	s_cbranch_vccnz .LBB63_678
; %bb.675:
	v_cmp_lt_i16_e32 vcc, 3, v6
	s_cbranch_vccz .LBB63_679
; %bb.676:
	global_load_dwordx2 v[0:1], v[4:5], off
	s_mov_b64 s[0:1], 0
	s_waitcnt vmcnt(0)
	v_cvt_f64_i32_e32 v[8:9], v1
	v_cvt_f64_u32_e32 v[0:1], v0
	v_ldexp_f64 v[8:9], v[8:9], 32
	v_add_f64 v[0:1], v[8:9], v[0:1]
	s_branch .LBB63_680
.LBB63_677:
	s_mov_b64 s[0:1], -1
                                        ; implicit-def: $vgpr0_vgpr1
	s_branch .LBB63_686
.LBB63_678:
	s_mov_b64 s[0:1], -1
                                        ; implicit-def: $vgpr0_vgpr1
	s_branch .LBB63_683
.LBB63_679:
	s_mov_b64 s[0:1], -1
                                        ; implicit-def: $vgpr0_vgpr1
.LBB63_680:
	s_andn2_b64 vcc, exec, s[0:1]
	s_cbranch_vccnz .LBB63_682
; %bb.681:
	global_load_dword v0, v[4:5], off
	s_waitcnt vmcnt(0)
	v_cvt_f64_i32_e32 v[0:1], v0
.LBB63_682:
	s_mov_b64 s[0:1], 0
.LBB63_683:
	s_andn2_b64 vcc, exec, s[0:1]
	s_cbranch_vccnz .LBB63_685
; %bb.684:
	global_load_sshort v0, v[4:5], off
	s_waitcnt vmcnt(0)
	v_cvt_f64_i32_e32 v[0:1], v0
.LBB63_685:
	s_mov_b64 s[0:1], 0
.LBB63_686:
	s_andn2_b64 vcc, exec, s[0:1]
	s_cbranch_vccnz .LBB63_692
; %bb.687:
	v_cmp_lt_i16_e32 vcc, 0, v6
	s_cbranch_vccz .LBB63_689
; %bb.688:
	global_load_sbyte v0, v[4:5], off
	s_mov_b64 s[0:1], 0
	s_waitcnt vmcnt(0)
	v_cvt_f64_i32_e32 v[0:1], v0
	s_branch .LBB63_690
.LBB63_689:
	s_mov_b64 s[0:1], -1
                                        ; implicit-def: $vgpr0_vgpr1
.LBB63_690:
	s_andn2_b64 vcc, exec, s[0:1]
	s_cbranch_vccnz .LBB63_692
; %bb.691:
	global_load_ubyte v0, v[4:5], off
	s_waitcnt vmcnt(0)
	v_cvt_f64_u32_e32 v[0:1], v0
.LBB63_692:
	s_mov_b64 s[0:1], -1
.LBB63_693:
	s_andn2_b64 vcc, exec, s[0:1]
	s_cbranch_vccnz .LBB63_701
; %bb.694:
	s_brev_b32 s0, -2
	v_mov_b32_e32 v3, s45
	s_waitcnt vmcnt(0)
	v_bfi_b32 v1, s0, v1, v3
	v_mov_b32_e32 v3, s25
	v_add_co_u32_e32 v4, vcc, s24, v2
	v_mov_b32_e32 v2, 11
	v_addc_co_u32_e32 v5, vcc, 0, v3, vcc
	v_cmp_lt_i16_sdwa s[0:1], s44, v2 src0_sel:BYTE_0 src1_sel:DWORD
	s_and_b64 vcc, exec, s[0:1]
	s_cbranch_vccnz .LBB63_702
; %bb.695:
	v_mov_b32_e32 v2, 25
	v_cmp_gt_i16_sdwa s[0:1], s44, v2 src0_sel:BYTE_0 src1_sel:DWORD
	s_and_b64 vcc, exec, s[0:1]
	s_cbranch_vccz .LBB63_703
; %bb.696:
	v_mov_b32_e32 v2, 28
	v_cmp_gt_i16_sdwa s[0:1], s44, v2 src0_sel:BYTE_0 src1_sel:DWORD
	s_and_b64 vcc, exec, s[0:1]
	s_cbranch_vccz .LBB63_704
	;; [unrolled: 5-line block ×4, first 2 shown]
; %bb.699:
	v_mov_b32_e32 v2, 46
	v_cmp_eq_u16_sdwa s[8:9], s44, v2 src0_sel:BYTE_0 src1_sel:DWORD
	s_mov_b64 s[10:11], 0
	s_mov_b64 s[0:1], -1
	s_and_b64 vcc, exec, s[8:9]
	s_mov_b64 s[8:9], 0
	s_cbranch_vccz .LBB63_707
; %bb.700:
	v_cvt_f32_f64_e32 v2, v[0:1]
	v_bfe_u32 v3, v2, 16, 1
	s_movk_i32 s0, 0x7fff
	v_add3_u32 v3, v2, v3, s0
	v_lshrrev_b32_e32 v3, 16, v3
	v_mov_b32_e32 v7, 0x7fc0
	v_cmp_o_f32_e32 vcc, v2, v2
	v_cndmask_b32_e32 v2, v7, v3, vcc
	global_store_dword v[4:5], v2, off
	s_mov_b64 s[8:9], -1
	s_mov_b64 s[0:1], 0
	s_branch .LBB63_707
.LBB63_701:
	s_mov_b64 s[8:9], 0
	s_mov_b64 s[0:1], s[62:63]
	s_branch .LBB63_818
.LBB63_702:
	s_mov_b64 s[10:11], -1
	s_mov_b64 s[8:9], 0
	s_mov_b64 s[0:1], s[62:63]
	s_branch .LBB63_776
.LBB63_703:
	s_mov_b64 s[10:11], -1
	s_mov_b64 s[8:9], 0
	s_mov_b64 s[0:1], s[62:63]
	s_branch .LBB63_734
.LBB63_704:
	s_mov_b64 s[10:11], -1
	s_mov_b64 s[8:9], 0
	s_mov_b64 s[0:1], s[62:63]
	s_branch .LBB63_717
.LBB63_705:
	s_mov_b64 s[10:11], -1
	s_mov_b64 s[8:9], 0
	s_mov_b64 s[0:1], s[62:63]
	s_branch .LBB63_713
.LBB63_706:
	s_mov_b64 s[10:11], -1
	s_mov_b64 s[8:9], 0
	s_mov_b64 s[0:1], s[62:63]
.LBB63_707:
	s_and_b64 vcc, exec, s[10:11]
	s_cbranch_vccz .LBB63_712
; %bb.708:
	v_mov_b32_e32 v2, 44
	v_cmp_eq_u16_sdwa s[10:11], s44, v2 src0_sel:BYTE_0 src1_sel:DWORD
	s_mov_b64 s[0:1], -1
	s_and_b64 vcc, exec, s[10:11]
	s_cbranch_vccz .LBB63_712
; %bb.709:
	v_cvt_f32_f64_e32 v2, v[0:1]
	v_bfe_u32 v3, v2, 23, 8
	s_movk_i32 s0, 0xff
	v_cmp_ne_u32_e32 vcc, s0, v3
	v_mov_b32_e32 v7, 0xff
	s_and_saveexec_b64 s[8:9], vcc
; %bb.710:
	s_mov_b32 s0, 0x3fffff
	v_lshrrev_b32_e32 v7, 23, v2
	v_and_b32_e32 v8, 0x400000, v2
	v_and_or_b32 v2, v2, s0, v3
	v_cmp_ne_u32_e32 vcc, 0, v8
	v_cmp_ne_u32_e64 s[0:1], 0, v2
	s_and_b64 s[0:1], vcc, s[0:1]
	v_cndmask_b32_e64 v2, 0, 1, s[0:1]
	v_add_u32_e32 v7, v7, v2
; %bb.711:
	s_or_b64 exec, exec, s[8:9]
	s_mov_b64 s[8:9], -1
	s_mov_b64 s[0:1], 0
	global_store_byte v[4:5], v7, off
.LBB63_712:
	s_mov_b64 s[10:11], 0
.LBB63_713:
	s_and_b64 vcc, exec, s[10:11]
	s_cbranch_vccz .LBB63_716
; %bb.714:
	v_mov_b32_e32 v2, 29
	v_cmp_eq_u16_sdwa s[10:11], s44, v2 src0_sel:BYTE_0 src1_sel:DWORD
	s_mov_b64 s[0:1], -1
	s_and_b64 vcc, exec, s[10:11]
	s_cbranch_vccz .LBB63_716
; %bb.715:
	v_trunc_f64_e32 v[2:3], v[0:1]
	s_movk_i32 s0, 0xffe0
	v_ldexp_f64 v[8:9], v[2:3], s0
	v_floor_f64_e32 v[8:9], v[8:9]
	v_fmac_f64_e32 v[2:3], 0xc1f00000, v[8:9]
	v_cvt_u32_f64_e32 v13, v[8:9]
	v_cvt_u32_f64_e32 v12, v[2:3]
	global_store_dwordx2 v[4:5], v[12:13], off
	s_mov_b64 s[8:9], -1
	s_mov_b64 s[0:1], 0
.LBB63_716:
	s_mov_b64 s[10:11], 0
.LBB63_717:
	s_and_b64 vcc, exec, s[10:11]
	s_cbranch_vccz .LBB63_733
; %bb.718:
	v_mov_b32_e32 v2, 27
	v_cmp_lt_i16_sdwa s[10:11], s44, v2 src0_sel:BYTE_0 src1_sel:DWORD
	s_mov_b64 s[8:9], -1
	s_and_b64 vcc, exec, s[10:11]
	s_cbranch_vccnz .LBB63_724
; %bb.719:
	v_cmp_gt_i16_sdwa s[10:11], s44, v2 src0_sel:BYTE_0 src1_sel:DWORD
	s_and_b64 vcc, exec, s[10:11]
	v_cvt_u32_f64_e32 v2, v[0:1]
	s_cbranch_vccz .LBB63_721
; %bb.720:
	s_mov_b64 s[8:9], 0
	global_store_dword v[4:5], v2, off
.LBB63_721:
	s_andn2_b64 vcc, exec, s[8:9]
	s_cbranch_vccnz .LBB63_723
; %bb.722:
	global_store_short v[4:5], v2, off
.LBB63_723:
	s_mov_b64 s[8:9], 0
.LBB63_724:
	s_andn2_b64 vcc, exec, s[8:9]
	s_cbranch_vccnz .LBB63_732
; %bb.725:
	v_cvt_f32_f64_e32 v2, v[0:1]
	v_and_b32_e32 v3, 0x7fffffff, v2
	s_mov_b32 s8, 0x43800000
	v_cmp_gt_u32_e32 vcc, s8, v3
	v_mov_b32_e32 v7, 0x80
	s_and_saveexec_b64 s[8:9], vcc
	s_cbranch_execz .LBB63_731
; %bb.726:
	s_mov_b32 s10, 0x3bffffff
	v_cmp_lt_u32_e32 vcc, s10, v3
	s_mov_b64 s[10:11], 0
                                        ; implicit-def: $vgpr3
	s_and_saveexec_b64 s[12:13], vcc
	s_xor_b64 s[12:13], exec, s[12:13]
	s_cbranch_execz .LBB63_849
; %bb.727:
	v_bfe_u32 v3, v2, 20, 1
	s_mov_b32 s14, 0x487ffff
	v_add3_u32 v3, v2, v3, s14
	s_mov_b64 s[10:11], exec
	v_lshrrev_b32_e32 v3, 20, v3
	s_or_saveexec_b64 s[12:13], s[12:13]
                                        ; implicit-def: $sgpr14
	s_xor_b64 exec, exec, s[12:13]
	s_cbranch_execnz .LBB63_850
.LBB63_728:
	s_or_b64 exec, exec, s[12:13]
	v_mov_b32_e32 v7, s14
	s_and_saveexec_b64 s[12:13], s[10:11]
.LBB63_729:
	v_lshrrev_b32_e32 v2, 24, v2
	s_movk_i32 s10, 0x80
	v_and_or_b32 v7, v2, s10, v3
.LBB63_730:
	s_or_b64 exec, exec, s[12:13]
.LBB63_731:
	s_or_b64 exec, exec, s[8:9]
	global_store_byte v[4:5], v7, off
.LBB63_732:
	s_mov_b64 s[8:9], -1
.LBB63_733:
	s_mov_b64 s[10:11], 0
.LBB63_734:
	s_and_b64 vcc, exec, s[10:11]
	s_cbranch_vccz .LBB63_775
; %bb.735:
	v_mov_b32_e32 v2, 22
	v_cmp_gt_i16_sdwa s[12:13], s44, v2 src0_sel:BYTE_0 src1_sel:DWORD
	s_mov_b64 s[10:11], -1
	s_and_b64 vcc, exec, s[12:13]
	s_cbranch_vccz .LBB63_767
; %bb.736:
	v_mov_b32_e32 v2, 24
	v_cmp_lt_i16_sdwa s[10:11], s44, v2 src0_sel:BYTE_0 src1_sel:DWORD
	s_mov_b64 s[8:9], -1
	s_and_b64 vcc, exec, s[10:11]
	s_cbranch_vccnz .LBB63_756
; %bb.737:
	v_cmp_gt_i16_sdwa s[10:11], s44, v2 src0_sel:BYTE_0 src1_sel:DWORD
	s_and_b64 vcc, exec, s[10:11]
	s_cbranch_vccz .LBB63_745
; %bb.738:
	v_cvt_f32_f64_e32 v2, v[0:1]
	v_and_b32_e32 v3, 0x7fffffff, v2
	s_mov_b32 s8, 0x47800000
	v_cmp_gt_u32_e32 vcc, s8, v3
	v_mov_b32_e32 v7, 0x80
	s_and_saveexec_b64 s[8:9], vcc
	s_cbranch_execz .LBB63_744
; %bb.739:
	s_mov_b32 s10, 0x37ffffff
	v_cmp_lt_u32_e32 vcc, s10, v3
	s_mov_b64 s[10:11], 0
                                        ; implicit-def: $vgpr3
	s_and_saveexec_b64 s[12:13], vcc
	s_xor_b64 s[12:13], exec, s[12:13]
	s_cbranch_execz .LBB63_852
; %bb.740:
	v_bfe_u32 v3, v2, 21, 1
	s_mov_b32 s14, 0x88fffff
	v_add3_u32 v3, v2, v3, s14
	s_mov_b64 s[10:11], exec
	v_lshrrev_b32_e32 v3, 21, v3
	s_or_saveexec_b64 s[12:13], s[12:13]
                                        ; implicit-def: $sgpr14
	s_xor_b64 exec, exec, s[12:13]
	s_cbranch_execnz .LBB63_853
.LBB63_741:
	s_or_b64 exec, exec, s[12:13]
	v_mov_b32_e32 v7, s14
	s_and_saveexec_b64 s[12:13], s[10:11]
.LBB63_742:
	v_lshrrev_b32_e32 v2, 24, v2
	s_movk_i32 s10, 0x80
	v_and_or_b32 v7, v2, s10, v3
.LBB63_743:
	s_or_b64 exec, exec, s[12:13]
.LBB63_744:
	s_or_b64 exec, exec, s[8:9]
	s_mov_b64 s[8:9], 0
	global_store_byte v[4:5], v7, off
.LBB63_745:
	s_and_b64 vcc, exec, s[8:9]
	s_cbranch_vccz .LBB63_755
; %bb.746:
	v_cvt_f32_f64_e32 v2, v[0:1]
	v_and_b32_e32 v7, 0x7fffffff, v2
	s_mov_b32 s8, 0x43f00000
	v_cmp_gt_u32_e32 vcc, s8, v7
                                        ; implicit-def: $vgpr3
	s_and_saveexec_b64 s[8:9], vcc
	s_xor_b64 s[8:9], exec, s[8:9]
	s_cbranch_execz .LBB63_752
; %bb.747:
	s_mov_b32 s10, 0x3c7fffff
	v_cmp_lt_u32_e32 vcc, s10, v7
                                        ; implicit-def: $vgpr3
	s_and_saveexec_b64 s[10:11], vcc
	s_xor_b64 s[10:11], exec, s[10:11]
; %bb.748:
	v_bfe_u32 v3, v2, 20, 1
	s_mov_b32 s12, 0x407ffff
	v_add3_u32 v3, v2, v3, s12
	v_lshrrev_b32_e32 v7, 20, v3
	v_and_b32_e32 v3, 0xff00000, v3
	s_mov_b32 s12, 0x7f00000
	v_mov_b32_e32 v8, 0x7e
	v_cmp_ne_u32_e32 vcc, s12, v3
	v_cndmask_b32_e32 v3, v8, v7, vcc
; %bb.749:
	s_andn2_saveexec_b64 s[10:11], s[10:11]
; %bb.750:
	s_mov_b32 s12, 0x46800000
	v_add_f32_e64 v3, |v2|, s12
; %bb.751:
	s_or_b64 exec, exec, s[10:11]
                                        ; implicit-def: $vgpr7
.LBB63_752:
	s_andn2_saveexec_b64 s[8:9], s[8:9]
; %bb.753:
	s_mov_b32 s10, 0x7f800000
	v_mov_b32_e32 v3, 0x7e
	v_mov_b32_e32 v8, 0x7f
	v_cmp_lt_u32_e32 vcc, s10, v7
	v_cndmask_b32_e32 v3, v3, v8, vcc
; %bb.754:
	s_or_b64 exec, exec, s[8:9]
	v_lshrrev_b32_e32 v2, 24, v2
	s_movk_i32 s8, 0x80
	v_and_or_b32 v2, v2, s8, v3
	global_store_byte v[4:5], v2, off
.LBB63_755:
	s_mov_b64 s[8:9], 0
.LBB63_756:
	s_andn2_b64 vcc, exec, s[8:9]
	s_cbranch_vccnz .LBB63_766
; %bb.757:
	v_cvt_f32_f64_e32 v2, v[0:1]
	v_and_b32_e32 v7, 0x7fffffff, v2
	s_mov_b32 s8, 0x47800000
	v_cmp_gt_u32_e32 vcc, s8, v7
                                        ; implicit-def: $vgpr3
	s_and_saveexec_b64 s[8:9], vcc
	s_xor_b64 s[8:9], exec, s[8:9]
	s_cbranch_execz .LBB63_763
; %bb.758:
	s_mov_b32 s10, 0x387fffff
	v_cmp_lt_u32_e32 vcc, s10, v7
                                        ; implicit-def: $vgpr3
	s_and_saveexec_b64 s[10:11], vcc
	s_xor_b64 s[10:11], exec, s[10:11]
; %bb.759:
	v_bfe_u32 v3, v2, 21, 1
	s_mov_b32 s12, 0x80fffff
	v_add3_u32 v3, v2, v3, s12
	v_lshrrev_b32_e32 v3, 21, v3
; %bb.760:
	s_andn2_saveexec_b64 s[10:11], s[10:11]
; %bb.761:
	s_mov_b32 s12, 0x43000000
	v_add_f32_e64 v3, |v2|, s12
; %bb.762:
	s_or_b64 exec, exec, s[10:11]
                                        ; implicit-def: $vgpr7
.LBB63_763:
	s_andn2_saveexec_b64 s[8:9], s[8:9]
; %bb.764:
	s_mov_b32 s10, 0x7f800000
	v_mov_b32_e32 v3, 0x7c
	v_mov_b32_e32 v8, 0x7f
	v_cmp_lt_u32_e32 vcc, s10, v7
	v_cndmask_b32_e32 v3, v3, v8, vcc
; %bb.765:
	s_or_b64 exec, exec, s[8:9]
	v_lshrrev_b32_e32 v2, 24, v2
	s_movk_i32 s8, 0x80
	v_and_or_b32 v2, v2, s8, v3
	global_store_byte v[4:5], v2, off
.LBB63_766:
	s_mov_b64 s[10:11], 0
	s_mov_b64 s[8:9], -1
.LBB63_767:
	s_andn2_b64 vcc, exec, s[10:11]
	s_cbranch_vccnz .LBB63_775
; %bb.768:
	v_mov_b32_e32 v2, 14
	v_cmp_gt_i16_sdwa s[12:13], s44, v2 src0_sel:BYTE_0 src1_sel:DWORD
	s_mov_b64 s[10:11], -1
	s_and_b64 vcc, exec, s[12:13]
	s_cbranch_vccz .LBB63_772
; %bb.769:
	v_mov_b32_e32 v2, 15
	v_cmp_eq_u16_sdwa s[10:11], s44, v2 src0_sel:BYTE_0 src1_sel:DWORD
	s_mov_b64 s[0:1], -1
	s_and_b64 vcc, exec, s[10:11]
	s_cbranch_vccz .LBB63_771
; %bb.770:
	v_cvt_f32_f64_e32 v2, v[0:1]
	v_bfe_u32 v3, v2, 16, 1
	s_movk_i32 s0, 0x7fff
	v_add3_u32 v3, v2, v3, s0
	v_lshrrev_b32_e32 v3, 16, v3
	v_mov_b32_e32 v7, 0x7fc0
	v_cmp_o_f32_e32 vcc, v2, v2
	v_cndmask_b32_e32 v2, v7, v3, vcc
	global_store_short v[4:5], v2, off
	s_mov_b64 s[8:9], -1
	s_mov_b64 s[0:1], 0
.LBB63_771:
	s_mov_b64 s[10:11], 0
.LBB63_772:
	s_and_b64 vcc, exec, s[10:11]
	s_cbranch_vccz .LBB63_775
; %bb.773:
	v_mov_b32_e32 v2, 11
	v_cmp_eq_u16_sdwa s[10:11], s44, v2 src0_sel:BYTE_0 src1_sel:DWORD
	s_mov_b64 s[0:1], -1
	s_and_b64 vcc, exec, s[10:11]
	s_cbranch_vccz .LBB63_775
; %bb.774:
	v_cmp_neq_f64_e32 vcc, 0, v[0:1]
	s_mov_b64 s[0:1], 0
	v_cndmask_b32_e64 v2, 0, 1, vcc
	s_mov_b64 s[8:9], -1
	global_store_byte v[4:5], v2, off
.LBB63_775:
	s_mov_b64 s[10:11], 0
.LBB63_776:
	s_and_b64 vcc, exec, s[10:11]
	s_cbranch_vccz .LBB63_815
; %bb.777:
	v_mov_b32_e32 v2, 5
	v_cmp_lt_i16_sdwa s[10:11], s44, v2 src0_sel:BYTE_0 src1_sel:DWORD
	s_mov_b64 s[8:9], -1
	s_and_b64 vcc, exec, s[10:11]
	s_cbranch_vccnz .LBB63_798
; %bb.778:
	v_mov_b32_e32 v2, 8
	v_cmp_lt_i16_sdwa s[10:11], s44, v2 src0_sel:BYTE_0 src1_sel:DWORD
	s_and_b64 vcc, exec, s[10:11]
	s_cbranch_vccnz .LBB63_788
; %bb.779:
	v_mov_b32_e32 v2, 9
	v_cmp_lt_i16_sdwa s[10:11], s44, v2 src0_sel:BYTE_0 src1_sel:DWORD
	s_and_b64 vcc, exec, s[10:11]
	s_cbranch_vccnz .LBB63_785
; %bb.780:
	v_cmp_gt_i16_sdwa s[10:11], s44, v2 src0_sel:BYTE_0 src1_sel:DWORD
	s_and_b64 vcc, exec, s[10:11]
	s_cbranch_vccz .LBB63_782
; %bb.781:
	v_mov_b32_e32 v2, 0
	v_mov_b32_e32 v3, v2
	s_mov_b64 s[8:9], 0
	global_store_dwordx4 v[4:5], v[0:3], off
.LBB63_782:
	s_andn2_b64 vcc, exec, s[8:9]
	s_cbranch_vccnz .LBB63_784
; %bb.783:
	v_cvt_f32_f64_e32 v2, v[0:1]
	v_mov_b32_e32 v3, 0
	global_store_dwordx2 v[4:5], v[2:3], off
.LBB63_784:
	s_mov_b64 s[8:9], 0
.LBB63_785:
	s_andn2_b64 vcc, exec, s[8:9]
	s_cbranch_vccnz .LBB63_787
; %bb.786:
	v_cvt_f32_f64_e32 v2, v[0:1]
	v_cvt_f16_f32_e32 v2, v2
	global_store_dword v[4:5], v2, off
.LBB63_787:
	s_mov_b64 s[8:9], 0
.LBB63_788:
	s_andn2_b64 vcc, exec, s[8:9]
	s_cbranch_vccnz .LBB63_797
; %bb.789:
	v_mov_b32_e32 v2, 6
	v_cmp_lt_i16_sdwa s[10:11], s44, v2 src0_sel:BYTE_0 src1_sel:DWORD
	s_mov_b64 s[8:9], -1
	s_and_b64 vcc, exec, s[10:11]
	s_cbranch_vccnz .LBB63_795
; %bb.790:
	v_cmp_gt_i16_sdwa s[10:11], s44, v2 src0_sel:BYTE_0 src1_sel:DWORD
	s_and_b64 vcc, exec, s[10:11]
	s_cbranch_vccz .LBB63_792
; %bb.791:
	s_mov_b64 s[8:9], 0
	global_store_dwordx2 v[4:5], v[0:1], off
.LBB63_792:
	s_andn2_b64 vcc, exec, s[8:9]
	s_cbranch_vccnz .LBB63_794
; %bb.793:
	v_cvt_f32_f64_e32 v2, v[0:1]
	global_store_dword v[4:5], v2, off
.LBB63_794:
	s_mov_b64 s[8:9], 0
.LBB63_795:
	s_andn2_b64 vcc, exec, s[8:9]
	s_cbranch_vccnz .LBB63_797
; %bb.796:
	v_cvt_f32_f64_e32 v2, v[0:1]
	v_cvt_f16_f32_e32 v2, v2
	global_store_short v[4:5], v2, off
.LBB63_797:
	s_mov_b64 s[8:9], 0
.LBB63_798:
	s_andn2_b64 vcc, exec, s[8:9]
	s_cbranch_vccnz .LBB63_814
; %bb.799:
	v_mov_b32_e32 v2, 2
	v_cmp_lt_i16_sdwa s[10:11], s44, v2 src0_sel:BYTE_0 src1_sel:DWORD
	s_mov_b64 s[8:9], -1
	s_and_b64 vcc, exec, s[10:11]
	s_cbranch_vccnz .LBB63_809
; %bb.800:
	v_mov_b32_e32 v2, 3
	v_cmp_lt_i16_sdwa s[10:11], s44, v2 src0_sel:BYTE_0 src1_sel:DWORD
	s_and_b64 vcc, exec, s[10:11]
	s_cbranch_vccnz .LBB63_806
; %bb.801:
	v_cmp_gt_i16_sdwa s[10:11], s44, v2 src0_sel:BYTE_0 src1_sel:DWORD
	s_and_b64 vcc, exec, s[10:11]
	s_cbranch_vccz .LBB63_803
; %bb.802:
	v_trunc_f64_e32 v[2:3], v[0:1]
	s_movk_i32 s8, 0xffe0
	v_ldexp_f64 v[8:9], v[2:3], s8
	v_floor_f64_e32 v[8:9], v[8:9]
	v_fmac_f64_e32 v[2:3], 0xc1f00000, v[8:9]
	v_cvt_i32_f64_e32 v13, v[8:9]
	v_cvt_u32_f64_e32 v12, v[2:3]
	s_mov_b64 s[8:9], 0
	global_store_dwordx2 v[4:5], v[12:13], off
.LBB63_803:
	s_andn2_b64 vcc, exec, s[8:9]
	s_cbranch_vccnz .LBB63_805
; %bb.804:
	v_cvt_i32_f64_e32 v2, v[0:1]
	global_store_dword v[4:5], v2, off
.LBB63_805:
	s_mov_b64 s[8:9], 0
.LBB63_806:
	s_andn2_b64 vcc, exec, s[8:9]
	s_cbranch_vccnz .LBB63_808
; %bb.807:
	v_cvt_i32_f64_e32 v2, v[0:1]
	global_store_short v[4:5], v2, off
.LBB63_808:
	s_mov_b64 s[8:9], 0
.LBB63_809:
	s_andn2_b64 vcc, exec, s[8:9]
	s_cbranch_vccnz .LBB63_814
; %bb.810:
	v_mov_b32_e32 v2, 0
	v_cmp_gt_i16_sdwa s[10:11], s44, v2 src0_sel:BYTE_0 src1_sel:DWORD
	s_mov_b64 s[8:9], -1
	s_and_b64 vcc, exec, s[10:11]
	s_cbranch_vccz .LBB63_812
; %bb.811:
	v_cvt_i32_f64_e32 v2, v[0:1]
	s_mov_b64 s[8:9], 0
	global_store_byte v[4:5], v2, off
.LBB63_812:
	s_andn2_b64 vcc, exec, s[8:9]
	s_cbranch_vccnz .LBB63_814
; %bb.813:
	v_trunc_f64_e32 v[0:1], v[0:1]
	s_movk_i32 s8, 0xffe0
	v_ldexp_f64 v[2:3], v[0:1], s8
	v_floor_f64_e32 v[2:3], v[2:3]
	v_fmac_f64_e32 v[0:1], 0xc1f00000, v[2:3]
	v_cvt_u32_f64_e32 v0, v[0:1]
	global_store_byte v[4:5], v0, off
.LBB63_814:
	s_mov_b64 s[8:9], -1
.LBB63_815:
	s_andn2_b64 vcc, exec, s[8:9]
	s_cbranch_vccnz .LBB63_817
; %bb.816:
	v_add_u32_e32 v10, 0x80, v10
	s_mov_b64 s[8:9], -1
	s_branch .LBB63_819
.LBB63_817:
	s_mov_b64 s[8:9], 0
.LBB63_818:
                                        ; implicit-def: $vgpr10
.LBB63_819:
	s_andn2_b64 s[10:11], s[62:63], exec
	s_and_b64 s[0:1], s[0:1], exec
	s_or_b64 s[70:71], s[10:11], s[0:1]
	s_andn2_b64 s[0:1], s[60:61], exec
	s_and_b64 s[2:3], s[2:3], exec
	s_or_b64 s[68:69], s[0:1], s[2:3]
	s_orn2_b64 s[2:3], s[8:9], exec
.LBB63_820:
	s_or_b64 exec, exec, s[66:67]
	s_mov_b64 s[0:1], 0
	s_mov_b64 s[8:9], 0
	;; [unrolled: 1-line block ×3, first 2 shown]
                                        ; implicit-def: $vgpr4_vgpr5
                                        ; implicit-def: $vgpr2
                                        ; implicit-def: $vgpr0_vgpr1
	s_and_saveexec_b64 s[66:67], s[2:3]
	s_cbranch_execz .LBB63_920
; %bb.821:
	v_cmp_gt_i32_e32 vcc, s74, v10
	s_mov_b64 s[2:3], 0
	s_mov_b64 s[12:13], s[68:69]
                                        ; implicit-def: $vgpr4_vgpr5
                                        ; implicit-def: $vgpr2
                                        ; implicit-def: $vgpr0_vgpr1
	s_and_saveexec_b64 s[72:73], vcc
	s_cbranch_execz .LBB63_919
; %bb.822:
	s_andn2_b64 vcc, exec, s[40:41]
	s_cbranch_vccnz .LBB63_828
; %bb.823:
	s_mov_b32 s74, 0
	s_andn2_b64 vcc, exec, s[52:53]
	s_waitcnt vmcnt(0)
	v_mov_b32_e32 v0, 0
	v_mov_b32_e32 v2, 0
	s_cbranch_vccnz .LBB63_834
; %bb.824:
	s_add_i32 s77, s75, 1
	s_cmp_eq_u32 s76, 2
	s_cbranch_scc1 .LBB63_829
; %bb.825:
	s_and_b32 s74, s77, 28
	s_mov_b32 s75, 0
	v_mov_b32_e32 v2, 0
	s_mov_b64 s[52:53], s[34:35]
	v_mov_b32_e32 v1, v10
	v_mov_b32_e32 v0, 0
.LBB63_826:                             ; =>This Inner Loop Header: Depth=1
	s_load_dwordx8 s[16:23], s[52:53], 0x4
	s_load_dwordx4 s[0:3], s[52:53], 0x24
	s_load_dwordx8 s[8:15], s[50:51], 0x0
	s_add_u32 s52, s52, 48
	s_addc_u32 s53, s53, 0
	s_waitcnt lgkmcnt(0)
	v_mul_hi_u32 v3, s17, v1
	v_add_u32_e32 v3, v1, v3
	v_lshrrev_b32_e32 v3, s18, v3
	v_mul_lo_u32 v4, v3, s16
	v_mul_hi_u32 v5, s20, v3
	v_sub_u32_e32 v1, v1, v4
	v_add_u32_e32 v4, v3, v5
	v_lshrrev_b32_e32 v4, s21, v4
	v_mul_lo_u32 v7, v4, s19
	v_mul_hi_u32 v8, s23, v4
	v_sub_u32_e32 v3, v3, v7
	v_add_u32_e32 v7, v4, v8
	v_mul_lo_u32 v5, v1, s9
	v_mul_lo_u32 v1, v1, s8
	;; [unrolled: 1-line block ×4, first 2 shown]
	v_lshrrev_b32_e32 v7, s0, v7
	v_add3_u32 v2, v1, v2, v3
	v_mul_lo_u32 v1, v7, s22
	v_mul_hi_u32 v3, s2, v7
	v_sub_u32_e32 v1, v4, v1
	v_add_u32_e32 v3, v7, v3
	v_add3_u32 v0, v5, v0, v8
	v_mul_lo_u32 v4, v1, s12
	v_mul_lo_u32 v5, v1, s13
	v_lshrrev_b32_e32 v1, s3, v3
	s_add_i32 s75, s75, 4
	v_mul_lo_u32 v3, v1, s1
	s_add_u32 s50, s50, 32
	v_sub_u32_e32 v3, v7, v3
	s_addc_u32 s51, s51, 0
	v_mul_lo_u32 v7, v3, s14
	v_mul_lo_u32 v3, v3, s15
	s_cmp_eq_u32 s74, s75
	v_add3_u32 v0, v5, v0, v3
	v_add3_u32 v2, v4, v2, v7
	s_cbranch_scc0 .LBB63_826
; %bb.827:
	v_mov_b32_e32 v3, v0
	s_branch .LBB63_830
.LBB63_828:
	s_mov_b64 s[0:1], -1
                                        ; implicit-def: $vgpr0
                                        ; implicit-def: $vgpr2
	s_branch .LBB63_835
.LBB63_829:
	s_mov_b32 s75, s74
	v_pk_mov_b32 v[2:3], s[74:75], s[74:75] op_sel:[0,1]
                                        ; implicit-def: $vgpr0
	v_mov_b32_e32 v1, v10
.LBB63_830:
	s_and_b32 s8, s77, 3
	s_cmp_eq_u32 s8, 0
	s_cbranch_scc1 .LBB63_834
; %bb.831:
	s_lshl_b32 s0, s74, 3
	s_add_u32 s0, s0, s34
	s_addc_u32 s1, s35, 0
	s_add_u32 s0, s0, 0xc4
	s_addc_u32 s1, s1, 0
	s_mul_i32 s2, s74, 12
	s_add_u32 s2, s34, s2
	s_addc_u32 s3, s35, 0
.LBB63_832:                             ; =>This Inner Loop Header: Depth=1
	s_load_dwordx2 s[10:11], s[2:3], 0x4
	s_load_dword s9, s[2:3], 0xc
	s_load_dwordx2 s[12:13], s[0:1], 0x0
	v_mov_b32_e32 v0, v3
	s_add_u32 s2, s2, 12
	s_waitcnt lgkmcnt(0)
	v_mul_hi_u32 v3, s11, v1
	v_add_u32_e32 v3, v1, v3
	v_lshrrev_b32_e32 v3, s9, v3
	s_addc_u32 s3, s3, 0
	v_mul_lo_u32 v4, v3, s10
	s_add_u32 s0, s0, 8
	v_sub_u32_e32 v7, v1, v4
	v_mov_b32_e32 v1, v3
	s_addc_u32 s1, s1, 0
	s_add_i32 s8, s8, -1
	v_mad_u64_u32 v[4:5], s[10:11], v7, s13, v[0:1]
	v_mad_u64_u32 v[2:3], s[10:11], v7, s12, v[2:3]
	s_cmp_lg_u32 s8, 0
	v_mov_b32_e32 v3, v4
	s_cbranch_scc1 .LBB63_832
; %bb.833:
	v_mov_b32_e32 v0, v3
.LBB63_834:
	s_mov_b64 s[0:1], 0
.LBB63_835:
	s_andn2_b64 vcc, exec, s[0:1]
	s_cbranch_vccnz .LBB63_838
; %bb.836:
	s_waitcnt vmcnt(0)
	v_mul_hi_u32 v0, s29, v10
	v_add_u32_e32 v0, v10, v0
	v_lshrrev_b32_e32 v1, s30, v0
	v_mul_lo_u32 v0, v1, s28
	v_sub_u32_e32 v2, v10, v0
	v_mul_lo_u32 v0, v2, s37
	s_andn2_b64 vcc, exec, s[48:49]
	v_mul_lo_u32 v2, v2, s36
	s_cbranch_vccnz .LBB63_838
; %bb.837:
	v_mul_hi_u32 v3, s46, v1
	v_add_u32_e32 v3, v1, v3
	v_lshrrev_b32_e32 v3, s47, v3
	v_mul_lo_u32 v3, v3, s31
	v_sub_u32_e32 v1, v1, v3
	v_mad_u64_u32 v[2:3], s[0:1], v1, s38, v[2:3]
	v_mad_u64_u32 v[0:1], s[0:1], v1, s39, v[0:1]
.LBB63_838:
	s_waitcnt vmcnt(0)
	v_mov_b32_e32 v1, s27
	v_add_co_u32_e32 v4, vcc, s26, v0
	v_addc_co_u32_e32 v5, vcc, 0, v1, vcc
	v_cmp_gt_i16_e32 vcc, 11, v6
	s_cbranch_vccnz .LBB63_845
; %bb.839:
	v_cmp_lt_i16_e32 vcc, 25, v6
	s_mov_b64 s[2:3], 0
	s_cbranch_vccz .LBB63_846
; %bb.840:
	v_cmp_lt_i16_e32 vcc, 28, v6
	s_cbranch_vccz .LBB63_847
; %bb.841:
	v_cmp_lt_i16_e32 vcc, 43, v6
	;; [unrolled: 3-line block ×3, first 2 shown]
	s_cbranch_vccz .LBB63_851
; %bb.843:
	v_cmp_eq_u16_e32 vcc, 46, v6
	s_mov_b64 s[10:11], 0
	s_cbranch_vccz .LBB63_854
; %bb.844:
	global_load_dword v0, v[4:5], off
	s_mov_b64 s[0:1], 0
	s_mov_b64 s[8:9], -1
	s_waitcnt vmcnt(0)
	v_lshlrev_b32_e32 v0, 16, v0
	v_cvt_f64_f32_e32 v[0:1], v0
	s_branch .LBB63_855
.LBB63_845:
	s_mov_b64 s[12:13], -1
	s_mov_b64 s[8:9], 0
	s_mov_b64 s[2:3], 0
	;; [unrolled: 1-line block ×3, first 2 shown]
                                        ; implicit-def: $vgpr0_vgpr1
	s_branch .LBB63_918
.LBB63_846:
	s_mov_b64 s[10:11], -1
	s_mov_b64 s[8:9], 0
	s_mov_b64 s[0:1], s[68:69]
                                        ; implicit-def: $vgpr0_vgpr1
	s_branch .LBB63_884
.LBB63_847:
	s_mov_b64 s[10:11], -1
	s_mov_b64 s[8:9], 0
	s_mov_b64 s[0:1], s[68:69]
                                        ; implicit-def: $vgpr0_vgpr1
	s_branch .LBB63_865
.LBB63_848:
	s_mov_b64 s[10:11], -1
	s_mov_b64 s[8:9], 0
	s_mov_b64 s[0:1], s[68:69]
                                        ; implicit-def: $vgpr0_vgpr1
	s_branch .LBB63_860
.LBB63_849:
	s_or_saveexec_b64 s[12:13], s[12:13]
                                        ; implicit-def: $sgpr14
	s_xor_b64 exec, exec, s[12:13]
	s_cbranch_execz .LBB63_728
.LBB63_850:
	s_mov_b32 s14, 0x46000000
	v_add_f32_e64 v3, |v2|, s14
	v_and_b32_e32 v3, 0xff, v3
	v_cmp_ne_u32_e32 vcc, 0, v3
	s_andn2_b64 s[10:11], s[10:11], exec
	s_and_b64 s[16:17], vcc, exec
	s_mov_b32 s14, 0
	s_or_b64 s[10:11], s[10:11], s[16:17]
	s_or_b64 exec, exec, s[12:13]
	v_mov_b32_e32 v7, s14
	s_and_saveexec_b64 s[12:13], s[10:11]
	s_cbranch_execnz .LBB63_729
	s_branch .LBB63_730
.LBB63_851:
	s_mov_b64 s[10:11], -1
	s_mov_b64 s[8:9], 0
	s_mov_b64 s[0:1], s[68:69]
                                        ; implicit-def: $vgpr0_vgpr1
	s_branch .LBB63_855
.LBB63_852:
	s_or_saveexec_b64 s[12:13], s[12:13]
                                        ; implicit-def: $sgpr14
	s_xor_b64 exec, exec, s[12:13]
	s_cbranch_execz .LBB63_741
.LBB63_853:
	s_mov_b32 s14, 0x42800000
	v_add_f32_e64 v3, |v2|, s14
	v_and_b32_e32 v3, 0xff, v3
	v_cmp_ne_u32_e32 vcc, 0, v3
	s_andn2_b64 s[10:11], s[10:11], exec
	s_and_b64 s[16:17], vcc, exec
	s_mov_b32 s14, 0
	s_or_b64 s[10:11], s[10:11], s[16:17]
	s_or_b64 exec, exec, s[12:13]
	v_mov_b32_e32 v7, s14
	s_and_saveexec_b64 s[12:13], s[10:11]
	s_cbranch_execnz .LBB63_742
	s_branch .LBB63_743
.LBB63_854:
	s_mov_b64 s[0:1], -1
                                        ; implicit-def: $vgpr0_vgpr1
	s_mov_b64 s[8:9], 0
.LBB63_855:
	s_and_b64 vcc, exec, s[10:11]
	s_cbranch_vccz .LBB63_859
; %bb.856:
	v_cmp_eq_u16_e32 vcc, 44, v6
	s_cbranch_vccz .LBB63_858
; %bb.857:
	global_load_ubyte v3, v[4:5], off
	s_movk_i32 s8, 0xff
	v_bfrev_b32_e32 v7, 4
	v_mov_b32_e32 v8, 0x7ff80000
	v_bfrev_b32_e32 v9, 28
	s_mov_b64 s[0:1], 0
	s_waitcnt vmcnt(0)
	v_lshlrev_b32_e32 v0, 23, v3
	v_cvt_f64_f32_e32 v[0:1], v0
	v_cmp_ne_u32_e32 vcc, s8, v3
	v_cndmask_b32_e32 v0, v7, v0, vcc
	v_cndmask_b32_e32 v1, v8, v1, vcc
	v_cmp_ne_u32_e32 vcc, 0, v3
	v_cndmask_b32_e32 v1, v9, v1, vcc
	v_cndmask_b32_e32 v0, 0, v0, vcc
	s_mov_b64 s[8:9], -1
	s_branch .LBB63_859
.LBB63_858:
	s_mov_b64 s[0:1], -1
                                        ; implicit-def: $vgpr0_vgpr1
.LBB63_859:
	s_mov_b64 s[10:11], 0
.LBB63_860:
	s_and_b64 vcc, exec, s[10:11]
	s_cbranch_vccz .LBB63_864
; %bb.861:
	v_cmp_eq_u16_e32 vcc, 29, v6
	s_cbranch_vccz .LBB63_863
; %bb.862:
	global_load_dwordx2 v[0:1], v[4:5], off
	s_mov_b64 s[0:1], 0
	s_mov_b64 s[8:9], -1
	s_mov_b64 s[10:11], 0
	s_waitcnt vmcnt(0)
	v_cvt_f64_u32_e32 v[8:9], v1
	v_cvt_f64_u32_e32 v[0:1], v0
	v_ldexp_f64 v[8:9], v[8:9], 32
	v_add_f64 v[0:1], v[8:9], v[0:1]
	s_branch .LBB63_865
.LBB63_863:
	s_mov_b64 s[0:1], -1
                                        ; implicit-def: $vgpr0_vgpr1
.LBB63_864:
	s_mov_b64 s[10:11], 0
.LBB63_865:
	s_and_b64 vcc, exec, s[10:11]
	s_cbranch_vccz .LBB63_883
; %bb.866:
	v_cmp_gt_i16_e32 vcc, 27, v6
	s_cbranch_vccnz .LBB63_869
; %bb.867:
	v_cmp_lt_i16_e32 vcc, 27, v6
	s_cbranch_vccz .LBB63_870
; %bb.868:
	global_load_dword v0, v[4:5], off
	s_mov_b64 s[8:9], 0
	s_waitcnt vmcnt(0)
	v_cvt_f64_u32_e32 v[0:1], v0
	s_branch .LBB63_871
.LBB63_869:
	s_mov_b64 s[8:9], -1
                                        ; implicit-def: $vgpr0_vgpr1
	s_branch .LBB63_874
.LBB63_870:
	s_mov_b64 s[8:9], -1
                                        ; implicit-def: $vgpr0_vgpr1
.LBB63_871:
	s_andn2_b64 vcc, exec, s[8:9]
	s_cbranch_vccnz .LBB63_873
; %bb.872:
	global_load_ushort v0, v[4:5], off
	s_waitcnt vmcnt(0)
	v_cvt_f64_u32_e32 v[0:1], v0
.LBB63_873:
	s_mov_b64 s[8:9], 0
.LBB63_874:
	s_andn2_b64 vcc, exec, s[8:9]
	s_cbranch_vccnz .LBB63_882
; %bb.875:
	global_load_ubyte v3, v[4:5], off
	s_movk_i32 s8, 0x7f
                                        ; implicit-def: $sgpr10_sgpr11
	s_waitcnt vmcnt(0)
	v_cmp_lt_i16_e32 vcc, s8, v3
	s_mov_b64 s[8:9], 0
	s_and_saveexec_b64 s[12:13], vcc
	s_xor_b64 s[12:13], exec, s[12:13]
	s_cbranch_execz .LBB63_896
; %bb.876:
	s_movk_i32 s8, 0x80
	v_cmp_eq_u16_e32 vcc, s8, v3
	s_mov_b64 s[14:15], -1
                                        ; implicit-def: $sgpr10_sgpr11
	s_and_saveexec_b64 s[8:9], vcc
; %bb.877:
	s_mov_b32 s11, 0x7ff80000
	s_brev_b32 s10, 4
	s_xor_b64 s[14:15], exec, -1
; %bb.878:
	s_or_b64 exec, exec, s[8:9]
	s_and_b64 s[8:9], s[14:15], exec
	s_or_saveexec_b64 s[12:13], s[12:13]
	v_pk_mov_b32 v[0:1], s[10:11], s[10:11] op_sel:[0,1]
	s_xor_b64 exec, exec, s[12:13]
	s_cbranch_execnz .LBB63_897
.LBB63_879:
	s_or_b64 exec, exec, s[12:13]
	s_and_saveexec_b64 s[10:11], s[8:9]
	s_cbranch_execz .LBB63_881
.LBB63_880:
	v_and_b32_e32 v1, 0xffff, v3
	v_lshlrev_b32_e32 v0, 24, v3
	v_and_b32_e32 v3, 7, v1
	v_ffbh_u32_e32 v8, v3
	v_min_u32_e32 v8, 32, v8
	v_subrev_u32_e32 v9, 28, v8
	v_bfe_u32 v7, v1, 3, 4
	v_lshlrev_b32_e32 v1, v9, v1
	v_sub_u32_e32 v8, 29, v8
	v_and_b32_e32 v1, 7, v1
	v_cmp_eq_u32_e32 vcc, 0, v7
	v_cndmask_b32_e32 v7, v7, v8, vcc
	v_cndmask_b32_e32 v1, v3, v1, vcc
	v_mov_b32_e32 v3, 0x3b800000
	v_lshlrev_b32_e32 v1, 20, v1
	v_and_b32_e32 v0, 0x80000000, v0
	v_lshl_add_u32 v3, v7, 23, v3
	v_or3_b32 v0, v0, v3, v1
	v_cvt_f64_f32_e32 v[0:1], v0
.LBB63_881:
	s_or_b64 exec, exec, s[10:11]
.LBB63_882:
	s_mov_b64 s[8:9], -1
.LBB63_883:
	s_mov_b64 s[10:11], 0
.LBB63_884:
	s_and_b64 vcc, exec, s[10:11]
	s_cbranch_vccz .LBB63_917
; %bb.885:
	v_cmp_lt_i16_e32 vcc, 22, v6
	s_cbranch_vccz .LBB63_895
; %bb.886:
	v_cmp_gt_i16_e32 vcc, 24, v6
	s_cbranch_vccnz .LBB63_898
; %bb.887:
	v_cmp_lt_i16_e32 vcc, 24, v6
	s_cbranch_vccz .LBB63_899
; %bb.888:
	global_load_ubyte v3, v[4:5], off
	s_movk_i32 s2, 0x7f
                                        ; implicit-def: $sgpr8_sgpr9
	s_waitcnt vmcnt(0)
	v_cmp_lt_i16_e32 vcc, s2, v3
	s_mov_b64 s[2:3], 0
	s_and_saveexec_b64 s[10:11], vcc
	s_xor_b64 s[10:11], exec, s[10:11]
	s_cbranch_execz .LBB63_911
; %bb.889:
	s_movk_i32 s2, 0x80
	v_cmp_eq_u16_e32 vcc, s2, v3
	s_mov_b64 s[12:13], -1
                                        ; implicit-def: $sgpr8_sgpr9
	s_and_saveexec_b64 s[2:3], vcc
; %bb.890:
	s_mov_b32 s9, 0x7ff80000
	s_brev_b32 s8, 4
	s_xor_b64 s[12:13], exec, -1
; %bb.891:
	s_or_b64 exec, exec, s[2:3]
	s_and_b64 s[2:3], s[12:13], exec
	s_or_saveexec_b64 s[10:11], s[10:11]
	v_pk_mov_b32 v[0:1], s[8:9], s[8:9] op_sel:[0,1]
	s_xor_b64 exec, exec, s[10:11]
	s_cbranch_execnz .LBB63_912
.LBB63_892:
	s_or_b64 exec, exec, s[10:11]
	s_and_saveexec_b64 s[8:9], s[2:3]
	s_cbranch_execz .LBB63_894
.LBB63_893:
	v_and_b32_e32 v1, 0xffff, v3
	v_lshlrev_b32_e32 v0, 24, v3
	v_and_b32_e32 v3, 3, v1
	v_ffbh_u32_e32 v8, v3
	v_min_u32_e32 v8, 32, v8
	v_subrev_u32_e32 v9, 29, v8
	v_bfe_u32 v7, v1, 2, 5
	v_lshlrev_b32_e32 v1, v9, v1
	v_sub_u32_e32 v8, 30, v8
	v_and_b32_e32 v1, 3, v1
	v_cmp_eq_u32_e32 vcc, 0, v7
	v_cndmask_b32_e32 v7, v7, v8, vcc
	v_cndmask_b32_e32 v1, v3, v1, vcc
	v_mov_b32_e32 v3, 0x37800000
	v_lshlrev_b32_e32 v1, 21, v1
	v_and_b32_e32 v0, 0x80000000, v0
	v_lshl_add_u32 v3, v7, 23, v3
	v_or3_b32 v0, v0, v3, v1
	v_cvt_f64_f32_e32 v[0:1], v0
.LBB63_894:
	s_or_b64 exec, exec, s[8:9]
	s_mov_b64 s[2:3], 0
	s_branch .LBB63_900
.LBB63_895:
	s_mov_b64 s[2:3], -1
                                        ; implicit-def: $vgpr0_vgpr1
	s_branch .LBB63_906
.LBB63_896:
	s_or_saveexec_b64 s[12:13], s[12:13]
	v_pk_mov_b32 v[0:1], s[10:11], s[10:11] op_sel:[0,1]
	s_xor_b64 exec, exec, s[12:13]
	s_cbranch_execz .LBB63_879
.LBB63_897:
	v_cmp_ne_u16_e32 vcc, 0, v3
	s_andn2_b64 s[8:9], s[8:9], exec
	s_and_b64 s[10:11], vcc, exec
	v_pk_mov_b32 v[0:1], 0, 0
	s_or_b64 s[8:9], s[8:9], s[10:11]
	s_or_b64 exec, exec, s[12:13]
	s_and_saveexec_b64 s[10:11], s[8:9]
	s_cbranch_execnz .LBB63_880
	s_branch .LBB63_881
.LBB63_898:
	s_mov_b64 s[2:3], -1
                                        ; implicit-def: $vgpr0_vgpr1
	s_branch .LBB63_903
.LBB63_899:
	s_mov_b64 s[2:3], -1
                                        ; implicit-def: $vgpr0_vgpr1
.LBB63_900:
	s_and_b64 vcc, exec, s[2:3]
	s_cbranch_vccz .LBB63_902
; %bb.901:
	global_load_ubyte v0, v[4:5], off
	s_mov_b32 s2, 0x7f800000
	s_waitcnt vmcnt(0)
	v_lshlrev_b32_e32 v0, 24, v0
	v_and_b32_e32 v1, 0x7f000000, v0
	v_ffbh_u32_e32 v3, v1
	v_min_u32_e32 v3, 32, v3
	v_sub_u32_e64 v3, v3, 4 clamp
	v_lshlrev_b32_e32 v8, v3, v1
	v_lshlrev_b32_e32 v3, 23, v3
	v_lshrrev_b32_e32 v8, 4, v8
	v_add_u32_e32 v7, 0x1000000, v1
	v_sub_u32_e32 v3, v8, v3
	v_ashrrev_i32_e32 v7, 8, v7
	v_add_u32_e32 v3, 0x3c000000, v3
	v_and_or_b32 v3, v7, s2, v3
	v_cmp_ne_u32_e32 vcc, 0, v1
	v_cndmask_b32_e32 v1, 0, v3, vcc
	s_brev_b32 s2, 1
	v_and_or_b32 v0, v0, s2, v1
	v_cvt_f64_f32_e32 v[0:1], v0
.LBB63_902:
	s_mov_b64 s[2:3], 0
.LBB63_903:
	s_andn2_b64 vcc, exec, s[2:3]
	s_cbranch_vccnz .LBB63_905
; %bb.904:
	global_load_ubyte v0, v[4:5], off
	s_movk_i32 s2, 0x7f00
	s_brev_b32 s3, 16
	s_waitcnt vmcnt(0)
	v_lshlrev_b16_e32 v1, 8, v0
	v_lshlrev_b32_e32 v0, 25, v0
	v_lshrrev_b32_e32 v3, 4, v0
	v_and_or_b32 v7, v1, s2, 0.5
	v_or_b32_e32 v3, 0x70000000, v3
	v_add_f32_e32 v7, -0.5, v7
	v_mul_f32_e32 v3, 0x7800000, v3
	v_cmp_gt_u32_e32 vcc, s3, v0
	v_bfe_i32 v1, v1, 0, 16
	v_cndmask_b32_e32 v0, v3, v7, vcc
	s_brev_b32 s2, 1
	v_and_or_b32 v0, v1, s2, v0
	v_cvt_f64_f32_e32 v[0:1], v0
.LBB63_905:
	s_mov_b64 s[2:3], 0
	s_mov_b64 s[8:9], -1
.LBB63_906:
	s_andn2_b64 vcc, exec, s[2:3]
	s_mov_b64 s[2:3], 0
	s_cbranch_vccnz .LBB63_917
; %bb.907:
	v_cmp_lt_i16_e32 vcc, 14, v6
	s_cbranch_vccz .LBB63_910
; %bb.908:
	v_cmp_eq_u16_e32 vcc, 15, v6
	s_cbranch_vccz .LBB63_913
; %bb.909:
	global_load_ushort v0, v[4:5], off
	s_mov_b64 s[0:1], 0
	s_mov_b64 s[8:9], -1
	s_waitcnt vmcnt(0)
	v_lshlrev_b32_e32 v0, 16, v0
	v_cvt_f64_f32_e32 v[0:1], v0
	s_branch .LBB63_914
.LBB63_910:
	s_mov_b64 s[10:11], -1
                                        ; implicit-def: $vgpr0_vgpr1
	s_branch .LBB63_915
.LBB63_911:
	s_or_saveexec_b64 s[10:11], s[10:11]
	v_pk_mov_b32 v[0:1], s[8:9], s[8:9] op_sel:[0,1]
	s_xor_b64 exec, exec, s[10:11]
	s_cbranch_execz .LBB63_892
.LBB63_912:
	v_cmp_ne_u16_e32 vcc, 0, v3
	s_andn2_b64 s[2:3], s[2:3], exec
	s_and_b64 s[8:9], vcc, exec
	v_pk_mov_b32 v[0:1], 0, 0
	s_or_b64 s[2:3], s[2:3], s[8:9]
	s_or_b64 exec, exec, s[10:11]
	s_and_saveexec_b64 s[8:9], s[2:3]
	s_cbranch_execnz .LBB63_893
	s_branch .LBB63_894
.LBB63_913:
	s_mov_b64 s[0:1], -1
                                        ; implicit-def: $vgpr0_vgpr1
.LBB63_914:
	s_mov_b64 s[10:11], 0
.LBB63_915:
	s_and_b64 vcc, exec, s[10:11]
	s_cbranch_vccz .LBB63_917
; %bb.916:
	v_cmp_ne_u16_e32 vcc, 11, v6
	s_andn2_b64 s[0:1], s[0:1], exec
	s_and_b64 s[10:11], vcc, exec
	s_mov_b64 s[2:3], -1
	s_or_b64 s[0:1], s[0:1], s[10:11]
                                        ; implicit-def: $vgpr0_vgpr1
.LBB63_917:
	s_mov_b64 s[12:13], 0
.LBB63_918:
	s_and_b64 s[10:11], s[8:9], exec
	s_and_b64 s[8:9], s[12:13], exec
	s_andn2_b64 s[12:13], s[68:69], exec
	s_and_b64 s[0:1], s[0:1], exec
	s_and_b64 s[2:3], s[2:3], exec
	s_or_b64 s[12:13], s[12:13], s[0:1]
.LBB63_919:
	s_or_b64 exec, exec, s[72:73]
	s_and_b64 s[0:1], s[2:3], exec
	s_andn2_b64 s[2:3], s[68:69], exec
	s_and_b64 s[12:13], s[12:13], exec
	s_and_b64 s[10:11], s[10:11], exec
	;; [unrolled: 1-line block ×3, first 2 shown]
	s_or_b64 s[68:69], s[2:3], s[12:13]
.LBB63_920:
	s_or_b64 exec, exec, s[66:67]
	s_andn2_b64 s[2:3], s[62:63], exec
	s_and_b64 s[12:13], s[70:71], exec
	s_or_b64 s[62:63], s[2:3], s[12:13]
	s_and_b64 s[2:3], s[0:1], exec
	s_andn2_b64 s[0:1], s[60:61], exec
	s_and_b64 s[12:13], s[68:69], exec
	s_and_b64 s[10:11], s[10:11], exec
	s_and_b64 s[8:9], s[8:9], exec
	s_or_b64 s[60:61], s[0:1], s[12:13]
.LBB63_921:
	s_or_b64 exec, exec, s[64:65]
	s_andn2_b64 s[0:1], s[54:55], exec
	s_and_b64 s[12:13], s[62:63], exec
	s_or_b64 s[54:55], s[0:1], s[12:13]
	s_and_b64 s[0:1], s[10:11], exec
	s_and_b64 s[10:11], s[8:9], exec
	;; [unrolled: 1-line block ×3, first 2 shown]
	s_andn2_b64 s[2:3], s[56:57], exec
	s_and_b64 s[8:9], s[60:61], exec
	s_or_b64 s[56:57], s[2:3], s[8:9]
	s_or_b64 exec, exec, s[58:59]
	s_mov_b64 s[2:3], 0
	s_and_saveexec_b64 s[8:9], s[56:57]
	s_cbranch_execz .LBB63_276
.LBB63_922:
	s_mov_b64 s[2:3], exec
	s_andn2_b64 s[62:63], s[62:63], exec
	s_trap 2
                                        ; implicit-def: $vgpr0_vgpr1
	s_or_b64 exec, exec, s[8:9]
	s_and_saveexec_b64 s[8:9], s[62:63]
	s_xor_b64 s[8:9], exec, s[8:9]
	s_cbranch_execnz .LBB63_277
.LBB63_923:
	s_or_b64 exec, exec, s[8:9]
	s_and_saveexec_b64 s[8:9], s[10:11]
	s_cbranch_execz .LBB63_969
.LBB63_924:
	v_cmp_gt_i16_e32 vcc, 5, v6
	s_cbranch_vccnz .LBB63_929
; %bb.925:
	v_cmp_gt_i16_e32 vcc, 8, v6
	s_cbranch_vccnz .LBB63_930
; %bb.926:
	;; [unrolled: 3-line block ×3, first 2 shown]
	v_cmp_lt_i16_e32 vcc, 9, v6
	s_cbranch_vccz .LBB63_932
; %bb.928:
	global_load_dwordx2 v[0:1], v[4:5], off
	s_mov_b64 s[10:11], 0
	s_branch .LBB63_933
.LBB63_929:
                                        ; implicit-def: $vgpr0_vgpr1
	s_branch .LBB63_950
.LBB63_930:
                                        ; implicit-def: $vgpr0_vgpr1
	s_branch .LBB63_939
.LBB63_931:
	s_mov_b64 s[10:11], -1
                                        ; implicit-def: $vgpr0_vgpr1
	s_branch .LBB63_936
.LBB63_932:
	s_mov_b64 s[10:11], -1
                                        ; implicit-def: $vgpr0_vgpr1
.LBB63_933:
	s_andn2_b64 vcc, exec, s[10:11]
	s_cbranch_vccnz .LBB63_935
; %bb.934:
	global_load_dword v0, v[4:5], off
	s_waitcnt vmcnt(0)
	v_cvt_f64_f32_e32 v[0:1], v0
.LBB63_935:
	s_mov_b64 s[10:11], 0
.LBB63_936:
	s_andn2_b64 vcc, exec, s[10:11]
	s_cbranch_vccnz .LBB63_938
; %bb.937:
	global_load_dword v0, v[4:5], off
	s_waitcnt vmcnt(0)
	v_cvt_f32_f16_e32 v0, v0
	v_cvt_f64_f32_e32 v[0:1], v0
.LBB63_938:
	s_cbranch_execnz .LBB63_949
.LBB63_939:
	v_cmp_gt_i16_e32 vcc, 6, v6
	s_cbranch_vccnz .LBB63_942
; %bb.940:
	v_cmp_lt_i16_e32 vcc, 6, v6
	s_cbranch_vccz .LBB63_943
; %bb.941:
	global_load_dwordx2 v[0:1], v[4:5], off
	s_mov_b64 s[10:11], 0
	s_branch .LBB63_944
.LBB63_942:
	s_mov_b64 s[10:11], -1
                                        ; implicit-def: $vgpr0_vgpr1
	s_branch .LBB63_947
.LBB63_943:
	s_mov_b64 s[10:11], -1
                                        ; implicit-def: $vgpr0_vgpr1
.LBB63_944:
	s_andn2_b64 vcc, exec, s[10:11]
	s_cbranch_vccnz .LBB63_946
; %bb.945:
	global_load_dword v0, v[4:5], off
	s_waitcnt vmcnt(0)
	v_cvt_f64_f32_e32 v[0:1], v0
.LBB63_946:
	s_mov_b64 s[10:11], 0
.LBB63_947:
	s_andn2_b64 vcc, exec, s[10:11]
	s_cbranch_vccnz .LBB63_949
; %bb.948:
	global_load_ushort v0, v[4:5], off
	s_waitcnt vmcnt(0)
	v_cvt_f32_f16_e32 v0, v0
	v_cvt_f64_f32_e32 v[0:1], v0
.LBB63_949:
	s_cbranch_execnz .LBB63_968
.LBB63_950:
	v_cmp_gt_i16_e32 vcc, 2, v6
	s_cbranch_vccnz .LBB63_954
; %bb.951:
	v_cmp_gt_i16_e32 vcc, 3, v6
	s_cbranch_vccnz .LBB63_955
; %bb.952:
	v_cmp_lt_i16_e32 vcc, 3, v6
	s_cbranch_vccz .LBB63_956
; %bb.953:
	global_load_dwordx2 v[0:1], v[4:5], off
	s_mov_b64 s[10:11], 0
	s_waitcnt vmcnt(0)
	v_cvt_f64_i32_e32 v[8:9], v1
	v_cvt_f64_u32_e32 v[0:1], v0
	v_ldexp_f64 v[8:9], v[8:9], 32
	v_add_f64 v[0:1], v[8:9], v[0:1]
	s_branch .LBB63_957
.LBB63_954:
                                        ; implicit-def: $vgpr0_vgpr1
	s_branch .LBB63_963
.LBB63_955:
	s_mov_b64 s[10:11], -1
                                        ; implicit-def: $vgpr0_vgpr1
	s_branch .LBB63_960
.LBB63_956:
	s_mov_b64 s[10:11], -1
                                        ; implicit-def: $vgpr0_vgpr1
.LBB63_957:
	s_andn2_b64 vcc, exec, s[10:11]
	s_cbranch_vccnz .LBB63_959
; %bb.958:
	global_load_dword v0, v[4:5], off
	s_waitcnt vmcnt(0)
	v_cvt_f64_i32_e32 v[0:1], v0
.LBB63_959:
	s_mov_b64 s[10:11], 0
.LBB63_960:
	s_andn2_b64 vcc, exec, s[10:11]
	s_cbranch_vccnz .LBB63_962
; %bb.961:
	global_load_sshort v0, v[4:5], off
	s_waitcnt vmcnt(0)
	v_cvt_f64_i32_e32 v[0:1], v0
.LBB63_962:
	s_cbranch_execnz .LBB63_968
.LBB63_963:
	v_cmp_lt_i16_e32 vcc, 0, v6
	s_cbranch_vccz .LBB63_965
; %bb.964:
	global_load_sbyte v0, v[4:5], off
	s_mov_b64 s[10:11], 0
	s_waitcnt vmcnt(0)
	v_cvt_f64_i32_e32 v[0:1], v0
	s_branch .LBB63_966
.LBB63_965:
	s_mov_b64 s[10:11], -1
                                        ; implicit-def: $vgpr0_vgpr1
.LBB63_966:
	s_andn2_b64 vcc, exec, s[10:11]
	s_cbranch_vccnz .LBB63_968
; %bb.967:
	global_load_ubyte v0, v[4:5], off
	s_waitcnt vmcnt(0)
	v_cvt_f64_u32_e32 v[0:1], v0
.LBB63_968:
	s_or_b64 s[0:1], s[0:1], exec
.LBB63_969:
	s_or_b64 exec, exec, s[8:9]
	s_mov_b64 s[12:13], 0
	s_mov_b64 s[10:11], 0
                                        ; implicit-def: $vgpr6
                                        ; implicit-def: $vgpr4_vgpr5
	s_and_saveexec_b64 s[8:9], s[0:1]
	s_cbranch_execz .LBB63_1044
; %bb.970:
	s_brev_b32 s0, -2
	v_mov_b32_e32 v3, s45
	s_waitcnt vmcnt(0)
	v_bfi_b32 v1, s0, v1, v3
	v_mov_b32_e32 v3, s25
	v_add_co_u32_e32 v4, vcc, s24, v2
	v_mov_b32_e32 v2, 0xff
	v_addc_co_u32_e32 v5, vcc, 0, v3, vcc
	v_and_b32_e32 v6, s44, v2
	v_cmp_gt_i16_e32 vcc, 11, v6
	s_cbranch_vccnz .LBB63_1047
; %bb.971:
	v_cmp_lt_i16_e32 vcc, 25, v6
	s_mov_b64 s[12:13], -1
	s_mov_b64 s[0:1], s[54:55]
	s_cbranch_vccz .LBB63_1004
; %bb.972:
	v_cmp_lt_i16_e32 vcc, 28, v6
	s_mov_b64 s[10:11], -1
	s_mov_b64 s[0:1], s[54:55]
	s_cbranch_vccz .LBB63_988
; %bb.973:
	v_cmp_lt_i16_e32 vcc, 43, v6
	s_mov_b64 s[0:1], s[54:55]
	s_cbranch_vccz .LBB63_984
; %bb.974:
	v_cmp_lt_i16_e32 vcc, 45, v6
	s_mov_b64 s[0:1], s[54:55]
	s_cbranch_vccz .LBB63_978
; %bb.975:
	v_cmp_eq_u16_e32 vcc, 46, v6
	s_mov_b64 s[0:1], -1
	s_cbranch_vccz .LBB63_977
; %bb.976:
	v_cvt_f32_f64_e32 v2, v[0:1]
	v_bfe_u32 v3, v2, 16, 1
	s_movk_i32 s0, 0x7fff
	v_add3_u32 v3, v2, v3, s0
	v_lshrrev_b32_e32 v3, 16, v3
	v_mov_b32_e32 v7, 0x7fc0
	v_cmp_o_f32_e32 vcc, v2, v2
	v_cndmask_b32_e32 v2, v7, v3, vcc
	global_store_dword v[4:5], v2, off
	s_mov_b64 s[0:1], 0
.LBB63_977:
	s_mov_b64 s[10:11], 0
.LBB63_978:
	s_and_b64 vcc, exec, s[10:11]
	s_cbranch_vccz .LBB63_983
; %bb.979:
	v_cmp_eq_u16_e32 vcc, 44, v6
	s_mov_b64 s[0:1], -1
	s_cbranch_vccz .LBB63_983
; %bb.980:
	v_cvt_f32_f64_e32 v2, v[0:1]
	v_bfe_u32 v3, v2, 23, 8
	s_movk_i32 s0, 0xff
	v_cmp_ne_u32_e32 vcc, s0, v3
	v_mov_b32_e32 v7, 0xff
	s_and_saveexec_b64 s[10:11], vcc
; %bb.981:
	s_mov_b32 s0, 0x3fffff
	v_lshrrev_b32_e32 v7, 23, v2
	v_and_b32_e32 v8, 0x400000, v2
	v_and_or_b32 v2, v2, s0, v3
	v_cmp_ne_u32_e32 vcc, 0, v8
	v_cmp_ne_u32_e64 s[0:1], 0, v2
	s_and_b64 s[0:1], vcc, s[0:1]
	v_cndmask_b32_e64 v2, 0, 1, s[0:1]
	v_add_u32_e32 v7, v7, v2
; %bb.982:
	s_or_b64 exec, exec, s[10:11]
	s_mov_b64 s[0:1], 0
	global_store_byte v[4:5], v7, off
.LBB63_983:
	s_mov_b64 s[10:11], 0
.LBB63_984:
	s_and_b64 vcc, exec, s[10:11]
	s_cbranch_vccz .LBB63_987
; %bb.985:
	v_cmp_eq_u16_e32 vcc, 29, v6
	s_mov_b64 s[0:1], -1
	s_cbranch_vccz .LBB63_987
; %bb.986:
	v_trunc_f64_e32 v[2:3], v[0:1]
	s_movk_i32 s0, 0xffe0
	v_ldexp_f64 v[8:9], v[2:3], s0
	v_floor_f64_e32 v[8:9], v[8:9]
	v_fmac_f64_e32 v[2:3], 0xc1f00000, v[8:9]
	v_cvt_u32_f64_e32 v11, v[8:9]
	v_cvt_u32_f64_e32 v10, v[2:3]
	global_store_dwordx2 v[4:5], v[10:11], off
	s_mov_b64 s[0:1], 0
.LBB63_987:
	s_mov_b64 s[10:11], 0
.LBB63_988:
	s_and_b64 vcc, exec, s[10:11]
	s_cbranch_vccz .LBB63_1003
; %bb.989:
	v_cmp_gt_i16_e32 vcc, 27, v6
	s_mov_b64 s[10:11], -1
	s_cbranch_vccnz .LBB63_995
; %bb.990:
	v_cmp_lt_i16_e32 vcc, 27, v6
	s_cbranch_vccz .LBB63_992
; %bb.991:
	v_cvt_u32_f64_e32 v2, v[0:1]
	s_mov_b64 s[10:11], 0
	global_store_dword v[4:5], v2, off
.LBB63_992:
	s_andn2_b64 vcc, exec, s[10:11]
	s_cbranch_vccnz .LBB63_994
; %bb.993:
	v_cvt_u32_f64_e32 v2, v[0:1]
	global_store_short v[4:5], v2, off
.LBB63_994:
	s_mov_b64 s[10:11], 0
.LBB63_995:
	s_andn2_b64 vcc, exec, s[10:11]
	s_cbranch_vccnz .LBB63_1003
; %bb.996:
	v_cvt_f32_f64_e32 v2, v[0:1]
	v_and_b32_e32 v3, 0x7fffffff, v2
	s_mov_b32 s10, 0x43800000
	v_cmp_gt_u32_e32 vcc, s10, v3
	v_mov_b32_e32 v7, 0x80
	s_and_saveexec_b64 s[10:11], vcc
	s_cbranch_execz .LBB63_1002
; %bb.997:
	s_mov_b32 s12, 0x3bffffff
	v_cmp_lt_u32_e32 vcc, s12, v3
	s_mov_b64 s[12:13], 0
                                        ; implicit-def: $vgpr3
	s_and_saveexec_b64 s[14:15], vcc
	s_xor_b64 s[14:15], exec, s[14:15]
	s_cbranch_execz .LBB63_1160
; %bb.998:
	v_bfe_u32 v3, v2, 20, 1
	s_mov_b32 s16, 0x487ffff
	v_add3_u32 v3, v2, v3, s16
	s_mov_b64 s[12:13], exec
	v_lshrrev_b32_e32 v3, 20, v3
	s_or_saveexec_b64 s[14:15], s[14:15]
                                        ; implicit-def: $sgpr16
	s_xor_b64 exec, exec, s[14:15]
	s_cbranch_execnz .LBB63_1161
.LBB63_999:
	s_or_b64 exec, exec, s[14:15]
	v_mov_b32_e32 v7, s16
	s_and_saveexec_b64 s[14:15], s[12:13]
.LBB63_1000:
	v_lshrrev_b32_e32 v2, 24, v2
	s_movk_i32 s12, 0x80
	v_and_or_b32 v7, v2, s12, v3
.LBB63_1001:
	s_or_b64 exec, exec, s[14:15]
.LBB63_1002:
	s_or_b64 exec, exec, s[10:11]
	global_store_byte v[4:5], v7, off
.LBB63_1003:
	s_mov_b64 s[12:13], 0
.LBB63_1004:
	s_mov_b64 s[10:11], 0
	s_and_b64 vcc, exec, s[12:13]
	s_cbranch_vccz .LBB63_1048
; %bb.1005:
	v_cmp_lt_i16_e32 vcc, 22, v6
	s_mov_b64 s[12:13], -1
	s_cbranch_vccz .LBB63_1037
; %bb.1006:
	v_cmp_gt_i16_e32 vcc, 24, v6
	s_cbranch_vccnz .LBB63_1026
; %bb.1007:
	v_cmp_lt_i16_e32 vcc, 24, v6
	s_cbranch_vccz .LBB63_1015
; %bb.1008:
	v_cvt_f32_f64_e32 v2, v[0:1]
	v_and_b32_e32 v3, 0x7fffffff, v2
	s_mov_b32 s12, 0x47800000
	v_cmp_gt_u32_e32 vcc, s12, v3
	v_mov_b32_e32 v7, 0x80
	s_and_saveexec_b64 s[12:13], vcc
	s_cbranch_execz .LBB63_1014
; %bb.1009:
	s_mov_b32 s14, 0x37ffffff
	v_cmp_lt_u32_e32 vcc, s14, v3
	s_mov_b64 s[14:15], 0
                                        ; implicit-def: $vgpr3
	s_and_saveexec_b64 s[16:17], vcc
	s_xor_b64 s[16:17], exec, s[16:17]
	s_cbranch_execz .LBB63_1285
; %bb.1010:
	v_bfe_u32 v3, v2, 21, 1
	s_mov_b32 s18, 0x88fffff
	v_add3_u32 v3, v2, v3, s18
	s_mov_b64 s[14:15], exec
	v_lshrrev_b32_e32 v3, 21, v3
	s_or_saveexec_b64 s[16:17], s[16:17]
                                        ; implicit-def: $sgpr18
	s_xor_b64 exec, exec, s[16:17]
	s_cbranch_execnz .LBB63_1286
.LBB63_1011:
	s_or_b64 exec, exec, s[16:17]
	v_mov_b32_e32 v7, s18
	s_and_saveexec_b64 s[16:17], s[14:15]
.LBB63_1012:
	v_lshrrev_b32_e32 v2, 24, v2
	s_movk_i32 s14, 0x80
	v_and_or_b32 v7, v2, s14, v3
.LBB63_1013:
	s_or_b64 exec, exec, s[16:17]
.LBB63_1014:
	s_or_b64 exec, exec, s[12:13]
	s_mov_b64 s[12:13], 0
	global_store_byte v[4:5], v7, off
.LBB63_1015:
	s_and_b64 vcc, exec, s[12:13]
	s_cbranch_vccz .LBB63_1025
; %bb.1016:
	v_cvt_f32_f64_e32 v2, v[0:1]
	v_and_b32_e32 v7, 0x7fffffff, v2
	s_mov_b32 s12, 0x43f00000
	v_cmp_gt_u32_e32 vcc, s12, v7
                                        ; implicit-def: $vgpr3
	s_and_saveexec_b64 s[12:13], vcc
	s_xor_b64 s[12:13], exec, s[12:13]
	s_cbranch_execz .LBB63_1022
; %bb.1017:
	s_mov_b32 s14, 0x3c7fffff
	v_cmp_lt_u32_e32 vcc, s14, v7
                                        ; implicit-def: $vgpr3
	s_and_saveexec_b64 s[14:15], vcc
	s_xor_b64 s[14:15], exec, s[14:15]
; %bb.1018:
	v_bfe_u32 v3, v2, 20, 1
	s_mov_b32 s16, 0x407ffff
	v_add3_u32 v3, v2, v3, s16
	v_lshrrev_b32_e32 v7, 20, v3
	v_and_b32_e32 v3, 0xff00000, v3
	s_mov_b32 s16, 0x7f00000
	v_mov_b32_e32 v8, 0x7e
	v_cmp_ne_u32_e32 vcc, s16, v3
	v_cndmask_b32_e32 v3, v8, v7, vcc
; %bb.1019:
	s_andn2_saveexec_b64 s[14:15], s[14:15]
; %bb.1020:
	s_mov_b32 s16, 0x46800000
	v_add_f32_e64 v3, |v2|, s16
; %bb.1021:
	s_or_b64 exec, exec, s[14:15]
                                        ; implicit-def: $vgpr7
.LBB63_1022:
	s_andn2_saveexec_b64 s[12:13], s[12:13]
; %bb.1023:
	s_mov_b32 s14, 0x7f800000
	v_mov_b32_e32 v3, 0x7e
	v_mov_b32_e32 v8, 0x7f
	v_cmp_lt_u32_e32 vcc, s14, v7
	v_cndmask_b32_e32 v3, v3, v8, vcc
; %bb.1024:
	s_or_b64 exec, exec, s[12:13]
	v_lshrrev_b32_e32 v2, 24, v2
	s_movk_i32 s12, 0x80
	v_and_or_b32 v2, v2, s12, v3
	global_store_byte v[4:5], v2, off
.LBB63_1025:
	s_mov_b64 s[12:13], 0
.LBB63_1026:
	s_andn2_b64 vcc, exec, s[12:13]
	s_cbranch_vccnz .LBB63_1036
; %bb.1027:
	v_cvt_f32_f64_e32 v2, v[0:1]
	v_and_b32_e32 v7, 0x7fffffff, v2
	s_mov_b32 s12, 0x47800000
	v_cmp_gt_u32_e32 vcc, s12, v7
                                        ; implicit-def: $vgpr3
	s_and_saveexec_b64 s[12:13], vcc
	s_xor_b64 s[12:13], exec, s[12:13]
	s_cbranch_execz .LBB63_1033
; %bb.1028:
	s_mov_b32 s14, 0x387fffff
	v_cmp_lt_u32_e32 vcc, s14, v7
                                        ; implicit-def: $vgpr3
	s_and_saveexec_b64 s[14:15], vcc
	s_xor_b64 s[14:15], exec, s[14:15]
; %bb.1029:
	v_bfe_u32 v3, v2, 21, 1
	s_mov_b32 s16, 0x80fffff
	v_add3_u32 v3, v2, v3, s16
	v_lshrrev_b32_e32 v3, 21, v3
; %bb.1030:
	s_andn2_saveexec_b64 s[14:15], s[14:15]
; %bb.1031:
	s_mov_b32 s16, 0x43000000
	v_add_f32_e64 v3, |v2|, s16
; %bb.1032:
	s_or_b64 exec, exec, s[14:15]
                                        ; implicit-def: $vgpr7
.LBB63_1033:
	s_andn2_saveexec_b64 s[12:13], s[12:13]
; %bb.1034:
	s_mov_b32 s14, 0x7f800000
	v_mov_b32_e32 v3, 0x7c
	v_mov_b32_e32 v8, 0x7f
	v_cmp_lt_u32_e32 vcc, s14, v7
	v_cndmask_b32_e32 v3, v3, v8, vcc
; %bb.1035:
	s_or_b64 exec, exec, s[12:13]
	v_lshrrev_b32_e32 v2, 24, v2
	s_movk_i32 s12, 0x80
	v_and_or_b32 v2, v2, s12, v3
	global_store_byte v[4:5], v2, off
.LBB63_1036:
	s_mov_b64 s[12:13], 0
.LBB63_1037:
	s_andn2_b64 vcc, exec, s[12:13]
	s_mov_b64 s[12:13], 0
	s_cbranch_vccnz .LBB63_1049
; %bb.1038:
	v_cmp_lt_i16_e32 vcc, 14, v6
	s_mov_b64 s[14:15], -1
	s_cbranch_vccz .LBB63_1042
; %bb.1039:
	v_cmp_eq_u16_e32 vcc, 15, v6
	s_mov_b64 s[0:1], -1
	s_cbranch_vccz .LBB63_1041
; %bb.1040:
	v_cvt_f32_f64_e32 v2, v[0:1]
	v_bfe_u32 v3, v2, 16, 1
	s_movk_i32 s0, 0x7fff
	v_add3_u32 v3, v2, v3, s0
	v_lshrrev_b32_e32 v3, 16, v3
	v_mov_b32_e32 v7, 0x7fc0
	v_cmp_o_f32_e32 vcc, v2, v2
	v_cndmask_b32_e32 v2, v7, v3, vcc
	global_store_short v[4:5], v2, off
	s_mov_b64 s[0:1], 0
.LBB63_1041:
	s_mov_b64 s[14:15], 0
.LBB63_1042:
	s_and_b64 vcc, exec, s[14:15]
	s_cbranch_vccz .LBB63_1049
; %bb.1043:
	v_cmp_ne_u16_e32 vcc, 11, v6
	s_andn2_b64 s[0:1], s[0:1], exec
	s_and_b64 s[14:15], vcc, exec
	s_mov_b64 s[12:13], -1
	s_or_b64 s[0:1], s[0:1], s[14:15]
	s_branch .LBB63_1049
.LBB63_1044:
	s_or_b64 exec, exec, s[8:9]
	s_and_saveexec_b64 s[0:1], s[54:55]
	s_cbranch_execnz .LBB63_1050
.LBB63_1045:
	s_or_b64 exec, exec, s[0:1]
	s_and_saveexec_b64 s[0:1], s[12:13]
	s_xor_b64 s[0:1], exec, s[0:1]
	s_cbranch_execz .LBB63_1051
.LBB63_1046:
	s_waitcnt vmcnt(0)
	v_cmp_neq_f64_e32 vcc, 0, v[0:1]
	v_cndmask_b32_e64 v2, 0, 1, vcc
	global_store_byte v[4:5], v2, off
	s_or_b64 exec, exec, s[0:1]
	s_and_saveexec_b64 s[0:1], s[10:11]
	s_xor_b64 s[0:1], exec, s[0:1]
	s_cbranch_execz .LBB63_1089
	s_branch .LBB63_1052
.LBB63_1047:
	s_mov_b64 s[10:11], -1
	s_mov_b64 s[0:1], s[54:55]
	s_branch .LBB63_1049
.LBB63_1048:
	s_mov_b64 s[12:13], 0
.LBB63_1049:
	s_andn2_b64 s[14:15], s[54:55], exec
	s_and_b64 s[0:1], s[0:1], exec
	s_and_b64 s[10:11], s[10:11], exec
	;; [unrolled: 1-line block ×3, first 2 shown]
	s_or_b64 s[54:55], s[14:15], s[0:1]
	s_or_b64 exec, exec, s[8:9]
	s_and_saveexec_b64 s[0:1], s[54:55]
	s_cbranch_execz .LBB63_1045
.LBB63_1050:
	s_or_b64 s[2:3], s[2:3], exec
	s_andn2_b64 s[12:13], s[12:13], exec
	s_trap 2
	s_or_b64 exec, exec, s[0:1]
	s_and_saveexec_b64 s[0:1], s[12:13]
	s_xor_b64 s[0:1], exec, s[0:1]
	s_cbranch_execnz .LBB63_1046
.LBB63_1051:
	s_or_b64 exec, exec, s[0:1]
	s_and_saveexec_b64 s[0:1], s[10:11]
	s_xor_b64 s[0:1], exec, s[0:1]
	s_cbranch_execz .LBB63_1089
.LBB63_1052:
	v_cmp_gt_i16_e32 vcc, 5, v6
	s_mov_b64 s[8:9], -1
	s_cbranch_vccnz .LBB63_1073
; %bb.1053:
	v_cmp_gt_i16_e32 vcc, 8, v6
	s_cbranch_vccnz .LBB63_1063
; %bb.1054:
	v_cmp_gt_i16_e32 vcc, 9, v6
	s_cbranch_vccnz .LBB63_1060
; %bb.1055:
	v_cmp_lt_i16_e32 vcc, 9, v6
	s_cbranch_vccz .LBB63_1057
; %bb.1056:
	v_mov_b32_e32 v2, 0
	v_mov_b32_e32 v3, v2
	s_mov_b64 s[8:9], 0
	s_waitcnt vmcnt(0)
	global_store_dwordx4 v[4:5], v[0:3], off
.LBB63_1057:
	s_andn2_b64 vcc, exec, s[8:9]
	s_cbranch_vccnz .LBB63_1059
; %bb.1058:
	s_waitcnt vmcnt(0)
	v_cvt_f32_f64_e32 v2, v[0:1]
	v_mov_b32_e32 v3, 0
	global_store_dwordx2 v[4:5], v[2:3], off
.LBB63_1059:
	s_mov_b64 s[8:9], 0
.LBB63_1060:
	s_andn2_b64 vcc, exec, s[8:9]
	s_cbranch_vccnz .LBB63_1062
; %bb.1061:
	s_waitcnt vmcnt(0)
	v_cvt_f32_f64_e32 v2, v[0:1]
	v_cvt_f16_f32_e32 v2, v2
	global_store_dword v[4:5], v2, off
.LBB63_1062:
	s_mov_b64 s[8:9], 0
.LBB63_1063:
	s_andn2_b64 vcc, exec, s[8:9]
	s_cbranch_vccnz .LBB63_1072
; %bb.1064:
	v_cmp_gt_i16_e32 vcc, 6, v6
	s_mov_b64 s[8:9], -1
	s_cbranch_vccnz .LBB63_1070
; %bb.1065:
	v_cmp_lt_i16_e32 vcc, 6, v6
	s_cbranch_vccz .LBB63_1067
; %bb.1066:
	s_mov_b64 s[8:9], 0
	s_waitcnt vmcnt(0)
	global_store_dwordx2 v[4:5], v[0:1], off
.LBB63_1067:
	s_andn2_b64 vcc, exec, s[8:9]
	s_cbranch_vccnz .LBB63_1069
; %bb.1068:
	s_waitcnt vmcnt(0)
	v_cvt_f32_f64_e32 v2, v[0:1]
	global_store_dword v[4:5], v2, off
.LBB63_1069:
	s_mov_b64 s[8:9], 0
.LBB63_1070:
	s_andn2_b64 vcc, exec, s[8:9]
	s_cbranch_vccnz .LBB63_1072
; %bb.1071:
	s_waitcnt vmcnt(0)
	v_cvt_f32_f64_e32 v2, v[0:1]
	v_cvt_f16_f32_e32 v2, v2
	global_store_short v[4:5], v2, off
.LBB63_1072:
	s_mov_b64 s[8:9], 0
.LBB63_1073:
	s_andn2_b64 vcc, exec, s[8:9]
	s_cbranch_vccnz .LBB63_1089
; %bb.1074:
	v_cmp_gt_i16_e32 vcc, 2, v6
	s_mov_b64 s[8:9], -1
	s_cbranch_vccnz .LBB63_1084
; %bb.1075:
	v_cmp_gt_i16_e32 vcc, 3, v6
	s_cbranch_vccnz .LBB63_1081
; %bb.1076:
	v_cmp_lt_i16_e32 vcc, 3, v6
	s_cbranch_vccz .LBB63_1078
; %bb.1077:
	s_waitcnt vmcnt(0)
	v_trunc_f64_e32 v[2:3], v[0:1]
	s_movk_i32 s8, 0xffe0
	v_ldexp_f64 v[8:9], v[2:3], s8
	v_floor_f64_e32 v[8:9], v[8:9]
	v_fmac_f64_e32 v[2:3], 0xc1f00000, v[8:9]
	v_cvt_i32_f64_e32 v11, v[8:9]
	v_cvt_u32_f64_e32 v10, v[2:3]
	s_mov_b64 s[8:9], 0
	global_store_dwordx2 v[4:5], v[10:11], off
.LBB63_1078:
	s_andn2_b64 vcc, exec, s[8:9]
	s_cbranch_vccnz .LBB63_1080
; %bb.1079:
	s_waitcnt vmcnt(0)
	v_cvt_i32_f64_e32 v2, v[0:1]
	global_store_dword v[4:5], v2, off
.LBB63_1080:
	s_mov_b64 s[8:9], 0
.LBB63_1081:
	s_andn2_b64 vcc, exec, s[8:9]
	s_cbranch_vccnz .LBB63_1083
; %bb.1082:
	s_waitcnt vmcnt(0)
	v_cvt_i32_f64_e32 v2, v[0:1]
	global_store_short v[4:5], v2, off
.LBB63_1083:
	s_mov_b64 s[8:9], 0
.LBB63_1084:
	s_andn2_b64 vcc, exec, s[8:9]
	s_cbranch_vccnz .LBB63_1089
; %bb.1085:
	v_cmp_lt_i16_e32 vcc, 0, v6
	s_mov_b64 s[8:9], -1
	s_cbranch_vccz .LBB63_1087
; %bb.1086:
	s_waitcnt vmcnt(0)
	v_cvt_i32_f64_e32 v2, v[0:1]
	s_mov_b64 s[8:9], 0
	global_store_byte v[4:5], v2, off
.LBB63_1087:
	s_andn2_b64 vcc, exec, s[8:9]
	s_cbranch_vccnz .LBB63_1089
; %bb.1088:
	s_waitcnt vmcnt(0)
	v_trunc_f64_e32 v[0:1], v[0:1]
	s_movk_i32 s8, 0xffe0
	v_ldexp_f64 v[2:3], v[0:1], s8
	v_floor_f64_e32 v[2:3], v[2:3]
	v_fmac_f64_e32 v[0:1], 0xc1f00000, v[2:3]
	v_cvt_u32_f64_e32 v0, v[0:1]
	global_store_byte v[4:5], v0, off
.LBB63_1089:
	s_or_b64 exec, exec, s[0:1]
	s_and_b64 s[28:29], s[2:3], exec
                                        ; implicit-def: $vgpr16
                                        ; implicit-def: $vgpr10
.LBB63_1090:
	s_or_saveexec_b64 s[30:31], s[42:43]
	s_mov_b64 s[0:1], 0
                                        ; implicit-def: $vgpr0_vgpr1
                                        ; implicit-def: $sgpr18
                                        ; implicit-def: $vgpr4_vgpr5
	s_xor_b64 exec, exec, s[30:31]
	s_cbranch_execz .LBB63_2046
; %bb.1091:
	s_waitcnt vmcnt(0)
	v_cndmask_b32_e64 v0, 0, 1, s[40:41]
	v_cmp_ne_u32_e64 s[0:1], 1, v0
	s_andn2_b64 vcc, exec, s[40:41]
	s_cbranch_vccnz .LBB63_1098
; %bb.1092:
	s_mov_b32 s2, 0
	s_cmp_lg_u32 s33, 0
	v_mov_b32_e32 v0, 0
	v_mov_b32_e32 v2, 0
	s_cbranch_scc0 .LBB63_1097
; %bb.1093:
	s_min_u32 s38, s76, 15
	s_add_i32 s38, s38, 1
	s_cmp_eq_u32 s76, 2
	s_cbranch_scc1 .LBB63_1099
; %bb.1094:
	s_add_u32 s6, s34, 0xc4
	s_addc_u32 s7, s35, 0
	s_and_b32 s2, s38, 28
	s_mov_b32 s3, 0
	v_mov_b32_e32 v2, 0
	s_mov_b64 s[36:37], s[34:35]
	v_mov_b32_e32 v1, v10
	v_mov_b32_e32 v0, 0
.LBB63_1095:                            ; =>This Inner Loop Header: Depth=1
	s_load_dwordx8 s[16:23], s[36:37], 0x4
	s_load_dwordx4 s[24:27], s[36:37], 0x24
	s_load_dwordx8 s[8:15], s[6:7], 0x0
	s_add_u32 s36, s36, 48
	s_addc_u32 s37, s37, 0
	s_waitcnt lgkmcnt(0)
	v_mul_hi_u32 v3, s17, v1
	v_add_u32_e32 v3, v1, v3
	v_lshrrev_b32_e32 v3, s18, v3
	v_mul_lo_u32 v4, v3, s16
	v_mul_hi_u32 v5, s20, v3
	v_sub_u32_e32 v1, v1, v4
	v_add_u32_e32 v4, v3, v5
	v_lshrrev_b32_e32 v4, s21, v4
	v_mul_lo_u32 v6, v4, s19
	v_mul_hi_u32 v7, s23, v4
	v_sub_u32_e32 v3, v3, v6
	v_add_u32_e32 v6, v4, v7
	v_mul_lo_u32 v5, v1, s9
	v_mul_lo_u32 v1, v1, s8
	v_mul_lo_u32 v7, v3, s11
	v_mul_lo_u32 v3, v3, s10
	v_lshrrev_b32_e32 v6, s24, v6
	v_add3_u32 v2, v1, v2, v3
	v_mul_lo_u32 v1, v6, s22
	v_mul_hi_u32 v3, s26, v6
	v_sub_u32_e32 v1, v4, v1
	v_add_u32_e32 v3, v6, v3
	v_add3_u32 v0, v5, v0, v7
	v_mul_lo_u32 v4, v1, s12
	v_mul_lo_u32 v5, v1, s13
	v_lshrrev_b32_e32 v1, s27, v3
	s_add_i32 s3, s3, 4
	v_mul_lo_u32 v3, v1, s25
	s_add_u32 s6, s6, 32
	v_sub_u32_e32 v3, v6, v3
	s_addc_u32 s7, s7, 0
	v_mul_lo_u32 v6, v3, s14
	v_mul_lo_u32 v3, v3, s15
	s_cmp_lg_u32 s2, s3
	v_add3_u32 v0, v5, v0, v3
	v_add3_u32 v2, v4, v2, v6
	s_cbranch_scc1 .LBB63_1095
; %bb.1096:
	v_mov_b32_e32 v3, v0
	s_and_b32 s8, s38, 3
	s_cmp_eq_u32 s8, 0
	s_cbranch_scc0 .LBB63_1100
.LBB63_1097:
	s_cbranch_execz .LBB63_1103
	s_branch .LBB63_1105
.LBB63_1098:
                                        ; implicit-def: $vgpr0
                                        ; implicit-def: $vgpr2
	s_branch .LBB63_1103
.LBB63_1099:
	s_mov_b32 s3, s2
	v_pk_mov_b32 v[2:3], s[2:3], s[2:3] op_sel:[0,1]
                                        ; implicit-def: $vgpr0
	v_mov_b32_e32 v1, v10
	s_and_b32 s8, s38, 3
	s_cmp_eq_u32 s8, 0
	s_cbranch_scc1 .LBB63_1097
.LBB63_1100:
	s_lshl_b32 s3, s2, 3
	s_add_u32 s3, s3, s34
	s_addc_u32 s7, 0, s35
	s_add_u32 s6, s3, 0xc4
	s_addc_u32 s7, s7, 0
	s_mul_i32 s2, s2, 12
	s_add_u32 s2, s34, s2
	s_addc_u32 s3, 0, s35
.LBB63_1101:                            ; =>This Inner Loop Header: Depth=1
	s_load_dwordx2 s[10:11], s[2:3], 0x4
	s_load_dword s9, s[2:3], 0xc
	s_load_dwordx2 s[12:13], s[6:7], 0x0
	v_mov_b32_e32 v0, v3
	s_add_u32 s2, s2, 12
	s_waitcnt lgkmcnt(0)
	v_mul_hi_u32 v3, s11, v1
	v_add_u32_e32 v3, v1, v3
	v_lshrrev_b32_e32 v3, s9, v3
	s_addc_u32 s3, s3, 0
	v_mul_lo_u32 v4, v3, s10
	s_add_u32 s6, s6, 8
	v_sub_u32_e32 v6, v1, v4
	v_mov_b32_e32 v1, v3
	s_addc_u32 s7, s7, 0
	s_add_i32 s8, s8, -1
	v_mad_u64_u32 v[4:5], s[10:11], v6, s13, v[0:1]
	v_mad_u64_u32 v[2:3], s[10:11], v6, s12, v[2:3]
	s_cmp_lg_u32 s8, 0
	v_mov_b32_e32 v3, v4
	s_cbranch_scc1 .LBB63_1101
; %bb.1102:
	v_mov_b32_e32 v0, v3
	s_cbranch_execnz .LBB63_1105
.LBB63_1103:
	s_load_dwordx4 s[8:11], s[34:35], 0x4
	s_load_dwordx2 s[2:3], s[34:35], 0xc4
	s_cmp_lt_u32 s33, 2
	s_waitcnt lgkmcnt(0)
	v_mul_hi_u32 v0, s9, v10
	v_add_u32_e32 v0, v10, v0
	v_lshrrev_b32_e32 v1, s10, v0
	v_mul_lo_u32 v0, v1, s8
	v_sub_u32_e32 v2, v10, v0
	v_mul_lo_u32 v0, v2, s3
	v_mul_lo_u32 v2, v2, s2
	s_cbranch_scc1 .LBB63_1105
; %bb.1104:
	s_load_dwordx4 s[8:11], s[34:35], 0x10
	s_load_dwordx2 s[2:3], s[34:35], 0xcc
	s_waitcnt lgkmcnt(0)
	v_mul_hi_u32 v3, s9, v1
	v_add_u32_e32 v3, v1, v3
	v_lshrrev_b32_e32 v3, s10, v3
	v_mul_lo_u32 v3, v3, s8
	v_sub_u32_e32 v1, v1, v3
	v_mad_u64_u32 v[2:3], s[6:7], v1, s2, v[2:3]
	v_mad_u64_u32 v[0:1], s[2:3], v1, s3, v[0:1]
.LBB63_1105:
	s_and_b64 vcc, exec, s[0:1]
	v_add_u32_e32 v1, 0x80, v10
	s_cbranch_vccnz .LBB63_1112
; %bb.1106:
	s_mov_b32 s2, 0
	s_cmp_lg_u32 s33, 0
	v_mov_b32_e32 v6, 0
	v_mov_b32_e32 v8, 0
	s_cbranch_scc0 .LBB63_1111
; %bb.1107:
	s_min_u32 s38, s76, 15
	s_add_i32 s38, s38, 1
	s_cmp_eq_u32 s76, 2
	s_cbranch_scc1 .LBB63_1113
; %bb.1108:
	s_add_u32 s6, s34, 0xc4
	s_addc_u32 s7, s35, 0
	s_and_b32 s2, s38, 28
	s_mov_b32 s3, 0
	v_mov_b32_e32 v8, 0
	s_mov_b64 s[36:37], s[34:35]
	v_mov_b32_e32 v3, v1
	v_mov_b32_e32 v6, 0
.LBB63_1109:                            ; =>This Inner Loop Header: Depth=1
	s_load_dwordx8 s[16:23], s[36:37], 0x4
	s_load_dwordx4 s[24:27], s[36:37], 0x24
	s_load_dwordx8 s[8:15], s[6:7], 0x0
	s_add_u32 s36, s36, 48
	s_addc_u32 s37, s37, 0
	s_waitcnt lgkmcnt(0)
	v_mul_hi_u32 v4, s17, v3
	v_add_u32_e32 v4, v3, v4
	v_lshrrev_b32_e32 v4, s18, v4
	v_mul_lo_u32 v5, v4, s16
	v_mul_hi_u32 v7, s20, v4
	v_sub_u32_e32 v3, v3, v5
	v_add_u32_e32 v5, v4, v7
	v_lshrrev_b32_e32 v5, s21, v5
	v_mul_lo_u32 v9, v5, s19
	v_mul_hi_u32 v11, s23, v5
	v_sub_u32_e32 v4, v4, v9
	v_add_u32_e32 v9, v5, v11
	v_mul_lo_u32 v7, v3, s9
	v_mul_lo_u32 v3, v3, s8
	;; [unrolled: 1-line block ×4, first 2 shown]
	v_lshrrev_b32_e32 v9, s24, v9
	v_add3_u32 v4, v3, v8, v4
	v_add3_u32 v6, v7, v6, v11
	v_mul_lo_u32 v3, v9, s22
	v_mul_hi_u32 v7, s26, v9
	v_sub_u32_e32 v3, v5, v3
	v_add_u32_e32 v5, v9, v7
	v_mul_lo_u32 v7, v3, s12
	v_mul_lo_u32 v8, v3, s13
	v_lshrrev_b32_e32 v3, s27, v5
	s_add_i32 s3, s3, 4
	v_mul_lo_u32 v5, v3, s25
	s_add_u32 s6, s6, 32
	v_sub_u32_e32 v5, v9, v5
	s_addc_u32 s7, s7, 0
	v_mul_lo_u32 v9, v5, s14
	v_mul_lo_u32 v5, v5, s15
	s_cmp_lg_u32 s2, s3
	v_add3_u32 v6, v8, v6, v5
	v_add3_u32 v8, v7, v4, v9
	s_cbranch_scc1 .LBB63_1109
; %bb.1110:
	v_mov_b32_e32 v9, v6
	s_and_b32 s8, s38, 3
	s_cmp_eq_u32 s8, 0
	s_cbranch_scc0 .LBB63_1114
.LBB63_1111:
	s_cbranch_execz .LBB63_1117
	s_branch .LBB63_1119
.LBB63_1112:
                                        ; implicit-def: $vgpr6
                                        ; implicit-def: $vgpr8
	s_branch .LBB63_1117
.LBB63_1113:
	s_mov_b32 s3, s2
	v_pk_mov_b32 v[8:9], s[2:3], s[2:3] op_sel:[0,1]
                                        ; implicit-def: $vgpr6
	v_mov_b32_e32 v3, v1
	s_and_b32 s8, s38, 3
	s_cmp_eq_u32 s8, 0
	s_cbranch_scc1 .LBB63_1111
.LBB63_1114:
	s_lshl_b32 s3, s2, 3
	s_add_u32 s3, s3, s34
	s_addc_u32 s7, 0, s35
	s_add_u32 s6, s3, 0xc4
	s_addc_u32 s7, s7, 0
	s_mul_i32 s2, s2, 12
	s_add_u32 s2, s34, s2
	s_addc_u32 s3, 0, s35
.LBB63_1115:                            ; =>This Inner Loop Header: Depth=1
	s_load_dwordx2 s[10:11], s[2:3], 0x4
	s_load_dword s9, s[2:3], 0xc
	s_load_dwordx2 s[12:13], s[6:7], 0x0
	s_add_u32 s2, s2, 12
	s_addc_u32 s3, s3, 0
	s_waitcnt lgkmcnt(0)
	v_mul_hi_u32 v5, s11, v3
	v_add_u32_e32 v5, v3, v5
	v_lshrrev_b32_e32 v5, s9, v5
	v_mul_lo_u32 v6, v5, s10
	v_mov_b32_e32 v4, v9
	s_add_u32 s6, s6, 8
	v_sub_u32_e32 v6, v3, v6
	s_addc_u32 s7, s7, 0
	s_add_i32 s8, s8, -1
	v_mov_b32_e32 v3, v5
	v_mad_u64_u32 v[4:5], s[10:11], v6, s13, v[4:5]
	v_mad_u64_u32 v[8:9], s[10:11], v6, s12, v[8:9]
	s_cmp_lg_u32 s8, 0
	v_mov_b32_e32 v9, v4
	s_cbranch_scc1 .LBB63_1115
; %bb.1116:
	v_mov_b32_e32 v6, v9
	s_cbranch_execnz .LBB63_1119
.LBB63_1117:
	s_load_dwordx4 s[8:11], s[34:35], 0x4
	s_load_dwordx2 s[2:3], s[34:35], 0xc4
	s_cmp_lt_u32 s33, 2
	s_waitcnt lgkmcnt(0)
	v_mul_hi_u32 v3, s9, v1
	v_add_u32_e32 v3, v1, v3
	v_lshrrev_b32_e32 v3, s10, v3
	v_mul_lo_u32 v4, v3, s8
	v_sub_u32_e32 v1, v1, v4
	v_mul_lo_u32 v6, v1, s3
	v_mul_lo_u32 v8, v1, s2
	s_cbranch_scc1 .LBB63_1119
; %bb.1118:
	s_load_dwordx4 s[8:11], s[34:35], 0x10
	s_load_dwordx2 s[2:3], s[34:35], 0xcc
	s_waitcnt lgkmcnt(0)
	v_mul_hi_u32 v1, s9, v3
	v_add_u32_e32 v1, v3, v1
	v_lshrrev_b32_e32 v1, s10, v1
	v_mul_lo_u32 v1, v1, s8
	v_sub_u32_e32 v1, v3, v1
	v_mad_u64_u32 v[8:9], s[6:7], v1, s2, v[8:9]
	v_mad_u64_u32 v[6:7], s[2:3], v1, s3, v[6:7]
.LBB63_1119:
	s_and_b64 vcc, exec, s[0:1]
	v_add_u32_e32 v1, 0x100, v10
	s_cbranch_vccnz .LBB63_1126
; %bb.1120:
	s_mov_b32 s2, 0
	s_cmp_lg_u32 s33, 0
	v_mov_b32_e32 v10, 0
	v_mov_b32_e32 v12, 0
	s_cbranch_scc0 .LBB63_1125
; %bb.1121:
	s_min_u32 s38, s76, 15
	s_add_i32 s38, s38, 1
	s_cmp_eq_u32 s76, 2
	s_cbranch_scc1 .LBB63_1127
; %bb.1122:
	s_add_u32 s6, s34, 0xc4
	s_addc_u32 s7, s35, 0
	s_and_b32 s2, s38, 28
	s_mov_b32 s3, 0
	v_mov_b32_e32 v12, 0
	s_mov_b64 s[36:37], s[34:35]
	v_mov_b32_e32 v3, v1
	v_mov_b32_e32 v10, 0
.LBB63_1123:                            ; =>This Inner Loop Header: Depth=1
	s_load_dwordx8 s[16:23], s[36:37], 0x4
	s_load_dwordx4 s[24:27], s[36:37], 0x24
	s_load_dwordx8 s[8:15], s[6:7], 0x0
	s_add_u32 s36, s36, 48
	s_addc_u32 s37, s37, 0
	s_waitcnt lgkmcnt(0)
	v_mul_hi_u32 v4, s17, v3
	v_add_u32_e32 v4, v3, v4
	v_lshrrev_b32_e32 v4, s18, v4
	v_mul_lo_u32 v5, v4, s16
	v_mul_hi_u32 v7, s20, v4
	v_sub_u32_e32 v3, v3, v5
	v_add_u32_e32 v5, v4, v7
	v_lshrrev_b32_e32 v5, s21, v5
	v_mul_lo_u32 v9, v5, s19
	v_mul_hi_u32 v11, s23, v5
	v_sub_u32_e32 v4, v4, v9
	v_add_u32_e32 v9, v5, v11
	v_mul_lo_u32 v7, v3, s9
	v_mul_lo_u32 v3, v3, s8
	v_mul_lo_u32 v11, v4, s11
	v_mul_lo_u32 v4, v4, s10
	v_lshrrev_b32_e32 v9, s24, v9
	v_add3_u32 v4, v3, v12, v4
	v_add3_u32 v7, v7, v10, v11
	v_mul_lo_u32 v3, v9, s22
	v_mul_hi_u32 v10, s26, v9
	v_sub_u32_e32 v3, v5, v3
	v_add_u32_e32 v5, v9, v10
	v_mul_lo_u32 v11, v3, s12
	v_mul_lo_u32 v10, v3, s13
	v_lshrrev_b32_e32 v3, s27, v5
	s_add_i32 s3, s3, 4
	v_mul_lo_u32 v5, v3, s25
	s_add_u32 s6, s6, 32
	v_sub_u32_e32 v5, v9, v5
	s_addc_u32 s7, s7, 0
	v_mul_lo_u32 v9, v5, s14
	v_mul_lo_u32 v5, v5, s15
	s_cmp_lg_u32 s2, s3
	v_add3_u32 v10, v10, v7, v5
	v_add3_u32 v12, v11, v4, v9
	s_cbranch_scc1 .LBB63_1123
; %bb.1124:
	v_mov_b32_e32 v13, v10
	s_and_b32 s8, s38, 3
	s_cmp_eq_u32 s8, 0
	s_cbranch_scc0 .LBB63_1128
.LBB63_1125:
	s_cbranch_execz .LBB63_1131
	s_branch .LBB63_1133
.LBB63_1126:
                                        ; implicit-def: $vgpr10
                                        ; implicit-def: $vgpr12
	s_branch .LBB63_1131
.LBB63_1127:
	s_mov_b32 s3, s2
	v_pk_mov_b32 v[12:13], s[2:3], s[2:3] op_sel:[0,1]
                                        ; implicit-def: $vgpr10
	v_mov_b32_e32 v3, v1
	s_and_b32 s8, s38, 3
	s_cmp_eq_u32 s8, 0
	s_cbranch_scc1 .LBB63_1125
.LBB63_1128:
	s_lshl_b32 s3, s2, 3
	s_add_u32 s3, s3, s34
	s_addc_u32 s7, 0, s35
	s_add_u32 s6, s3, 0xc4
	s_addc_u32 s7, s7, 0
	s_mul_i32 s2, s2, 12
	s_add_u32 s2, s34, s2
	s_addc_u32 s3, 0, s35
.LBB63_1129:                            ; =>This Inner Loop Header: Depth=1
	s_load_dwordx2 s[10:11], s[2:3], 0x4
	s_load_dword s9, s[2:3], 0xc
	s_load_dwordx2 s[12:13], s[6:7], 0x0
	s_add_u32 s2, s2, 12
	s_addc_u32 s3, s3, 0
	s_waitcnt lgkmcnt(0)
	v_mul_hi_u32 v5, s11, v3
	v_add_u32_e32 v5, v3, v5
	v_lshrrev_b32_e32 v5, s9, v5
	v_mul_lo_u32 v7, v5, s10
	v_mov_b32_e32 v4, v13
	s_add_u32 s6, s6, 8
	v_sub_u32_e32 v7, v3, v7
	s_addc_u32 s7, s7, 0
	s_add_i32 s8, s8, -1
	v_mov_b32_e32 v3, v5
	v_mad_u64_u32 v[4:5], s[10:11], v7, s13, v[4:5]
	v_mad_u64_u32 v[12:13], s[10:11], v7, s12, v[12:13]
	s_cmp_lg_u32 s8, 0
	v_mov_b32_e32 v13, v4
	s_cbranch_scc1 .LBB63_1129
; %bb.1130:
	v_mov_b32_e32 v10, v13
	s_cbranch_execnz .LBB63_1133
.LBB63_1131:
	s_load_dwordx4 s[8:11], s[34:35], 0x4
	s_load_dwordx2 s[2:3], s[34:35], 0xc4
	s_cmp_lt_u32 s33, 2
	s_waitcnt lgkmcnt(0)
	v_mul_hi_u32 v3, s9, v1
	v_add_u32_e32 v3, v1, v3
	v_lshrrev_b32_e32 v3, s10, v3
	v_mul_lo_u32 v4, v3, s8
	v_sub_u32_e32 v1, v1, v4
	v_mul_lo_u32 v10, v1, s3
	v_mul_lo_u32 v12, v1, s2
	s_cbranch_scc1 .LBB63_1133
; %bb.1132:
	s_load_dwordx4 s[8:11], s[34:35], 0x10
	s_load_dwordx2 s[2:3], s[34:35], 0xcc
	s_waitcnt lgkmcnt(0)
	v_mul_hi_u32 v1, s9, v3
	v_add_u32_e32 v1, v3, v1
	v_lshrrev_b32_e32 v1, s10, v1
	v_mul_lo_u32 v1, v1, s8
	v_sub_u32_e32 v1, v3, v1
	v_mad_u64_u32 v[12:13], s[6:7], v1, s2, v[12:13]
	v_mad_u64_u32 v[10:11], s[2:3], v1, s3, v[10:11]
.LBB63_1133:
	s_and_b64 vcc, exec, s[0:1]
	s_cbranch_vccnz .LBB63_1140
; %bb.1134:
	s_mov_b32 s6, 0
	s_cmp_lg_u32 s33, 0
	v_mov_b32_e32 v4, 0
	v_mov_b32_e32 v14, 0
	s_cbranch_scc0 .LBB63_1139
; %bb.1135:
	s_min_u32 s36, s76, 15
	s_add_i32 s36, s36, 1
	s_cmp_eq_u32 s76, 2
	s_cbranch_scc1 .LBB63_1141
; %bb.1136:
	s_add_u32 s24, s34, 0xc4
	s_addc_u32 s25, s35, 0
	s_and_b32 s6, s36, 28
	s_mov_b32 s7, 0
	v_mov_b32_e32 v14, 0
	s_mov_b64 s[26:27], s[34:35]
	v_mov_b32_e32 v1, v16
	v_mov_b32_e32 v4, 0
.LBB63_1137:                            ; =>This Inner Loop Header: Depth=1
	s_load_dwordx8 s[16:23], s[26:27], 0x4
	s_load_dwordx4 s[0:3], s[26:27], 0x24
	s_load_dwordx8 s[8:15], s[24:25], 0x0
	s_add_u32 s26, s26, 48
	s_addc_u32 s27, s27, 0
	s_waitcnt lgkmcnt(0)
	v_mul_hi_u32 v3, s17, v1
	v_add_u32_e32 v3, v1, v3
	v_lshrrev_b32_e32 v3, s18, v3
	v_mul_lo_u32 v5, v3, s16
	v_mul_hi_u32 v7, s20, v3
	v_sub_u32_e32 v1, v1, v5
	v_add_u32_e32 v5, v3, v7
	v_lshrrev_b32_e32 v5, s21, v5
	v_mul_lo_u32 v9, v5, s19
	v_mul_hi_u32 v11, s23, v5
	v_sub_u32_e32 v3, v3, v9
	v_add_u32_e32 v9, v5, v11
	v_mul_lo_u32 v7, v1, s9
	v_mul_lo_u32 v1, v1, s8
	;; [unrolled: 1-line block ×4, first 2 shown]
	v_lshrrev_b32_e32 v9, s0, v9
	v_add3_u32 v3, v1, v14, v3
	v_add3_u32 v4, v7, v4, v11
	v_mul_lo_u32 v1, v9, s22
	v_mul_hi_u32 v7, s2, v9
	v_sub_u32_e32 v1, v5, v1
	v_add_u32_e32 v5, v9, v7
	v_mul_lo_u32 v7, v1, s12
	v_mul_lo_u32 v11, v1, s13
	v_lshrrev_b32_e32 v1, s3, v5
	s_add_i32 s7, s7, 4
	v_mul_lo_u32 v5, v1, s1
	s_add_u32 s24, s24, 32
	v_sub_u32_e32 v5, v9, v5
	s_addc_u32 s25, s25, 0
	v_mul_lo_u32 v9, v5, s14
	v_mul_lo_u32 v5, v5, s15
	s_cmp_lg_u32 s6, s7
	v_add3_u32 v4, v11, v4, v5
	v_add3_u32 v14, v7, v3, v9
	s_cbranch_scc1 .LBB63_1137
; %bb.1138:
	v_mov_b32_e32 v15, v4
	s_and_b32 s7, s36, 3
	s_cmp_eq_u32 s7, 0
	s_cbranch_scc0 .LBB63_1142
.LBB63_1139:
	s_cbranch_execz .LBB63_1145
	s_branch .LBB63_1147
.LBB63_1140:
                                        ; implicit-def: $vgpr4
                                        ; implicit-def: $vgpr14
	s_branch .LBB63_1145
.LBB63_1141:
	s_mov_b32 s7, s6
	v_pk_mov_b32 v[14:15], s[6:7], s[6:7] op_sel:[0,1]
                                        ; implicit-def: $vgpr4
	v_mov_b32_e32 v1, v16
	s_and_b32 s7, s36, 3
	s_cmp_eq_u32 s7, 0
	s_cbranch_scc1 .LBB63_1139
.LBB63_1142:
	s_lshl_b32 s0, s6, 3
	s_add_u32 s0, s0, s34
	s_addc_u32 s1, 0, s35
	s_add_u32 s0, s0, 0xc4
	s_addc_u32 s1, s1, 0
	s_mul_i32 s2, s6, 12
	s_add_u32 s2, s34, s2
	s_addc_u32 s3, 0, s35
.LBB63_1143:                            ; =>This Inner Loop Header: Depth=1
	s_load_dwordx2 s[8:9], s[2:3], 0x4
	s_load_dword s6, s[2:3], 0xc
	s_load_dwordx2 s[10:11], s[0:1], 0x0
	s_add_u32 s2, s2, 12
	s_addc_u32 s3, s3, 0
	s_waitcnt lgkmcnt(0)
	v_mul_hi_u32 v3, s9, v1
	v_add_u32_e32 v3, v1, v3
	v_lshrrev_b32_e32 v3, s6, v3
	v_mul_lo_u32 v5, v3, s8
	v_mov_b32_e32 v4, v15
	s_add_u32 s0, s0, 8
	v_sub_u32_e32 v7, v1, v5
	s_addc_u32 s1, s1, 0
	s_add_i32 s7, s7, -1
	v_mad_u64_u32 v[4:5], s[8:9], v7, s11, v[4:5]
	v_mad_u64_u32 v[14:15], s[8:9], v7, s10, v[14:15]
	s_cmp_lg_u32 s7, 0
	v_mov_b32_e32 v1, v3
	v_mov_b32_e32 v15, v4
	s_cbranch_scc1 .LBB63_1143
; %bb.1144:
	v_mov_b32_e32 v4, v15
	s_cbranch_execnz .LBB63_1147
.LBB63_1145:
	s_load_dwordx4 s[0:3], s[34:35], 0x4
	s_load_dwordx2 s[6:7], s[34:35], 0xc4
	s_cmp_lt_u32 s33, 2
	s_waitcnt lgkmcnt(0)
	v_mul_hi_u32 v1, s1, v16
	v_add_u32_e32 v1, v16, v1
	v_lshrrev_b32_e32 v1, s2, v1
	v_mul_lo_u32 v3, v1, s0
	v_sub_u32_e32 v3, v16, v3
	v_mul_lo_u32 v4, v3, s7
	v_mul_lo_u32 v14, v3, s6
	s_cbranch_scc1 .LBB63_1147
; %bb.1146:
	s_load_dwordx4 s[0:3], s[34:35], 0x10
	s_load_dwordx2 s[6:7], s[34:35], 0xcc
	s_waitcnt lgkmcnt(0)
	v_mul_hi_u32 v3, s1, v1
	v_add_u32_e32 v3, v1, v3
	v_lshrrev_b32_e32 v3, s2, v3
	v_mul_lo_u32 v3, v3, s0
	v_sub_u32_e32 v1, v1, v3
	v_mad_u64_u32 v[14:15], s[0:1], v1, s6, v[14:15]
	v_mad_u64_u32 v[4:5], s[0:1], v1, s7, v[4:5]
.LBB63_1147:
	s_load_dword s0, s[4:5], 0x170
	s_load_dwordx4 s[8:11], s[34:35], 0x148
	s_waitcnt lgkmcnt(0)
	s_lshr_b32 s18, s0, 8
	v_mov_b32_e32 v1, s11
	v_add_co_u32_e32 v16, vcc, s10, v0
	v_mov_b32_e32 v0, 11
	v_addc_co_u32_e32 v17, vcc, 0, v1, vcc
	v_cmp_lt_i16_sdwa s[0:1], s18, v0 src0_sel:BYTE_0 src1_sel:DWORD
	s_and_b64 vcc, exec, s[0:1]
	s_cbranch_vccnz .LBB63_1154
; %bb.1148:
	v_mov_b32_e32 v0, 25
	v_cmp_gt_i16_sdwa s[0:1], s18, v0 src0_sel:BYTE_0 src1_sel:DWORD
	s_mov_b64 s[4:5], 0
	s_and_b64 vcc, exec, s[0:1]
	s_cbranch_vccz .LBB63_1156
; %bb.1149:
	v_mov_b32_e32 v0, 28
	v_cmp_gt_i16_sdwa s[0:1], s18, v0 src0_sel:BYTE_0 src1_sel:DWORD
	s_and_b64 vcc, exec, s[0:1]
	s_cbranch_vccz .LBB63_1157
; %bb.1150:
	v_mov_b32_e32 v0, 43
	v_cmp_gt_i16_sdwa s[0:1], s18, v0 src0_sel:BYTE_0 src1_sel:DWORD
	;; [unrolled: 5-line block ×3, first 2 shown]
	s_and_b64 vcc, exec, s[0:1]
	s_cbranch_vccz .LBB63_1159
; %bb.1152:
	v_mov_b32_e32 v0, 46
	v_cmp_eq_u16_sdwa s[0:1], s18, v0 src0_sel:BYTE_0 src1_sel:DWORD
	s_mov_b64 s[2:3], 0
	s_and_b64 vcc, exec, s[0:1]
	s_cbranch_vccz .LBB63_1162
; %bb.1153:
	global_load_dword v0, v[16:17], off
	s_mov_b64 s[0:1], 0
	s_mov_b64 s[6:7], -1
	s_waitcnt vmcnt(0)
	v_lshlrev_b32_e32 v0, 16, v0
	v_cvt_f64_f32_e32 v[0:1], v0
	s_branch .LBB63_1163
.LBB63_1154:
	s_mov_b64 s[6:7], 0
                                        ; implicit-def: $vgpr0_vgpr1
	s_mov_b64 s[2:3], s[28:29]
	s_cbranch_execnz .LBB63_1226
.LBB63_1155:
	s_andn2_b64 vcc, exec, s[6:7]
	s_cbranch_vccz .LBB63_1271
	s_branch .LBB63_2044
.LBB63_1156:
	s_mov_b64 s[6:7], 0
	s_mov_b64 s[0:1], 0
                                        ; implicit-def: $vgpr0_vgpr1
	s_cbranch_execnz .LBB63_1191
	s_branch .LBB63_1222
.LBB63_1157:
	s_mov_b64 s[2:3], -1
	s_mov_b64 s[6:7], 0
	s_mov_b64 s[0:1], 0
                                        ; implicit-def: $vgpr0_vgpr1
	s_branch .LBB63_1172
.LBB63_1158:
	s_mov_b64 s[6:7], 0
	s_mov_b64 s[0:1], 0
                                        ; implicit-def: $vgpr0_vgpr1
	s_cbranch_execnz .LBB63_1168
	s_branch .LBB63_1171
.LBB63_1159:
	s_mov_b64 s[2:3], -1
	s_mov_b64 s[6:7], 0
	s_mov_b64 s[0:1], 0
                                        ; implicit-def: $vgpr0_vgpr1
	s_branch .LBB63_1163
.LBB63_1160:
	s_or_saveexec_b64 s[14:15], s[14:15]
                                        ; implicit-def: $sgpr16
	s_xor_b64 exec, exec, s[14:15]
	s_cbranch_execz .LBB63_999
.LBB63_1161:
	s_mov_b32 s16, 0x46000000
	v_add_f32_e64 v3, |v2|, s16
	v_and_b32_e32 v3, 0xff, v3
	v_cmp_ne_u32_e32 vcc, 0, v3
	s_andn2_b64 s[12:13], s[12:13], exec
	s_and_b64 s[18:19], vcc, exec
	s_mov_b32 s16, 0
	s_or_b64 s[12:13], s[12:13], s[18:19]
	s_or_b64 exec, exec, s[14:15]
	v_mov_b32_e32 v7, s16
	s_and_saveexec_b64 s[14:15], s[12:13]
	s_cbranch_execnz .LBB63_1000
	s_branch .LBB63_1001
.LBB63_1162:
	s_mov_b64 s[0:1], -1
                                        ; implicit-def: $vgpr0_vgpr1
	s_mov_b64 s[6:7], 0
.LBB63_1163:
	s_and_b64 vcc, exec, s[2:3]
	s_cbranch_vccz .LBB63_1166
; %bb.1164:
	v_mov_b32_e32 v0, 44
	v_cmp_eq_u16_sdwa s[0:1], s18, v0 src0_sel:BYTE_0 src1_sel:DWORD
	s_and_b64 vcc, exec, s[0:1]
	s_cbranch_vccz .LBB63_1167
; %bb.1165:
	global_load_ubyte v3, v[16:17], off
	s_movk_i32 s2, 0xff
	v_bfrev_b32_e32 v5, 4
	v_mov_b32_e32 v7, 0x7ff80000
	v_bfrev_b32_e32 v9, 28
	s_mov_b64 s[0:1], 0
	s_mov_b64 s[6:7], -1
	s_waitcnt vmcnt(0)
	v_lshlrev_b32_e32 v0, 23, v3
	v_cvt_f64_f32_e32 v[0:1], v0
	v_cmp_ne_u32_e32 vcc, s2, v3
	v_cndmask_b32_e32 v0, v5, v0, vcc
	v_cndmask_b32_e32 v1, v7, v1, vcc
	v_cmp_ne_u32_e32 vcc, 0, v3
	v_cndmask_b32_e32 v1, v9, v1, vcc
	v_cndmask_b32_e32 v0, 0, v0, vcc
.LBB63_1166:
	s_branch .LBB63_1171
.LBB63_1167:
	s_mov_b64 s[0:1], -1
                                        ; implicit-def: $vgpr0_vgpr1
	s_branch .LBB63_1171
.LBB63_1168:
	v_mov_b32_e32 v0, 29
	v_cmp_eq_u16_sdwa s[0:1], s18, v0 src0_sel:BYTE_0 src1_sel:DWORD
	s_and_b64 vcc, exec, s[0:1]
	s_cbranch_vccz .LBB63_1170
; %bb.1169:
	global_load_dwordx2 v[0:1], v[16:17], off
	s_mov_b64 s[0:1], 0
	s_mov_b64 s[6:7], -1
	s_mov_b64 s[2:3], 0
	s_waitcnt vmcnt(0)
	v_cvt_f64_u32_e32 v[18:19], v1
	v_cvt_f64_u32_e32 v[0:1], v0
	v_ldexp_f64 v[18:19], v[18:19], 32
	v_add_f64 v[0:1], v[18:19], v[0:1]
	s_branch .LBB63_1172
.LBB63_1170:
	s_mov_b64 s[0:1], -1
                                        ; implicit-def: $vgpr0_vgpr1
.LBB63_1171:
	s_mov_b64 s[2:3], 0
.LBB63_1172:
	s_and_b64 vcc, exec, s[2:3]
	s_cbranch_vccz .LBB63_1190
; %bb.1173:
	v_mov_b32_e32 v0, 27
	v_cmp_lt_i16_sdwa s[2:3], s18, v0 src0_sel:BYTE_0 src1_sel:DWORD
	s_and_b64 vcc, exec, s[2:3]
	s_cbranch_vccnz .LBB63_1176
; %bb.1174:
	v_cmp_gt_i16_sdwa s[2:3], s18, v0 src0_sel:BYTE_0 src1_sel:DWORD
	s_and_b64 vcc, exec, s[2:3]
	s_cbranch_vccz .LBB63_1177
; %bb.1175:
	global_load_dword v0, v[16:17], off
	s_mov_b64 s[2:3], 0
	s_waitcnt vmcnt(0)
	v_cvt_f64_u32_e32 v[0:1], v0
	s_branch .LBB63_1178
.LBB63_1176:
	s_mov_b64 s[2:3], -1
                                        ; implicit-def: $vgpr0_vgpr1
	s_branch .LBB63_1181
.LBB63_1177:
	s_mov_b64 s[2:3], -1
                                        ; implicit-def: $vgpr0_vgpr1
.LBB63_1178:
	s_andn2_b64 vcc, exec, s[2:3]
	s_cbranch_vccnz .LBB63_1180
; %bb.1179:
	global_load_ushort v0, v[16:17], off
	s_waitcnt vmcnt(0)
	v_cvt_f64_u32_e32 v[0:1], v0
.LBB63_1180:
	s_mov_b64 s[2:3], 0
.LBB63_1181:
	s_andn2_b64 vcc, exec, s[2:3]
	s_cbranch_vccnz .LBB63_1189
; %bb.1182:
	global_load_ubyte v3, v[16:17], off
	s_movk_i32 s2, 0x7f
                                        ; implicit-def: $sgpr6_sgpr7
	s_waitcnt vmcnt(0)
	v_cmp_lt_i16_e32 vcc, s2, v3
	s_mov_b64 s[2:3], 0
	s_and_saveexec_b64 s[12:13], vcc
	s_xor_b64 s[12:13], exec, s[12:13]
	s_cbranch_execz .LBB63_1202
; %bb.1183:
	s_movk_i32 s2, 0x80
	v_cmp_eq_u16_e32 vcc, s2, v3
	s_mov_b64 s[14:15], -1
                                        ; implicit-def: $sgpr6_sgpr7
	s_and_saveexec_b64 s[2:3], vcc
; %bb.1184:
	s_mov_b32 s7, 0x7ff80000
	s_brev_b32 s6, 4
	s_xor_b64 s[14:15], exec, -1
; %bb.1185:
	s_or_b64 exec, exec, s[2:3]
	s_and_b64 s[2:3], s[14:15], exec
	s_or_saveexec_b64 s[12:13], s[12:13]
	v_pk_mov_b32 v[0:1], s[6:7], s[6:7] op_sel:[0,1]
	s_xor_b64 exec, exec, s[12:13]
	s_cbranch_execnz .LBB63_1203
.LBB63_1186:
	s_or_b64 exec, exec, s[12:13]
	s_and_saveexec_b64 s[6:7], s[2:3]
	s_cbranch_execz .LBB63_1188
.LBB63_1187:
	v_and_b32_e32 v1, 0xffff, v3
	v_lshlrev_b32_e32 v0, 24, v3
	v_and_b32_e32 v3, 7, v1
	v_ffbh_u32_e32 v7, v3
	v_min_u32_e32 v7, 32, v7
	v_subrev_u32_e32 v9, 28, v7
	v_bfe_u32 v5, v1, 3, 4
	v_lshlrev_b32_e32 v1, v9, v1
	v_sub_u32_e32 v7, 29, v7
	v_and_b32_e32 v1, 7, v1
	v_cmp_eq_u32_e32 vcc, 0, v5
	v_cndmask_b32_e32 v5, v5, v7, vcc
	v_cndmask_b32_e32 v1, v3, v1, vcc
	v_mov_b32_e32 v3, 0x3b800000
	v_lshlrev_b32_e32 v1, 20, v1
	v_and_b32_e32 v0, 0x80000000, v0
	v_lshl_add_u32 v3, v5, 23, v3
	v_or3_b32 v0, v0, v3, v1
	v_cvt_f64_f32_e32 v[0:1], v0
.LBB63_1188:
	s_or_b64 exec, exec, s[6:7]
.LBB63_1189:
	s_mov_b64 s[6:7], -1
.LBB63_1190:
	s_branch .LBB63_1222
.LBB63_1191:
	v_mov_b32_e32 v0, 22
	v_cmp_gt_i16_sdwa s[2:3], s18, v0 src0_sel:BYTE_0 src1_sel:DWORD
	s_and_b64 vcc, exec, s[2:3]
	s_cbranch_vccz .LBB63_1201
; %bb.1192:
	v_mov_b32_e32 v0, 24
	v_cmp_lt_i16_sdwa s[2:3], s18, v0 src0_sel:BYTE_0 src1_sel:DWORD
	s_and_b64 vcc, exec, s[2:3]
	s_cbranch_vccnz .LBB63_1204
; %bb.1193:
	v_cmp_gt_i16_sdwa s[2:3], s18, v0 src0_sel:BYTE_0 src1_sel:DWORD
	s_and_b64 vcc, exec, s[2:3]
	s_cbranch_vccz .LBB63_1205
; %bb.1194:
	global_load_ubyte v3, v[16:17], off
	s_movk_i32 s2, 0x7f
                                        ; implicit-def: $sgpr4_sgpr5
	s_waitcnt vmcnt(0)
	v_cmp_lt_i16_e32 vcc, s2, v3
	s_mov_b64 s[2:3], 0
	s_and_saveexec_b64 s[6:7], vcc
	s_xor_b64 s[6:7], exec, s[6:7]
	s_cbranch_execz .LBB63_1216
; %bb.1195:
	s_movk_i32 s2, 0x80
	v_cmp_eq_u16_e32 vcc, s2, v3
	s_mov_b64 s[12:13], -1
                                        ; implicit-def: $sgpr4_sgpr5
	s_and_saveexec_b64 s[2:3], vcc
; %bb.1196:
	s_mov_b32 s5, 0x7ff80000
	s_brev_b32 s4, 4
	s_xor_b64 s[12:13], exec, -1
; %bb.1197:
	s_or_b64 exec, exec, s[2:3]
	s_and_b64 s[2:3], s[12:13], exec
	s_or_saveexec_b64 s[6:7], s[6:7]
	v_pk_mov_b32 v[0:1], s[4:5], s[4:5] op_sel:[0,1]
	s_xor_b64 exec, exec, s[6:7]
	s_cbranch_execnz .LBB63_1217
.LBB63_1198:
	s_or_b64 exec, exec, s[6:7]
	s_and_saveexec_b64 s[4:5], s[2:3]
	s_cbranch_execz .LBB63_1200
.LBB63_1199:
	v_and_b32_e32 v1, 0xffff, v3
	v_lshlrev_b32_e32 v0, 24, v3
	v_and_b32_e32 v3, 3, v1
	v_ffbh_u32_e32 v7, v3
	v_min_u32_e32 v7, 32, v7
	v_subrev_u32_e32 v9, 29, v7
	v_bfe_u32 v5, v1, 2, 5
	v_lshlrev_b32_e32 v1, v9, v1
	v_sub_u32_e32 v7, 30, v7
	v_and_b32_e32 v1, 3, v1
	v_cmp_eq_u32_e32 vcc, 0, v5
	v_cndmask_b32_e32 v5, v5, v7, vcc
	v_cndmask_b32_e32 v1, v3, v1, vcc
	v_mov_b32_e32 v3, 0x37800000
	v_lshlrev_b32_e32 v1, 21, v1
	v_and_b32_e32 v0, 0x80000000, v0
	v_lshl_add_u32 v3, v5, 23, v3
	v_or3_b32 v0, v0, v3, v1
	v_cvt_f64_f32_e32 v[0:1], v0
.LBB63_1200:
	s_or_b64 exec, exec, s[4:5]
	s_mov_b64 s[2:3], 0
	s_branch .LBB63_1206
.LBB63_1201:
                                        ; implicit-def: $vgpr0_vgpr1
	s_mov_b64 s[4:5], 0
	s_branch .LBB63_1212
.LBB63_1202:
	s_or_saveexec_b64 s[12:13], s[12:13]
	v_pk_mov_b32 v[0:1], s[6:7], s[6:7] op_sel:[0,1]
	s_xor_b64 exec, exec, s[12:13]
	s_cbranch_execz .LBB63_1186
.LBB63_1203:
	v_cmp_ne_u16_e32 vcc, 0, v3
	s_andn2_b64 s[2:3], s[2:3], exec
	s_and_b64 s[6:7], vcc, exec
	v_pk_mov_b32 v[0:1], 0, 0
	s_or_b64 s[2:3], s[2:3], s[6:7]
	s_or_b64 exec, exec, s[12:13]
	s_and_saveexec_b64 s[6:7], s[2:3]
	s_cbranch_execnz .LBB63_1187
	s_branch .LBB63_1188
.LBB63_1204:
	s_mov_b64 s[2:3], -1
                                        ; implicit-def: $vgpr0_vgpr1
	s_branch .LBB63_1209
.LBB63_1205:
	s_mov_b64 s[2:3], -1
                                        ; implicit-def: $vgpr0_vgpr1
.LBB63_1206:
	s_and_b64 vcc, exec, s[2:3]
	s_cbranch_vccz .LBB63_1208
; %bb.1207:
	global_load_ubyte v0, v[16:17], off
	s_mov_b32 s2, 0x7f800000
	s_waitcnt vmcnt(0)
	v_lshlrev_b32_e32 v0, 24, v0
	v_and_b32_e32 v1, 0x7f000000, v0
	v_ffbh_u32_e32 v3, v1
	v_min_u32_e32 v3, 32, v3
	v_sub_u32_e64 v3, v3, 4 clamp
	v_lshlrev_b32_e32 v7, v3, v1
	v_lshlrev_b32_e32 v3, 23, v3
	v_lshrrev_b32_e32 v7, 4, v7
	v_add_u32_e32 v5, 0x1000000, v1
	v_sub_u32_e32 v3, v7, v3
	v_ashrrev_i32_e32 v5, 8, v5
	v_add_u32_e32 v3, 0x3c000000, v3
	v_and_or_b32 v3, v5, s2, v3
	v_cmp_ne_u32_e32 vcc, 0, v1
	v_cndmask_b32_e32 v1, 0, v3, vcc
	s_brev_b32 s2, 1
	v_and_or_b32 v0, v0, s2, v1
	v_cvt_f64_f32_e32 v[0:1], v0
.LBB63_1208:
	s_mov_b64 s[2:3], 0
.LBB63_1209:
	s_andn2_b64 vcc, exec, s[2:3]
	s_cbranch_vccnz .LBB63_1211
; %bb.1210:
	global_load_ubyte v0, v[16:17], off
	s_movk_i32 s2, 0x7f00
	s_brev_b32 s3, 16
	s_waitcnt vmcnt(0)
	v_lshlrev_b16_e32 v1, 8, v0
	v_lshlrev_b32_e32 v0, 25, v0
	v_lshrrev_b32_e32 v3, 4, v0
	v_and_or_b32 v5, v1, s2, 0.5
	v_or_b32_e32 v3, 0x70000000, v3
	v_add_f32_e32 v5, -0.5, v5
	v_mul_f32_e32 v3, 0x7800000, v3
	v_cmp_gt_u32_e32 vcc, s3, v0
	v_bfe_i32 v1, v1, 0, 16
	v_cndmask_b32_e32 v0, v3, v5, vcc
	s_brev_b32 s2, 1
	v_and_or_b32 v0, v1, s2, v0
	v_cvt_f64_f32_e32 v[0:1], v0
.LBB63_1211:
	s_mov_b64 s[6:7], -1
	s_mov_b64 s[4:5], 0
	s_cbranch_execnz .LBB63_1222
.LBB63_1212:
	v_mov_b32_e32 v0, 14
	v_cmp_gt_i16_sdwa s[2:3], s18, v0 src0_sel:BYTE_0 src1_sel:DWORD
	s_and_b64 vcc, exec, s[2:3]
	s_cbranch_vccz .LBB63_1215
; %bb.1213:
	v_mov_b32_e32 v0, 15
	v_cmp_eq_u16_sdwa s[0:1], s18, v0 src0_sel:BYTE_0 src1_sel:DWORD
	s_and_b64 vcc, exec, s[0:1]
	s_cbranch_vccz .LBB63_1218
; %bb.1214:
	global_load_ushort v0, v[16:17], off
	s_mov_b64 s[0:1], 0
	s_mov_b64 s[6:7], -1
	s_waitcnt vmcnt(0)
	v_lshlrev_b32_e32 v0, 16, v0
	v_cvt_f64_f32_e32 v[0:1], v0
	s_branch .LBB63_1219
.LBB63_1215:
	s_mov_b64 s[2:3], -1
                                        ; implicit-def: $vgpr0_vgpr1
	s_branch .LBB63_1220
.LBB63_1216:
	s_or_saveexec_b64 s[6:7], s[6:7]
	v_pk_mov_b32 v[0:1], s[4:5], s[4:5] op_sel:[0,1]
	s_xor_b64 exec, exec, s[6:7]
	s_cbranch_execz .LBB63_1198
.LBB63_1217:
	v_cmp_ne_u16_e32 vcc, 0, v3
	s_andn2_b64 s[2:3], s[2:3], exec
	s_and_b64 s[4:5], vcc, exec
	v_pk_mov_b32 v[0:1], 0, 0
	s_or_b64 s[2:3], s[2:3], s[4:5]
	s_or_b64 exec, exec, s[6:7]
	s_and_saveexec_b64 s[4:5], s[2:3]
	s_cbranch_execnz .LBB63_1199
	s_branch .LBB63_1200
.LBB63_1218:
	s_mov_b64 s[0:1], -1
                                        ; implicit-def: $vgpr0_vgpr1
.LBB63_1219:
	s_mov_b64 s[2:3], 0
.LBB63_1220:
	s_and_b64 vcc, exec, s[2:3]
	s_cbranch_vccz .LBB63_1222
; %bb.1221:
	v_mov_b32_e32 v0, 11
	v_cmp_ne_u16_sdwa s[0:1], s18, v0 src0_sel:BYTE_0 src1_sel:DWORD
	s_mov_b64 s[4:5], -1
                                        ; implicit-def: $vgpr0_vgpr1
.LBB63_1222:
	s_and_b64 vcc, exec, s[0:1]
	s_mov_b64 s[2:3], s[28:29]
	s_cbranch_vccnz .LBB63_1283
; %bb.1223:
	s_andn2_b64 vcc, exec, s[4:5]
	s_cbranch_vccnz .LBB63_1225
.LBB63_1224:
	global_load_ubyte v1, v[16:17], off
	v_mov_b32_e32 v3, 0x3ff00000
	v_mov_b32_e32 v0, 0
	s_mov_b64 s[6:7], -1
	s_waitcnt vmcnt(0)
	v_cmp_ne_u16_e32 vcc, 0, v1
	v_cndmask_b32_e32 v1, 0, v3, vcc
.LBB63_1225:
	s_branch .LBB63_1155
.LBB63_1226:
	v_mov_b32_e32 v0, 5
	v_cmp_lt_i16_sdwa s[0:1], s18, v0 src0_sel:BYTE_0 src1_sel:DWORD
	s_and_b64 vcc, exec, s[0:1]
	s_cbranch_vccnz .LBB63_1231
; %bb.1227:
	v_mov_b32_e32 v0, 8
	v_cmp_lt_i16_sdwa s[0:1], s18, v0 src0_sel:BYTE_0 src1_sel:DWORD
	s_and_b64 vcc, exec, s[0:1]
	s_cbranch_vccnz .LBB63_1232
; %bb.1228:
	;; [unrolled: 5-line block ×3, first 2 shown]
	v_cmp_gt_i16_sdwa s[0:1], s18, v0 src0_sel:BYTE_0 src1_sel:DWORD
	s_and_b64 vcc, exec, s[0:1]
	s_cbranch_vccz .LBB63_1234
; %bb.1230:
	global_load_dwordx2 v[0:1], v[16:17], off
	s_mov_b64 s[0:1], 0
	s_branch .LBB63_1235
.LBB63_1231:
                                        ; implicit-def: $vgpr0_vgpr1
	s_branch .LBB63_1252
.LBB63_1232:
                                        ; implicit-def: $vgpr0_vgpr1
	s_branch .LBB63_1241
.LBB63_1233:
	s_mov_b64 s[0:1], -1
                                        ; implicit-def: $vgpr0_vgpr1
	s_branch .LBB63_1238
.LBB63_1234:
	s_mov_b64 s[0:1], -1
                                        ; implicit-def: $vgpr0_vgpr1
.LBB63_1235:
	s_andn2_b64 vcc, exec, s[0:1]
	s_cbranch_vccnz .LBB63_1237
; %bb.1236:
	global_load_dword v0, v[16:17], off
	s_waitcnt vmcnt(0)
	v_cvt_f64_f32_e32 v[0:1], v0
.LBB63_1237:
	s_mov_b64 s[0:1], 0
.LBB63_1238:
	s_andn2_b64 vcc, exec, s[0:1]
	s_cbranch_vccnz .LBB63_1240
; %bb.1239:
	global_load_dword v0, v[16:17], off
	s_waitcnt vmcnt(0)
	v_cvt_f32_f16_e32 v0, v0
	v_cvt_f64_f32_e32 v[0:1], v0
.LBB63_1240:
	s_cbranch_execnz .LBB63_1251
.LBB63_1241:
	s_waitcnt vmcnt(0)
	v_mov_b32_e32 v0, 6
	v_cmp_lt_i16_sdwa s[0:1], s18, v0 src0_sel:BYTE_0 src1_sel:DWORD
	s_and_b64 vcc, exec, s[0:1]
	s_cbranch_vccnz .LBB63_1244
; %bb.1242:
	v_cmp_gt_i16_sdwa s[0:1], s18, v0 src0_sel:BYTE_0 src1_sel:DWORD
	s_and_b64 vcc, exec, s[0:1]
	s_cbranch_vccz .LBB63_1245
; %bb.1243:
	global_load_dwordx2 v[0:1], v[16:17], off
	s_mov_b64 s[0:1], 0
	s_branch .LBB63_1246
.LBB63_1244:
	s_mov_b64 s[0:1], -1
                                        ; implicit-def: $vgpr0_vgpr1
	s_branch .LBB63_1249
.LBB63_1245:
	s_mov_b64 s[0:1], -1
                                        ; implicit-def: $vgpr0_vgpr1
.LBB63_1246:
	s_andn2_b64 vcc, exec, s[0:1]
	s_cbranch_vccnz .LBB63_1248
; %bb.1247:
	global_load_dword v0, v[16:17], off
	s_waitcnt vmcnt(0)
	v_cvt_f64_f32_e32 v[0:1], v0
.LBB63_1248:
	s_mov_b64 s[0:1], 0
.LBB63_1249:
	s_andn2_b64 vcc, exec, s[0:1]
	s_cbranch_vccnz .LBB63_1251
; %bb.1250:
	global_load_ushort v0, v[16:17], off
	s_waitcnt vmcnt(0)
	v_cvt_f32_f16_e32 v0, v0
	v_cvt_f64_f32_e32 v[0:1], v0
.LBB63_1251:
	s_cbranch_execnz .LBB63_1270
.LBB63_1252:
	s_waitcnt vmcnt(0)
	v_mov_b32_e32 v0, 2
	v_cmp_lt_i16_sdwa s[0:1], s18, v0 src0_sel:BYTE_0 src1_sel:DWORD
	s_and_b64 vcc, exec, s[0:1]
	s_cbranch_vccnz .LBB63_1256
; %bb.1253:
	v_mov_b32_e32 v0, 3
	v_cmp_lt_i16_sdwa s[0:1], s18, v0 src0_sel:BYTE_0 src1_sel:DWORD
	s_and_b64 vcc, exec, s[0:1]
	s_cbranch_vccnz .LBB63_1257
; %bb.1254:
	v_cmp_gt_i16_sdwa s[0:1], s18, v0 src0_sel:BYTE_0 src1_sel:DWORD
	s_and_b64 vcc, exec, s[0:1]
	s_cbranch_vccz .LBB63_1258
; %bb.1255:
	global_load_dwordx2 v[0:1], v[16:17], off
	s_mov_b64 s[0:1], 0
	s_waitcnt vmcnt(0)
	v_cvt_f64_i32_e32 v[18:19], v1
	v_cvt_f64_u32_e32 v[0:1], v0
	v_ldexp_f64 v[18:19], v[18:19], 32
	v_add_f64 v[0:1], v[18:19], v[0:1]
	s_branch .LBB63_1259
.LBB63_1256:
                                        ; implicit-def: $vgpr0_vgpr1
	s_branch .LBB63_1265
.LBB63_1257:
	s_mov_b64 s[0:1], -1
                                        ; implicit-def: $vgpr0_vgpr1
	s_branch .LBB63_1262
.LBB63_1258:
	s_mov_b64 s[0:1], -1
                                        ; implicit-def: $vgpr0_vgpr1
.LBB63_1259:
	s_andn2_b64 vcc, exec, s[0:1]
	s_cbranch_vccnz .LBB63_1261
; %bb.1260:
	global_load_dword v0, v[16:17], off
	s_waitcnt vmcnt(0)
	v_cvt_f64_i32_e32 v[0:1], v0
.LBB63_1261:
	s_mov_b64 s[0:1], 0
.LBB63_1262:
	s_andn2_b64 vcc, exec, s[0:1]
	s_cbranch_vccnz .LBB63_1264
; %bb.1263:
	global_load_sshort v0, v[16:17], off
	s_waitcnt vmcnt(0)
	v_cvt_f64_i32_e32 v[0:1], v0
.LBB63_1264:
	s_cbranch_execnz .LBB63_1270
.LBB63_1265:
	v_mov_b32_e32 v0, 0
	v_cmp_gt_i16_sdwa s[0:1], s18, v0 src0_sel:BYTE_0 src1_sel:DWORD
	s_and_b64 vcc, exec, s[0:1]
	s_cbranch_vccz .LBB63_1267
; %bb.1266:
	global_load_sbyte v0, v[16:17], off
	s_mov_b64 s[0:1], 0
	s_waitcnt vmcnt(0)
	v_cvt_f64_i32_e32 v[0:1], v0
	s_branch .LBB63_1268
.LBB63_1267:
	s_mov_b64 s[0:1], -1
                                        ; implicit-def: $vgpr0_vgpr1
.LBB63_1268:
	s_andn2_b64 vcc, exec, s[0:1]
	s_cbranch_vccnz .LBB63_1270
; %bb.1269:
	global_load_ubyte v0, v[16:17], off
	s_waitcnt vmcnt(0)
	v_cvt_f64_u32_e32 v[0:1], v0
.LBB63_1270:
.LBB63_1271:
	v_mov_b32_e32 v3, s11
	v_add_co_u32_e32 v16, vcc, s10, v6
	v_addc_co_u32_e32 v17, vcc, 0, v3, vcc
	v_mov_b32_e32 v3, 11
	v_cmp_lt_i16_sdwa s[0:1], s18, v3 src0_sel:BYTE_0 src1_sel:DWORD
	s_and_b64 vcc, exec, s[0:1]
	s_cbranch_vccnz .LBB63_1278
; %bb.1272:
	v_mov_b32_e32 v3, 25
	v_cmp_gt_i16_sdwa s[0:1], s18, v3 src0_sel:BYTE_0 src1_sel:DWORD
	s_mov_b64 s[4:5], 0
	s_and_b64 vcc, exec, s[0:1]
	s_cbranch_vccz .LBB63_1280
; %bb.1273:
	v_mov_b32_e32 v3, 28
	v_cmp_gt_i16_sdwa s[0:1], s18, v3 src0_sel:BYTE_0 src1_sel:DWORD
	s_and_b64 vcc, exec, s[0:1]
	s_cbranch_vccz .LBB63_1281
; %bb.1274:
	v_mov_b32_e32 v3, 43
	v_cmp_gt_i16_sdwa s[0:1], s18, v3 src0_sel:BYTE_0 src1_sel:DWORD
	s_and_b64 vcc, exec, s[0:1]
	s_cbranch_vccz .LBB63_1282
; %bb.1275:
	v_mov_b32_e32 v3, 45
	v_cmp_gt_i16_sdwa s[0:1], s18, v3 src0_sel:BYTE_0 src1_sel:DWORD
	s_and_b64 vcc, exec, s[0:1]
	s_cbranch_vccz .LBB63_1284
; %bb.1276:
	v_mov_b32_e32 v3, 46
	v_cmp_eq_u16_sdwa s[0:1], s18, v3 src0_sel:BYTE_0 src1_sel:DWORD
	s_mov_b64 s[12:13], 0
	s_and_b64 vcc, exec, s[0:1]
	s_cbranch_vccz .LBB63_1287
; %bb.1277:
	global_load_dword v3, v[16:17], off
	s_mov_b64 s[0:1], 0
	s_mov_b64 s[6:7], -1
	s_waitcnt vmcnt(0)
	v_lshlrev_b32_e32 v3, 16, v3
	v_cvt_f64_f32_e32 v[6:7], v3
	s_branch .LBB63_1288
.LBB63_1278:
	s_mov_b64 s[6:7], 0
                                        ; implicit-def: $vgpr6_vgpr7
	s_cbranch_execnz .LBB63_1353
.LBB63_1279:
	s_andn2_b64 vcc, exec, s[6:7]
	s_cbranch_vccnz .LBB63_2044
	s_branch .LBB63_1400
.LBB63_1280:
	s_mov_b64 s[6:7], 0
	s_mov_b64 s[0:1], 0
                                        ; implicit-def: $vgpr6_vgpr7
	s_cbranch_execnz .LBB63_1317
	s_branch .LBB63_1349
.LBB63_1281:
	s_mov_b64 s[12:13], -1
	s_mov_b64 s[6:7], 0
	s_mov_b64 s[0:1], 0
                                        ; implicit-def: $vgpr6_vgpr7
	s_branch .LBB63_1298
.LBB63_1282:
	s_mov_b64 s[12:13], -1
	s_mov_b64 s[6:7], 0
	s_mov_b64 s[0:1], 0
                                        ; implicit-def: $vgpr6_vgpr7
	s_branch .LBB63_1293
.LBB63_1283:
	s_or_b64 s[2:3], s[28:29], exec
	s_trap 2
                                        ; implicit-def: $vgpr0_vgpr1
	s_cbranch_execz .LBB63_1224
	s_branch .LBB63_1225
.LBB63_1284:
	s_mov_b64 s[12:13], -1
	s_mov_b64 s[6:7], 0
	s_mov_b64 s[0:1], 0
                                        ; implicit-def: $vgpr6_vgpr7
	s_branch .LBB63_1288
.LBB63_1285:
	s_or_saveexec_b64 s[16:17], s[16:17]
                                        ; implicit-def: $sgpr18
	s_xor_b64 exec, exec, s[16:17]
	s_cbranch_execz .LBB63_1011
.LBB63_1286:
	s_mov_b32 s18, 0x42800000
	v_add_f32_e64 v3, |v2|, s18
	v_and_b32_e32 v3, 0xff, v3
	v_cmp_ne_u32_e32 vcc, 0, v3
	s_andn2_b64 s[14:15], s[14:15], exec
	s_and_b64 s[20:21], vcc, exec
	s_mov_b32 s18, 0
	s_or_b64 s[14:15], s[14:15], s[20:21]
	s_or_b64 exec, exec, s[16:17]
	v_mov_b32_e32 v7, s18
	s_and_saveexec_b64 s[16:17], s[14:15]
	s_cbranch_execnz .LBB63_1012
	s_branch .LBB63_1013
.LBB63_1287:
	s_mov_b64 s[0:1], -1
                                        ; implicit-def: $vgpr6_vgpr7
	s_mov_b64 s[6:7], 0
.LBB63_1288:
	s_and_b64 vcc, exec, s[12:13]
	s_cbranch_vccz .LBB63_1292
; %bb.1289:
	v_mov_b32_e32 v3, 44
	v_cmp_eq_u16_sdwa s[0:1], s18, v3 src0_sel:BYTE_0 src1_sel:DWORD
	s_and_b64 vcc, exec, s[0:1]
	s_cbranch_vccz .LBB63_1291
; %bb.1290:
	global_load_ubyte v3, v[16:17], off
	s_movk_i32 s6, 0xff
	v_bfrev_b32_e32 v5, 4
	v_mov_b32_e32 v9, 0x7ff80000
	v_bfrev_b32_e32 v11, 28
	s_mov_b64 s[0:1], 0
	s_waitcnt vmcnt(0)
	v_lshlrev_b32_e32 v6, 23, v3
	v_cvt_f64_f32_e32 v[6:7], v6
	v_cmp_ne_u32_e32 vcc, s6, v3
	v_cndmask_b32_e32 v5, v5, v6, vcc
	v_cndmask_b32_e32 v6, v9, v7, vcc
	v_cmp_ne_u32_e32 vcc, 0, v3
	v_cndmask_b32_e32 v7, v11, v6, vcc
	v_cndmask_b32_e32 v6, 0, v5, vcc
	s_mov_b64 s[6:7], -1
	s_branch .LBB63_1292
.LBB63_1291:
	s_mov_b64 s[0:1], -1
                                        ; implicit-def: $vgpr6_vgpr7
.LBB63_1292:
	s_mov_b64 s[12:13], 0
.LBB63_1293:
	s_and_b64 vcc, exec, s[12:13]
	s_cbranch_vccz .LBB63_1297
; %bb.1294:
	v_mov_b32_e32 v3, 29
	v_cmp_eq_u16_sdwa s[0:1], s18, v3 src0_sel:BYTE_0 src1_sel:DWORD
	s_and_b64 vcc, exec, s[0:1]
	s_cbranch_vccz .LBB63_1296
; %bb.1295:
	global_load_dwordx2 v[6:7], v[16:17], off
	s_mov_b64 s[0:1], 0
	s_mov_b64 s[6:7], -1
	s_mov_b64 s[12:13], 0
	s_waitcnt vmcnt(0)
	v_cvt_f64_u32_e32 v[18:19], v7
	v_cvt_f64_u32_e32 v[6:7], v6
	v_ldexp_f64 v[18:19], v[18:19], 32
	v_add_f64 v[6:7], v[18:19], v[6:7]
	s_branch .LBB63_1298
.LBB63_1296:
	s_mov_b64 s[0:1], -1
                                        ; implicit-def: $vgpr6_vgpr7
.LBB63_1297:
	s_mov_b64 s[12:13], 0
.LBB63_1298:
	s_and_b64 vcc, exec, s[12:13]
	s_cbranch_vccz .LBB63_1316
; %bb.1299:
	v_mov_b32_e32 v3, 27
	v_cmp_lt_i16_sdwa s[6:7], s18, v3 src0_sel:BYTE_0 src1_sel:DWORD
	s_and_b64 vcc, exec, s[6:7]
	s_cbranch_vccnz .LBB63_1302
; %bb.1300:
	v_cmp_gt_i16_sdwa s[6:7], s18, v3 src0_sel:BYTE_0 src1_sel:DWORD
	s_and_b64 vcc, exec, s[6:7]
	s_cbranch_vccz .LBB63_1303
; %bb.1301:
	global_load_dword v3, v[16:17], off
	s_mov_b64 s[6:7], 0
	s_waitcnt vmcnt(0)
	v_cvt_f64_u32_e32 v[6:7], v3
	s_branch .LBB63_1304
.LBB63_1302:
	s_mov_b64 s[6:7], -1
                                        ; implicit-def: $vgpr6_vgpr7
	s_branch .LBB63_1307
.LBB63_1303:
	s_mov_b64 s[6:7], -1
                                        ; implicit-def: $vgpr6_vgpr7
.LBB63_1304:
	s_andn2_b64 vcc, exec, s[6:7]
	s_cbranch_vccnz .LBB63_1306
; %bb.1305:
	global_load_ushort v3, v[16:17], off
	s_waitcnt vmcnt(0)
	v_cvt_f64_u32_e32 v[6:7], v3
.LBB63_1306:
	s_mov_b64 s[6:7], 0
.LBB63_1307:
	s_andn2_b64 vcc, exec, s[6:7]
	s_cbranch_vccnz .LBB63_1315
; %bb.1308:
	global_load_ubyte v3, v[16:17], off
	s_movk_i32 s6, 0x7f
                                        ; implicit-def: $sgpr12_sgpr13
	s_waitcnt vmcnt(0)
	v_cmp_lt_i16_e32 vcc, s6, v3
	s_mov_b64 s[6:7], 0
	s_and_saveexec_b64 s[14:15], vcc
	s_xor_b64 s[14:15], exec, s[14:15]
	s_cbranch_execz .LBB63_1328
; %bb.1309:
	s_movk_i32 s6, 0x80
	v_cmp_eq_u16_e32 vcc, s6, v3
	s_mov_b64 s[16:17], -1
                                        ; implicit-def: $sgpr12_sgpr13
	s_and_saveexec_b64 s[6:7], vcc
; %bb.1310:
	s_mov_b32 s13, 0x7ff80000
	s_brev_b32 s12, 4
	s_xor_b64 s[16:17], exec, -1
; %bb.1311:
	s_or_b64 exec, exec, s[6:7]
	s_and_b64 s[6:7], s[16:17], exec
	s_or_saveexec_b64 s[14:15], s[14:15]
	v_pk_mov_b32 v[6:7], s[12:13], s[12:13] op_sel:[0,1]
	s_xor_b64 exec, exec, s[14:15]
	s_cbranch_execnz .LBB63_1329
.LBB63_1312:
	s_or_b64 exec, exec, s[14:15]
	s_and_saveexec_b64 s[12:13], s[6:7]
	s_cbranch_execz .LBB63_1314
.LBB63_1313:
	v_lshlrev_b32_e32 v5, 24, v3
	v_and_b32_e32 v3, 0xffff, v3
	v_and_b32_e32 v6, 7, v3
	v_ffbh_u32_e32 v9, v6
	v_min_u32_e32 v9, 32, v9
	v_subrev_u32_e32 v11, 28, v9
	v_bfe_u32 v7, v3, 3, 4
	v_lshlrev_b32_e32 v3, v11, v3
	v_sub_u32_e32 v9, 29, v9
	v_and_b32_e32 v3, 7, v3
	v_cmp_eq_u32_e32 vcc, 0, v7
	v_cndmask_b32_e32 v7, v7, v9, vcc
	v_cndmask_b32_e32 v3, v6, v3, vcc
	v_mov_b32_e32 v6, 0x3b800000
	v_lshlrev_b32_e32 v3, 20, v3
	v_and_b32_e32 v5, 0x80000000, v5
	v_lshl_add_u32 v6, v7, 23, v6
	v_or3_b32 v3, v5, v6, v3
	v_cvt_f64_f32_e32 v[6:7], v3
.LBB63_1314:
	s_or_b64 exec, exec, s[12:13]
.LBB63_1315:
	s_mov_b64 s[6:7], -1
.LBB63_1316:
	s_branch .LBB63_1349
.LBB63_1317:
	v_mov_b32_e32 v3, 22
	v_cmp_gt_i16_sdwa s[4:5], s18, v3 src0_sel:BYTE_0 src1_sel:DWORD
	s_and_b64 vcc, exec, s[4:5]
	s_cbranch_vccz .LBB63_1327
; %bb.1318:
	v_mov_b32_e32 v3, 24
	v_cmp_lt_i16_sdwa s[4:5], s18, v3 src0_sel:BYTE_0 src1_sel:DWORD
	s_and_b64 vcc, exec, s[4:5]
	s_cbranch_vccnz .LBB63_1330
; %bb.1319:
	v_cmp_gt_i16_sdwa s[4:5], s18, v3 src0_sel:BYTE_0 src1_sel:DWORD
	s_and_b64 vcc, exec, s[4:5]
	s_cbranch_vccz .LBB63_1331
; %bb.1320:
	global_load_ubyte v3, v[16:17], off
	s_movk_i32 s4, 0x7f
                                        ; implicit-def: $sgpr6_sgpr7
	s_waitcnt vmcnt(0)
	v_cmp_lt_i16_e32 vcc, s4, v3
	s_mov_b64 s[4:5], 0
	s_and_saveexec_b64 s[12:13], vcc
	s_xor_b64 s[12:13], exec, s[12:13]
	s_cbranch_execz .LBB63_1343
; %bb.1321:
	s_movk_i32 s4, 0x80
	v_cmp_eq_u16_e32 vcc, s4, v3
	s_mov_b64 s[14:15], -1
                                        ; implicit-def: $sgpr6_sgpr7
	s_and_saveexec_b64 s[4:5], vcc
; %bb.1322:
	s_mov_b32 s7, 0x7ff80000
	s_brev_b32 s6, 4
	s_xor_b64 s[14:15], exec, -1
; %bb.1323:
	s_or_b64 exec, exec, s[4:5]
	s_and_b64 s[4:5], s[14:15], exec
	s_or_saveexec_b64 s[12:13], s[12:13]
	v_pk_mov_b32 v[6:7], s[6:7], s[6:7] op_sel:[0,1]
	s_xor_b64 exec, exec, s[12:13]
	s_cbranch_execnz .LBB63_1344
.LBB63_1324:
	s_or_b64 exec, exec, s[12:13]
	s_and_saveexec_b64 s[6:7], s[4:5]
	s_cbranch_execz .LBB63_1326
.LBB63_1325:
	v_lshlrev_b32_e32 v5, 24, v3
	v_and_b32_e32 v3, 0xffff, v3
	v_and_b32_e32 v6, 3, v3
	v_ffbh_u32_e32 v9, v6
	v_min_u32_e32 v9, 32, v9
	v_subrev_u32_e32 v11, 29, v9
	v_bfe_u32 v7, v3, 2, 5
	v_lshlrev_b32_e32 v3, v11, v3
	v_sub_u32_e32 v9, 30, v9
	v_and_b32_e32 v3, 3, v3
	v_cmp_eq_u32_e32 vcc, 0, v7
	v_cndmask_b32_e32 v7, v7, v9, vcc
	v_cndmask_b32_e32 v3, v6, v3, vcc
	v_mov_b32_e32 v6, 0x37800000
	v_lshlrev_b32_e32 v3, 21, v3
	v_and_b32_e32 v5, 0x80000000, v5
	v_lshl_add_u32 v6, v7, 23, v6
	v_or3_b32 v3, v5, v6, v3
	v_cvt_f64_f32_e32 v[6:7], v3
.LBB63_1326:
	s_or_b64 exec, exec, s[6:7]
	s_mov_b64 s[4:5], 0
	s_branch .LBB63_1332
.LBB63_1327:
	s_mov_b64 s[4:5], -1
                                        ; implicit-def: $vgpr6_vgpr7
	s_branch .LBB63_1338
.LBB63_1328:
	s_or_saveexec_b64 s[14:15], s[14:15]
	v_pk_mov_b32 v[6:7], s[12:13], s[12:13] op_sel:[0,1]
	s_xor_b64 exec, exec, s[14:15]
	s_cbranch_execz .LBB63_1312
.LBB63_1329:
	v_cmp_ne_u16_e32 vcc, 0, v3
	s_andn2_b64 s[6:7], s[6:7], exec
	s_and_b64 s[12:13], vcc, exec
	v_pk_mov_b32 v[6:7], 0, 0
	s_or_b64 s[6:7], s[6:7], s[12:13]
	s_or_b64 exec, exec, s[14:15]
	s_and_saveexec_b64 s[12:13], s[6:7]
	s_cbranch_execnz .LBB63_1313
	s_branch .LBB63_1314
.LBB63_1330:
	s_mov_b64 s[4:5], -1
                                        ; implicit-def: $vgpr6_vgpr7
	s_branch .LBB63_1335
.LBB63_1331:
	s_mov_b64 s[4:5], -1
                                        ; implicit-def: $vgpr6_vgpr7
.LBB63_1332:
	s_and_b64 vcc, exec, s[4:5]
	s_cbranch_vccz .LBB63_1334
; %bb.1333:
	global_load_ubyte v3, v[16:17], off
	s_mov_b32 s4, 0x7f800000
	s_waitcnt vmcnt(0)
	v_lshlrev_b32_e32 v3, 24, v3
	v_and_b32_e32 v5, 0x7f000000, v3
	v_ffbh_u32_e32 v6, v5
	v_min_u32_e32 v6, 32, v6
	v_sub_u32_e64 v6, v6, 4 clamp
	v_lshlrev_b32_e32 v9, v6, v5
	v_lshlrev_b32_e32 v6, 23, v6
	v_lshrrev_b32_e32 v9, 4, v9
	v_add_u32_e32 v7, 0x1000000, v5
	v_sub_u32_e32 v6, v9, v6
	v_ashrrev_i32_e32 v7, 8, v7
	v_add_u32_e32 v6, 0x3c000000, v6
	v_and_or_b32 v6, v7, s4, v6
	v_cmp_ne_u32_e32 vcc, 0, v5
	v_cndmask_b32_e32 v5, 0, v6, vcc
	s_brev_b32 s4, 1
	v_and_or_b32 v3, v3, s4, v5
	v_cvt_f64_f32_e32 v[6:7], v3
.LBB63_1334:
	s_mov_b64 s[4:5], 0
.LBB63_1335:
	s_andn2_b64 vcc, exec, s[4:5]
	s_cbranch_vccnz .LBB63_1337
; %bb.1336:
	global_load_ubyte v3, v[16:17], off
	s_movk_i32 s4, 0x7f00
	s_brev_b32 s5, 16
	s_waitcnt vmcnt(0)
	v_lshlrev_b16_e32 v5, 8, v3
	v_lshlrev_b32_e32 v3, 25, v3
	v_lshrrev_b32_e32 v6, 4, v3
	v_and_or_b32 v7, v5, s4, 0.5
	v_or_b32_e32 v6, 0x70000000, v6
	v_add_f32_e32 v7, -0.5, v7
	v_mul_f32_e32 v6, 0x7800000, v6
	v_cmp_gt_u32_e32 vcc, s5, v3
	v_bfe_i32 v5, v5, 0, 16
	v_cndmask_b32_e32 v3, v6, v7, vcc
	s_brev_b32 s4, 1
	v_and_or_b32 v3, v5, s4, v3
	v_cvt_f64_f32_e32 v[6:7], v3
.LBB63_1337:
	s_mov_b64 s[4:5], 0
	s_mov_b64 s[6:7], -1
.LBB63_1338:
	s_andn2_b64 vcc, exec, s[4:5]
	s_mov_b64 s[4:5], 0
	s_cbranch_vccnz .LBB63_1349
; %bb.1339:
	v_mov_b32_e32 v3, 14
	v_cmp_gt_i16_sdwa s[4:5], s18, v3 src0_sel:BYTE_0 src1_sel:DWORD
	s_and_b64 vcc, exec, s[4:5]
	s_cbranch_vccz .LBB63_1342
; %bb.1340:
	v_mov_b32_e32 v3, 15
	v_cmp_eq_u16_sdwa s[0:1], s18, v3 src0_sel:BYTE_0 src1_sel:DWORD
	s_and_b64 vcc, exec, s[0:1]
	s_cbranch_vccz .LBB63_1345
; %bb.1341:
	global_load_ushort v3, v[16:17], off
	s_mov_b64 s[0:1], 0
	s_mov_b64 s[6:7], -1
	s_waitcnt vmcnt(0)
	v_lshlrev_b32_e32 v3, 16, v3
	v_cvt_f64_f32_e32 v[6:7], v3
	s_branch .LBB63_1346
.LBB63_1342:
	s_mov_b64 s[12:13], -1
                                        ; implicit-def: $vgpr6_vgpr7
	s_branch .LBB63_1347
.LBB63_1343:
	s_or_saveexec_b64 s[12:13], s[12:13]
	v_pk_mov_b32 v[6:7], s[6:7], s[6:7] op_sel:[0,1]
	s_xor_b64 exec, exec, s[12:13]
	s_cbranch_execz .LBB63_1324
.LBB63_1344:
	v_cmp_ne_u16_e32 vcc, 0, v3
	s_andn2_b64 s[4:5], s[4:5], exec
	s_and_b64 s[6:7], vcc, exec
	v_pk_mov_b32 v[6:7], 0, 0
	s_or_b64 s[4:5], s[4:5], s[6:7]
	s_or_b64 exec, exec, s[12:13]
	s_and_saveexec_b64 s[6:7], s[4:5]
	s_cbranch_execnz .LBB63_1325
	s_branch .LBB63_1326
.LBB63_1345:
	s_mov_b64 s[0:1], -1
                                        ; implicit-def: $vgpr6_vgpr7
.LBB63_1346:
	s_mov_b64 s[12:13], 0
.LBB63_1347:
	s_mov_b64 s[4:5], 0
	s_and_b64 vcc, exec, s[12:13]
	s_cbranch_vccz .LBB63_1349
; %bb.1348:
	v_mov_b32_e32 v3, 11
	v_cmp_ne_u16_sdwa s[0:1], s18, v3 src0_sel:BYTE_0 src1_sel:DWORD
	s_mov_b64 s[4:5], -1
                                        ; implicit-def: $vgpr6_vgpr7
.LBB63_1349:
	s_and_b64 vcc, exec, s[0:1]
	s_cbranch_vccnz .LBB63_1412
; %bb.1350:
	s_andn2_b64 vcc, exec, s[4:5]
	s_cbranch_vccnz .LBB63_1352
.LBB63_1351:
	global_load_ubyte v3, v[16:17], off
	v_mov_b32_e32 v5, 0x3ff00000
	v_mov_b32_e32 v6, 0
	s_mov_b64 s[6:7], -1
	s_waitcnt vmcnt(0)
	v_cmp_ne_u16_e32 vcc, 0, v3
	v_cndmask_b32_e32 v7, 0, v5, vcc
.LBB63_1352:
	s_branch .LBB63_1279
.LBB63_1353:
	v_mov_b32_e32 v3, 5
	v_cmp_lt_i16_sdwa s[0:1], s18, v3 src0_sel:BYTE_0 src1_sel:DWORD
	s_and_b64 vcc, exec, s[0:1]
	s_cbranch_vccnz .LBB63_1358
; %bb.1354:
	v_mov_b32_e32 v3, 8
	v_cmp_lt_i16_sdwa s[0:1], s18, v3 src0_sel:BYTE_0 src1_sel:DWORD
	s_and_b64 vcc, exec, s[0:1]
	s_cbranch_vccnz .LBB63_1359
; %bb.1355:
	;; [unrolled: 5-line block ×3, first 2 shown]
	v_cmp_gt_i16_sdwa s[0:1], s18, v3 src0_sel:BYTE_0 src1_sel:DWORD
	s_and_b64 vcc, exec, s[0:1]
	s_cbranch_vccz .LBB63_1361
; %bb.1357:
	global_load_dwordx2 v[6:7], v[16:17], off
	s_mov_b64 s[0:1], 0
	s_branch .LBB63_1362
.LBB63_1358:
                                        ; implicit-def: $vgpr6_vgpr7
	s_branch .LBB63_1380
.LBB63_1359:
	s_mov_b64 s[0:1], -1
                                        ; implicit-def: $vgpr6_vgpr7
	s_branch .LBB63_1368
.LBB63_1360:
	s_mov_b64 s[0:1], -1
                                        ; implicit-def: $vgpr6_vgpr7
	s_branch .LBB63_1365
.LBB63_1361:
	s_mov_b64 s[0:1], -1
                                        ; implicit-def: $vgpr6_vgpr7
.LBB63_1362:
	s_andn2_b64 vcc, exec, s[0:1]
	s_cbranch_vccnz .LBB63_1364
; %bb.1363:
	global_load_dword v3, v[16:17], off
	s_waitcnt vmcnt(0)
	v_cvt_f64_f32_e32 v[6:7], v3
.LBB63_1364:
	s_mov_b64 s[0:1], 0
.LBB63_1365:
	s_andn2_b64 vcc, exec, s[0:1]
	s_cbranch_vccnz .LBB63_1367
; %bb.1366:
	global_load_dword v3, v[16:17], off
	s_waitcnt vmcnt(0)
	v_cvt_f32_f16_e32 v3, v3
	v_cvt_f64_f32_e32 v[6:7], v3
.LBB63_1367:
	s_mov_b64 s[0:1], 0
.LBB63_1368:
	s_andn2_b64 vcc, exec, s[0:1]
	s_cbranch_vccnz .LBB63_1379
; %bb.1369:
	v_mov_b32_e32 v3, 6
	v_cmp_lt_i16_sdwa s[0:1], s18, v3 src0_sel:BYTE_0 src1_sel:DWORD
	s_and_b64 vcc, exec, s[0:1]
	s_cbranch_vccnz .LBB63_1372
; %bb.1370:
	v_cmp_gt_i16_sdwa s[0:1], s18, v3 src0_sel:BYTE_0 src1_sel:DWORD
	s_and_b64 vcc, exec, s[0:1]
	s_cbranch_vccz .LBB63_1373
; %bb.1371:
	global_load_dwordx2 v[6:7], v[16:17], off
	s_mov_b64 s[0:1], 0
	s_branch .LBB63_1374
.LBB63_1372:
	s_mov_b64 s[0:1], -1
                                        ; implicit-def: $vgpr6_vgpr7
	s_branch .LBB63_1377
.LBB63_1373:
	s_mov_b64 s[0:1], -1
                                        ; implicit-def: $vgpr6_vgpr7
.LBB63_1374:
	s_andn2_b64 vcc, exec, s[0:1]
	s_cbranch_vccnz .LBB63_1376
; %bb.1375:
	global_load_dword v3, v[16:17], off
	s_waitcnt vmcnt(0)
	v_cvt_f64_f32_e32 v[6:7], v3
.LBB63_1376:
	s_mov_b64 s[0:1], 0
.LBB63_1377:
	s_andn2_b64 vcc, exec, s[0:1]
	s_cbranch_vccnz .LBB63_1379
; %bb.1378:
	global_load_ushort v3, v[16:17], off
	s_waitcnt vmcnt(0)
	v_cvt_f32_f16_e32 v3, v3
	v_cvt_f64_f32_e32 v[6:7], v3
.LBB63_1379:
	s_cbranch_execnz .LBB63_1399
.LBB63_1380:
	v_mov_b32_e32 v3, 2
	v_cmp_lt_i16_sdwa s[0:1], s18, v3 src0_sel:BYTE_0 src1_sel:DWORD
	s_and_b64 vcc, exec, s[0:1]
	s_cbranch_vccnz .LBB63_1384
; %bb.1381:
	v_mov_b32_e32 v3, 3
	v_cmp_lt_i16_sdwa s[0:1], s18, v3 src0_sel:BYTE_0 src1_sel:DWORD
	s_and_b64 vcc, exec, s[0:1]
	s_cbranch_vccnz .LBB63_1385
; %bb.1382:
	v_cmp_gt_i16_sdwa s[0:1], s18, v3 src0_sel:BYTE_0 src1_sel:DWORD
	s_and_b64 vcc, exec, s[0:1]
	s_cbranch_vccz .LBB63_1386
; %bb.1383:
	global_load_dwordx2 v[6:7], v[16:17], off
	s_mov_b64 s[0:1], 0
	s_waitcnt vmcnt(0)
	v_cvt_f64_i32_e32 v[18:19], v7
	v_cvt_f64_u32_e32 v[6:7], v6
	v_ldexp_f64 v[18:19], v[18:19], 32
	v_add_f64 v[6:7], v[18:19], v[6:7]
	s_branch .LBB63_1387
.LBB63_1384:
	s_mov_b64 s[0:1], -1
                                        ; implicit-def: $vgpr6_vgpr7
	s_branch .LBB63_1393
.LBB63_1385:
	s_mov_b64 s[0:1], -1
                                        ; implicit-def: $vgpr6_vgpr7
	s_branch .LBB63_1390
.LBB63_1386:
	s_mov_b64 s[0:1], -1
                                        ; implicit-def: $vgpr6_vgpr7
.LBB63_1387:
	s_andn2_b64 vcc, exec, s[0:1]
	s_cbranch_vccnz .LBB63_1389
; %bb.1388:
	global_load_dword v3, v[16:17], off
	s_waitcnt vmcnt(0)
	v_cvt_f64_i32_e32 v[6:7], v3
.LBB63_1389:
	s_mov_b64 s[0:1], 0
.LBB63_1390:
	s_andn2_b64 vcc, exec, s[0:1]
	s_cbranch_vccnz .LBB63_1392
; %bb.1391:
	global_load_sshort v3, v[16:17], off
	s_waitcnt vmcnt(0)
	v_cvt_f64_i32_e32 v[6:7], v3
.LBB63_1392:
	s_mov_b64 s[0:1], 0
.LBB63_1393:
	s_andn2_b64 vcc, exec, s[0:1]
	s_cbranch_vccnz .LBB63_1399
; %bb.1394:
	v_mov_b32_e32 v3, 0
	v_cmp_gt_i16_sdwa s[0:1], s18, v3 src0_sel:BYTE_0 src1_sel:DWORD
	s_and_b64 vcc, exec, s[0:1]
	s_cbranch_vccz .LBB63_1396
; %bb.1395:
	global_load_sbyte v3, v[16:17], off
	s_mov_b64 s[0:1], 0
	s_waitcnt vmcnt(0)
	v_cvt_f64_i32_e32 v[6:7], v3
	s_branch .LBB63_1397
.LBB63_1396:
	s_mov_b64 s[0:1], -1
                                        ; implicit-def: $vgpr6_vgpr7
.LBB63_1397:
	s_andn2_b64 vcc, exec, s[0:1]
	s_cbranch_vccnz .LBB63_1399
; %bb.1398:
	global_load_ubyte v3, v[16:17], off
	s_waitcnt vmcnt(0)
	v_cvt_f64_u32_e32 v[6:7], v3
.LBB63_1399:
.LBB63_1400:
	v_mov_b32_e32 v3, s11
	v_add_co_u32_e32 v16, vcc, s10, v10
	v_addc_co_u32_e32 v17, vcc, 0, v3, vcc
	v_mov_b32_e32 v3, 11
	v_cmp_lt_i16_sdwa s[0:1], s18, v3 src0_sel:BYTE_0 src1_sel:DWORD
	s_and_b64 vcc, exec, s[0:1]
	s_cbranch_vccnz .LBB63_1407
; %bb.1401:
	v_mov_b32_e32 v3, 25
	v_cmp_gt_i16_sdwa s[0:1], s18, v3 src0_sel:BYTE_0 src1_sel:DWORD
	s_mov_b64 s[4:5], 0
	s_and_b64 vcc, exec, s[0:1]
	s_cbranch_vccz .LBB63_1409
; %bb.1402:
	v_mov_b32_e32 v3, 28
	v_cmp_gt_i16_sdwa s[0:1], s18, v3 src0_sel:BYTE_0 src1_sel:DWORD
	s_and_b64 vcc, exec, s[0:1]
	s_cbranch_vccz .LBB63_1410
; %bb.1403:
	v_mov_b32_e32 v3, 43
	v_cmp_gt_i16_sdwa s[0:1], s18, v3 src0_sel:BYTE_0 src1_sel:DWORD
	;; [unrolled: 5-line block ×3, first 2 shown]
	s_and_b64 vcc, exec, s[0:1]
	s_cbranch_vccz .LBB63_1413
; %bb.1405:
	v_mov_b32_e32 v3, 46
	v_cmp_eq_u16_sdwa s[0:1], s18, v3 src0_sel:BYTE_0 src1_sel:DWORD
	s_mov_b64 s[12:13], 0
	s_and_b64 vcc, exec, s[0:1]
	s_cbranch_vccz .LBB63_1414
; %bb.1406:
	global_load_dword v3, v[16:17], off
	s_mov_b64 s[0:1], 0
	s_mov_b64 s[6:7], -1
	s_waitcnt vmcnt(0)
	v_lshlrev_b32_e32 v3, 16, v3
	v_cvt_f64_f32_e32 v[10:11], v3
	s_branch .LBB63_1415
.LBB63_1407:
	s_mov_b64 s[6:7], 0
                                        ; implicit-def: $vgpr10_vgpr11
	s_cbranch_execnz .LBB63_1481
.LBB63_1408:
	s_andn2_b64 vcc, exec, s[6:7]
	s_cbranch_vccnz .LBB63_2044
	s_branch .LBB63_1529
.LBB63_1409:
	s_mov_b64 s[12:13], -1
	s_mov_b64 s[6:7], 0
	s_mov_b64 s[0:1], 0
                                        ; implicit-def: $vgpr10_vgpr11
	s_branch .LBB63_1444
.LBB63_1410:
	s_mov_b64 s[12:13], -1
	s_mov_b64 s[6:7], 0
	s_mov_b64 s[0:1], 0
                                        ; implicit-def: $vgpr10_vgpr11
	s_branch .LBB63_1425
.LBB63_1411:
	s_mov_b64 s[12:13], -1
	s_mov_b64 s[6:7], 0
	s_mov_b64 s[0:1], 0
                                        ; implicit-def: $vgpr10_vgpr11
	s_branch .LBB63_1420
.LBB63_1412:
	s_trap 2
	s_or_b64 s[2:3], s[2:3], exec
                                        ; implicit-def: $vgpr6_vgpr7
	s_cbranch_execz .LBB63_1351
	s_branch .LBB63_1352
.LBB63_1413:
	s_mov_b64 s[12:13], -1
	s_mov_b64 s[6:7], 0
	s_mov_b64 s[0:1], 0
                                        ; implicit-def: $vgpr10_vgpr11
	s_branch .LBB63_1415
.LBB63_1414:
	s_mov_b64 s[0:1], -1
                                        ; implicit-def: $vgpr10_vgpr11
	s_mov_b64 s[6:7], 0
.LBB63_1415:
	s_and_b64 vcc, exec, s[12:13]
	s_cbranch_vccz .LBB63_1419
; %bb.1416:
	v_mov_b32_e32 v3, 44
	v_cmp_eq_u16_sdwa s[0:1], s18, v3 src0_sel:BYTE_0 src1_sel:DWORD
	s_and_b64 vcc, exec, s[0:1]
	s_cbranch_vccz .LBB63_1418
; %bb.1417:
	global_load_ubyte v3, v[16:17], off
	s_movk_i32 s6, 0xff
	v_bfrev_b32_e32 v5, 4
	v_mov_b32_e32 v9, 0x7ff80000
	v_bfrev_b32_e32 v13, 28
	s_mov_b64 s[0:1], 0
	s_waitcnt vmcnt(0)
	v_lshlrev_b32_e32 v10, 23, v3
	v_cvt_f64_f32_e32 v[10:11], v10
	v_cmp_ne_u32_e32 vcc, s6, v3
	v_cndmask_b32_e32 v5, v5, v10, vcc
	v_cndmask_b32_e32 v9, v9, v11, vcc
	v_cmp_ne_u32_e32 vcc, 0, v3
	v_cndmask_b32_e32 v11, v13, v9, vcc
	v_cndmask_b32_e32 v10, 0, v5, vcc
	s_mov_b64 s[6:7], -1
	s_branch .LBB63_1419
.LBB63_1418:
	s_mov_b64 s[0:1], -1
                                        ; implicit-def: $vgpr10_vgpr11
.LBB63_1419:
	s_mov_b64 s[12:13], 0
.LBB63_1420:
	s_and_b64 vcc, exec, s[12:13]
	s_cbranch_vccz .LBB63_1424
; %bb.1421:
	v_mov_b32_e32 v3, 29
	v_cmp_eq_u16_sdwa s[0:1], s18, v3 src0_sel:BYTE_0 src1_sel:DWORD
	s_and_b64 vcc, exec, s[0:1]
	s_cbranch_vccz .LBB63_1423
; %bb.1422:
	global_load_dwordx2 v[10:11], v[16:17], off
	s_mov_b64 s[0:1], 0
	s_mov_b64 s[6:7], -1
	s_mov_b64 s[12:13], 0
	s_waitcnt vmcnt(0)
	v_cvt_f64_u32_e32 v[18:19], v11
	v_cvt_f64_u32_e32 v[10:11], v10
	v_ldexp_f64 v[18:19], v[18:19], 32
	v_add_f64 v[10:11], v[18:19], v[10:11]
	s_branch .LBB63_1425
.LBB63_1423:
	s_mov_b64 s[0:1], -1
                                        ; implicit-def: $vgpr10_vgpr11
.LBB63_1424:
	s_mov_b64 s[12:13], 0
.LBB63_1425:
	s_and_b64 vcc, exec, s[12:13]
	s_cbranch_vccz .LBB63_1443
; %bb.1426:
	v_mov_b32_e32 v3, 27
	v_cmp_lt_i16_sdwa s[6:7], s18, v3 src0_sel:BYTE_0 src1_sel:DWORD
	s_and_b64 vcc, exec, s[6:7]
	s_cbranch_vccnz .LBB63_1429
; %bb.1427:
	v_cmp_gt_i16_sdwa s[6:7], s18, v3 src0_sel:BYTE_0 src1_sel:DWORD
	s_and_b64 vcc, exec, s[6:7]
	s_cbranch_vccz .LBB63_1430
; %bb.1428:
	global_load_dword v3, v[16:17], off
	s_mov_b64 s[6:7], 0
	s_waitcnt vmcnt(0)
	v_cvt_f64_u32_e32 v[10:11], v3
	s_branch .LBB63_1431
.LBB63_1429:
	s_mov_b64 s[6:7], -1
                                        ; implicit-def: $vgpr10_vgpr11
	s_branch .LBB63_1434
.LBB63_1430:
	s_mov_b64 s[6:7], -1
                                        ; implicit-def: $vgpr10_vgpr11
.LBB63_1431:
	s_andn2_b64 vcc, exec, s[6:7]
	s_cbranch_vccnz .LBB63_1433
; %bb.1432:
	global_load_ushort v3, v[16:17], off
	s_waitcnt vmcnt(0)
	v_cvt_f64_u32_e32 v[10:11], v3
.LBB63_1433:
	s_mov_b64 s[6:7], 0
.LBB63_1434:
	s_andn2_b64 vcc, exec, s[6:7]
	s_cbranch_vccnz .LBB63_1442
; %bb.1435:
	global_load_ubyte v3, v[16:17], off
	s_movk_i32 s6, 0x7f
                                        ; implicit-def: $sgpr12_sgpr13
	s_waitcnt vmcnt(0)
	v_cmp_lt_i16_e32 vcc, s6, v3
	s_mov_b64 s[6:7], 0
	s_and_saveexec_b64 s[14:15], vcc
	s_xor_b64 s[14:15], exec, s[14:15]
	s_cbranch_execz .LBB63_1456
; %bb.1436:
	s_movk_i32 s6, 0x80
	v_cmp_eq_u16_e32 vcc, s6, v3
	s_mov_b64 s[16:17], -1
                                        ; implicit-def: $sgpr12_sgpr13
	s_and_saveexec_b64 s[6:7], vcc
; %bb.1437:
	s_mov_b32 s13, 0x7ff80000
	s_brev_b32 s12, 4
	s_xor_b64 s[16:17], exec, -1
; %bb.1438:
	s_or_b64 exec, exec, s[6:7]
	s_and_b64 s[6:7], s[16:17], exec
	s_or_saveexec_b64 s[14:15], s[14:15]
	v_pk_mov_b32 v[10:11], s[12:13], s[12:13] op_sel:[0,1]
	s_xor_b64 exec, exec, s[14:15]
	s_cbranch_execnz .LBB63_1457
.LBB63_1439:
	s_or_b64 exec, exec, s[14:15]
	s_and_saveexec_b64 s[12:13], s[6:7]
	s_cbranch_execz .LBB63_1441
.LBB63_1440:
	v_lshlrev_b32_e32 v5, 24, v3
	v_and_b32_e32 v3, 0xffff, v3
	v_and_b32_e32 v9, 7, v3
	v_ffbh_u32_e32 v11, v9
	v_min_u32_e32 v11, 32, v11
	v_subrev_u32_e32 v13, 28, v11
	v_bfe_u32 v10, v3, 3, 4
	v_lshlrev_b32_e32 v3, v13, v3
	v_sub_u32_e32 v11, 29, v11
	v_and_b32_e32 v3, 7, v3
	v_cmp_eq_u32_e32 vcc, 0, v10
	v_cndmask_b32_e32 v10, v10, v11, vcc
	v_cndmask_b32_e32 v3, v9, v3, vcc
	v_mov_b32_e32 v9, 0x3b800000
	v_lshlrev_b32_e32 v3, 20, v3
	v_and_b32_e32 v5, 0x80000000, v5
	v_lshl_add_u32 v9, v10, 23, v9
	v_or3_b32 v3, v5, v9, v3
	v_cvt_f64_f32_e32 v[10:11], v3
.LBB63_1441:
	s_or_b64 exec, exec, s[12:13]
.LBB63_1442:
	s_mov_b64 s[6:7], -1
.LBB63_1443:
	s_mov_b64 s[12:13], 0
.LBB63_1444:
	s_and_b64 vcc, exec, s[12:13]
	s_cbranch_vccz .LBB63_1477
; %bb.1445:
	v_mov_b32_e32 v3, 22
	v_cmp_gt_i16_sdwa s[4:5], s18, v3 src0_sel:BYTE_0 src1_sel:DWORD
	s_and_b64 vcc, exec, s[4:5]
	s_cbranch_vccz .LBB63_1455
; %bb.1446:
	v_mov_b32_e32 v3, 24
	v_cmp_lt_i16_sdwa s[4:5], s18, v3 src0_sel:BYTE_0 src1_sel:DWORD
	s_and_b64 vcc, exec, s[4:5]
	s_cbranch_vccnz .LBB63_1458
; %bb.1447:
	v_cmp_gt_i16_sdwa s[4:5], s18, v3 src0_sel:BYTE_0 src1_sel:DWORD
	s_and_b64 vcc, exec, s[4:5]
	s_cbranch_vccz .LBB63_1459
; %bb.1448:
	global_load_ubyte v3, v[16:17], off
	s_movk_i32 s4, 0x7f
                                        ; implicit-def: $sgpr6_sgpr7
	s_waitcnt vmcnt(0)
	v_cmp_lt_i16_e32 vcc, s4, v3
	s_mov_b64 s[4:5], 0
	s_and_saveexec_b64 s[12:13], vcc
	s_xor_b64 s[12:13], exec, s[12:13]
	s_cbranch_execz .LBB63_1471
; %bb.1449:
	s_movk_i32 s4, 0x80
	v_cmp_eq_u16_e32 vcc, s4, v3
	s_mov_b64 s[14:15], -1
                                        ; implicit-def: $sgpr6_sgpr7
	s_and_saveexec_b64 s[4:5], vcc
; %bb.1450:
	s_mov_b32 s7, 0x7ff80000
	s_brev_b32 s6, 4
	s_xor_b64 s[14:15], exec, -1
; %bb.1451:
	s_or_b64 exec, exec, s[4:5]
	s_and_b64 s[4:5], s[14:15], exec
	s_or_saveexec_b64 s[12:13], s[12:13]
	v_pk_mov_b32 v[10:11], s[6:7], s[6:7] op_sel:[0,1]
	s_xor_b64 exec, exec, s[12:13]
	s_cbranch_execnz .LBB63_1472
.LBB63_1452:
	s_or_b64 exec, exec, s[12:13]
	s_and_saveexec_b64 s[6:7], s[4:5]
	s_cbranch_execz .LBB63_1454
.LBB63_1453:
	v_lshlrev_b32_e32 v5, 24, v3
	v_and_b32_e32 v3, 0xffff, v3
	v_and_b32_e32 v9, 3, v3
	v_ffbh_u32_e32 v11, v9
	v_min_u32_e32 v11, 32, v11
	v_subrev_u32_e32 v13, 29, v11
	v_bfe_u32 v10, v3, 2, 5
	v_lshlrev_b32_e32 v3, v13, v3
	v_sub_u32_e32 v11, 30, v11
	v_and_b32_e32 v3, 3, v3
	v_cmp_eq_u32_e32 vcc, 0, v10
	v_cndmask_b32_e32 v10, v10, v11, vcc
	v_cndmask_b32_e32 v3, v9, v3, vcc
	v_mov_b32_e32 v9, 0x37800000
	v_lshlrev_b32_e32 v3, 21, v3
	v_and_b32_e32 v5, 0x80000000, v5
	v_lshl_add_u32 v9, v10, 23, v9
	v_or3_b32 v3, v5, v9, v3
	v_cvt_f64_f32_e32 v[10:11], v3
.LBB63_1454:
	s_or_b64 exec, exec, s[6:7]
	s_mov_b64 s[4:5], 0
	s_branch .LBB63_1460
.LBB63_1455:
	s_mov_b64 s[4:5], -1
                                        ; implicit-def: $vgpr10_vgpr11
	s_branch .LBB63_1466
.LBB63_1456:
	s_or_saveexec_b64 s[14:15], s[14:15]
	v_pk_mov_b32 v[10:11], s[12:13], s[12:13] op_sel:[0,1]
	s_xor_b64 exec, exec, s[14:15]
	s_cbranch_execz .LBB63_1439
.LBB63_1457:
	v_cmp_ne_u16_e32 vcc, 0, v3
	s_andn2_b64 s[6:7], s[6:7], exec
	s_and_b64 s[12:13], vcc, exec
	v_pk_mov_b32 v[10:11], 0, 0
	s_or_b64 s[6:7], s[6:7], s[12:13]
	s_or_b64 exec, exec, s[14:15]
	s_and_saveexec_b64 s[12:13], s[6:7]
	s_cbranch_execnz .LBB63_1440
	s_branch .LBB63_1441
.LBB63_1458:
	s_mov_b64 s[4:5], -1
                                        ; implicit-def: $vgpr10_vgpr11
	s_branch .LBB63_1463
.LBB63_1459:
	s_mov_b64 s[4:5], -1
                                        ; implicit-def: $vgpr10_vgpr11
.LBB63_1460:
	s_and_b64 vcc, exec, s[4:5]
	s_cbranch_vccz .LBB63_1462
; %bb.1461:
	global_load_ubyte v3, v[16:17], off
	s_mov_b32 s4, 0x7f800000
	s_waitcnt vmcnt(0)
	v_lshlrev_b32_e32 v3, 24, v3
	v_and_b32_e32 v5, 0x7f000000, v3
	v_ffbh_u32_e32 v9, v5
	v_min_u32_e32 v9, 32, v9
	v_sub_u32_e64 v9, v9, 4 clamp
	v_lshlrev_b32_e32 v11, v9, v5
	v_lshlrev_b32_e32 v9, 23, v9
	v_lshrrev_b32_e32 v11, 4, v11
	v_add_u32_e32 v10, 0x1000000, v5
	v_sub_u32_e32 v9, v11, v9
	v_ashrrev_i32_e32 v10, 8, v10
	v_add_u32_e32 v9, 0x3c000000, v9
	v_and_or_b32 v9, v10, s4, v9
	v_cmp_ne_u32_e32 vcc, 0, v5
	v_cndmask_b32_e32 v5, 0, v9, vcc
	s_brev_b32 s4, 1
	v_and_or_b32 v3, v3, s4, v5
	v_cvt_f64_f32_e32 v[10:11], v3
.LBB63_1462:
	s_mov_b64 s[4:5], 0
.LBB63_1463:
	s_andn2_b64 vcc, exec, s[4:5]
	s_cbranch_vccnz .LBB63_1465
; %bb.1464:
	global_load_ubyte v3, v[16:17], off
	s_movk_i32 s4, 0x7f00
	s_brev_b32 s5, 16
	s_waitcnt vmcnt(0)
	v_lshlrev_b16_e32 v5, 8, v3
	v_lshlrev_b32_e32 v3, 25, v3
	v_lshrrev_b32_e32 v9, 4, v3
	v_and_or_b32 v10, v5, s4, 0.5
	v_or_b32_e32 v9, 0x70000000, v9
	v_add_f32_e32 v10, -0.5, v10
	v_mul_f32_e32 v9, 0x7800000, v9
	v_cmp_gt_u32_e32 vcc, s5, v3
	v_bfe_i32 v5, v5, 0, 16
	v_cndmask_b32_e32 v3, v9, v10, vcc
	s_brev_b32 s4, 1
	v_and_or_b32 v3, v5, s4, v3
	v_cvt_f64_f32_e32 v[10:11], v3
.LBB63_1465:
	s_mov_b64 s[4:5], 0
	s_mov_b64 s[6:7], -1
.LBB63_1466:
	s_andn2_b64 vcc, exec, s[4:5]
	s_mov_b64 s[4:5], 0
	s_cbranch_vccnz .LBB63_1477
; %bb.1467:
	v_mov_b32_e32 v3, 14
	v_cmp_gt_i16_sdwa s[4:5], s18, v3 src0_sel:BYTE_0 src1_sel:DWORD
	s_and_b64 vcc, exec, s[4:5]
	s_cbranch_vccz .LBB63_1470
; %bb.1468:
	v_mov_b32_e32 v3, 15
	v_cmp_eq_u16_sdwa s[0:1], s18, v3 src0_sel:BYTE_0 src1_sel:DWORD
	s_and_b64 vcc, exec, s[0:1]
	s_cbranch_vccz .LBB63_1473
; %bb.1469:
	global_load_ushort v3, v[16:17], off
	s_mov_b64 s[0:1], 0
	s_mov_b64 s[6:7], -1
	s_waitcnt vmcnt(0)
	v_lshlrev_b32_e32 v3, 16, v3
	v_cvt_f64_f32_e32 v[10:11], v3
	s_branch .LBB63_1474
.LBB63_1470:
	s_mov_b64 s[12:13], -1
                                        ; implicit-def: $vgpr10_vgpr11
	s_branch .LBB63_1475
.LBB63_1471:
	s_or_saveexec_b64 s[12:13], s[12:13]
	v_pk_mov_b32 v[10:11], s[6:7], s[6:7] op_sel:[0,1]
	s_xor_b64 exec, exec, s[12:13]
	s_cbranch_execz .LBB63_1452
.LBB63_1472:
	v_cmp_ne_u16_e32 vcc, 0, v3
	s_andn2_b64 s[4:5], s[4:5], exec
	s_and_b64 s[6:7], vcc, exec
	v_pk_mov_b32 v[10:11], 0, 0
	s_or_b64 s[4:5], s[4:5], s[6:7]
	s_or_b64 exec, exec, s[12:13]
	s_and_saveexec_b64 s[6:7], s[4:5]
	s_cbranch_execnz .LBB63_1453
	s_branch .LBB63_1454
.LBB63_1473:
	s_mov_b64 s[0:1], -1
                                        ; implicit-def: $vgpr10_vgpr11
.LBB63_1474:
	s_mov_b64 s[12:13], 0
.LBB63_1475:
	s_mov_b64 s[4:5], 0
	s_and_b64 vcc, exec, s[12:13]
	s_cbranch_vccz .LBB63_1477
; %bb.1476:
	v_mov_b32_e32 v3, 11
	v_cmp_ne_u16_sdwa s[0:1], s18, v3 src0_sel:BYTE_0 src1_sel:DWORD
	s_mov_b64 s[4:5], -1
                                        ; implicit-def: $vgpr10_vgpr11
.LBB63_1477:
	s_and_b64 vcc, exec, s[0:1]
	s_cbranch_vccnz .LBB63_1540
; %bb.1478:
	s_andn2_b64 vcc, exec, s[4:5]
	s_cbranch_vccnz .LBB63_1480
.LBB63_1479:
	global_load_ubyte v3, v[16:17], off
	v_mov_b32_e32 v5, 0x3ff00000
	v_mov_b32_e32 v10, 0
	s_mov_b64 s[6:7], -1
	s_waitcnt vmcnt(0)
	v_cmp_ne_u16_e32 vcc, 0, v3
	v_cndmask_b32_e32 v11, 0, v5, vcc
.LBB63_1480:
	s_branch .LBB63_1408
.LBB63_1481:
	v_mov_b32_e32 v3, 5
	v_cmp_lt_i16_sdwa s[0:1], s18, v3 src0_sel:BYTE_0 src1_sel:DWORD
	s_and_b64 vcc, exec, s[0:1]
	s_cbranch_vccnz .LBB63_1486
; %bb.1482:
	v_mov_b32_e32 v3, 8
	v_cmp_lt_i16_sdwa s[0:1], s18, v3 src0_sel:BYTE_0 src1_sel:DWORD
	s_and_b64 vcc, exec, s[0:1]
	s_cbranch_vccnz .LBB63_1487
; %bb.1483:
	;; [unrolled: 5-line block ×3, first 2 shown]
	v_cmp_gt_i16_sdwa s[0:1], s18, v3 src0_sel:BYTE_0 src1_sel:DWORD
	s_and_b64 vcc, exec, s[0:1]
	s_cbranch_vccz .LBB63_1489
; %bb.1485:
	global_load_dwordx2 v[10:11], v[16:17], off
	s_mov_b64 s[0:1], 0
	s_branch .LBB63_1490
.LBB63_1486:
	s_mov_b64 s[0:1], -1
                                        ; implicit-def: $vgpr10_vgpr11
	s_branch .LBB63_1508
.LBB63_1487:
	s_mov_b64 s[0:1], -1
                                        ; implicit-def: $vgpr10_vgpr11
	s_branch .LBB63_1496
.LBB63_1488:
	s_mov_b64 s[0:1], -1
                                        ; implicit-def: $vgpr10_vgpr11
	s_branch .LBB63_1493
.LBB63_1489:
	s_mov_b64 s[0:1], -1
                                        ; implicit-def: $vgpr10_vgpr11
.LBB63_1490:
	s_andn2_b64 vcc, exec, s[0:1]
	s_cbranch_vccnz .LBB63_1492
; %bb.1491:
	global_load_dword v3, v[16:17], off
	s_waitcnt vmcnt(0)
	v_cvt_f64_f32_e32 v[10:11], v3
.LBB63_1492:
	s_mov_b64 s[0:1], 0
.LBB63_1493:
	s_andn2_b64 vcc, exec, s[0:1]
	s_cbranch_vccnz .LBB63_1495
; %bb.1494:
	global_load_dword v3, v[16:17], off
	s_waitcnt vmcnt(0)
	v_cvt_f32_f16_e32 v3, v3
	v_cvt_f64_f32_e32 v[10:11], v3
.LBB63_1495:
	s_mov_b64 s[0:1], 0
.LBB63_1496:
	s_andn2_b64 vcc, exec, s[0:1]
	s_cbranch_vccnz .LBB63_1507
; %bb.1497:
	v_mov_b32_e32 v3, 6
	v_cmp_lt_i16_sdwa s[0:1], s18, v3 src0_sel:BYTE_0 src1_sel:DWORD
	s_and_b64 vcc, exec, s[0:1]
	s_cbranch_vccnz .LBB63_1500
; %bb.1498:
	v_cmp_gt_i16_sdwa s[0:1], s18, v3 src0_sel:BYTE_0 src1_sel:DWORD
	s_and_b64 vcc, exec, s[0:1]
	s_cbranch_vccz .LBB63_1501
; %bb.1499:
	global_load_dwordx2 v[10:11], v[16:17], off
	s_mov_b64 s[0:1], 0
	s_branch .LBB63_1502
.LBB63_1500:
	s_mov_b64 s[0:1], -1
                                        ; implicit-def: $vgpr10_vgpr11
	s_branch .LBB63_1505
.LBB63_1501:
	s_mov_b64 s[0:1], -1
                                        ; implicit-def: $vgpr10_vgpr11
.LBB63_1502:
	s_andn2_b64 vcc, exec, s[0:1]
	s_cbranch_vccnz .LBB63_1504
; %bb.1503:
	global_load_dword v3, v[16:17], off
	s_waitcnt vmcnt(0)
	v_cvt_f64_f32_e32 v[10:11], v3
.LBB63_1504:
	s_mov_b64 s[0:1], 0
.LBB63_1505:
	s_andn2_b64 vcc, exec, s[0:1]
	s_cbranch_vccnz .LBB63_1507
; %bb.1506:
	global_load_ushort v3, v[16:17], off
	s_waitcnt vmcnt(0)
	v_cvt_f32_f16_e32 v3, v3
	v_cvt_f64_f32_e32 v[10:11], v3
.LBB63_1507:
	s_mov_b64 s[0:1], 0
.LBB63_1508:
	s_andn2_b64 vcc, exec, s[0:1]
	s_cbranch_vccnz .LBB63_1528
; %bb.1509:
	v_mov_b32_e32 v3, 2
	v_cmp_lt_i16_sdwa s[0:1], s18, v3 src0_sel:BYTE_0 src1_sel:DWORD
	s_and_b64 vcc, exec, s[0:1]
	s_cbranch_vccnz .LBB63_1513
; %bb.1510:
	v_mov_b32_e32 v3, 3
	v_cmp_lt_i16_sdwa s[0:1], s18, v3 src0_sel:BYTE_0 src1_sel:DWORD
	s_and_b64 vcc, exec, s[0:1]
	s_cbranch_vccnz .LBB63_1514
; %bb.1511:
	v_cmp_gt_i16_sdwa s[0:1], s18, v3 src0_sel:BYTE_0 src1_sel:DWORD
	s_and_b64 vcc, exec, s[0:1]
	s_cbranch_vccz .LBB63_1515
; %bb.1512:
	global_load_dwordx2 v[10:11], v[16:17], off
	s_mov_b64 s[0:1], 0
	s_waitcnt vmcnt(0)
	v_cvt_f64_i32_e32 v[18:19], v11
	v_cvt_f64_u32_e32 v[10:11], v10
	v_ldexp_f64 v[18:19], v[18:19], 32
	v_add_f64 v[10:11], v[18:19], v[10:11]
	s_branch .LBB63_1516
.LBB63_1513:
	s_mov_b64 s[0:1], -1
                                        ; implicit-def: $vgpr10_vgpr11
	s_branch .LBB63_1522
.LBB63_1514:
	s_mov_b64 s[0:1], -1
                                        ; implicit-def: $vgpr10_vgpr11
	s_branch .LBB63_1519
.LBB63_1515:
	s_mov_b64 s[0:1], -1
                                        ; implicit-def: $vgpr10_vgpr11
.LBB63_1516:
	s_andn2_b64 vcc, exec, s[0:1]
	s_cbranch_vccnz .LBB63_1518
; %bb.1517:
	global_load_dword v3, v[16:17], off
	s_waitcnt vmcnt(0)
	v_cvt_f64_i32_e32 v[10:11], v3
.LBB63_1518:
	s_mov_b64 s[0:1], 0
.LBB63_1519:
	s_andn2_b64 vcc, exec, s[0:1]
	s_cbranch_vccnz .LBB63_1521
; %bb.1520:
	global_load_sshort v3, v[16:17], off
	s_waitcnt vmcnt(0)
	v_cvt_f64_i32_e32 v[10:11], v3
.LBB63_1521:
	s_mov_b64 s[0:1], 0
.LBB63_1522:
	s_andn2_b64 vcc, exec, s[0:1]
	s_cbranch_vccnz .LBB63_1528
; %bb.1523:
	v_mov_b32_e32 v3, 0
	v_cmp_gt_i16_sdwa s[0:1], s18, v3 src0_sel:BYTE_0 src1_sel:DWORD
	s_and_b64 vcc, exec, s[0:1]
	s_cbranch_vccz .LBB63_1525
; %bb.1524:
	global_load_sbyte v3, v[16:17], off
	s_mov_b64 s[0:1], 0
	s_waitcnt vmcnt(0)
	v_cvt_f64_i32_e32 v[10:11], v3
	s_branch .LBB63_1526
.LBB63_1525:
	s_mov_b64 s[0:1], -1
                                        ; implicit-def: $vgpr10_vgpr11
.LBB63_1526:
	s_andn2_b64 vcc, exec, s[0:1]
	s_cbranch_vccnz .LBB63_1528
; %bb.1527:
	global_load_ubyte v3, v[16:17], off
	s_waitcnt vmcnt(0)
	v_cvt_f64_u32_e32 v[10:11], v3
.LBB63_1528:
.LBB63_1529:
	v_mov_b32_e32 v3, s11
	v_add_co_u32_e32 v16, vcc, s10, v4
	v_addc_co_u32_e32 v17, vcc, 0, v3, vcc
	v_mov_b32_e32 v3, 11
	v_cmp_lt_i16_sdwa s[0:1], s18, v3 src0_sel:BYTE_0 src1_sel:DWORD
	s_and_b64 vcc, exec, s[0:1]
	s_cbranch_vccnz .LBB63_1536
; %bb.1530:
	v_mov_b32_e32 v3, 25
	v_cmp_gt_i16_sdwa s[0:1], s18, v3 src0_sel:BYTE_0 src1_sel:DWORD
	s_mov_b64 s[4:5], 0
	s_and_b64 vcc, exec, s[0:1]
	s_cbranch_vccz .LBB63_1537
; %bb.1531:
	v_mov_b32_e32 v3, 28
	v_cmp_gt_i16_sdwa s[0:1], s18, v3 src0_sel:BYTE_0 src1_sel:DWORD
	s_and_b64 vcc, exec, s[0:1]
	s_cbranch_vccz .LBB63_1538
; %bb.1532:
	v_mov_b32_e32 v3, 43
	v_cmp_gt_i16_sdwa s[0:1], s18, v3 src0_sel:BYTE_0 src1_sel:DWORD
	;; [unrolled: 5-line block ×3, first 2 shown]
	s_and_b64 vcc, exec, s[0:1]
	s_cbranch_vccz .LBB63_1541
; %bb.1534:
	v_mov_b32_e32 v3, 46
	v_cmp_eq_u16_sdwa s[0:1], s18, v3 src0_sel:BYTE_0 src1_sel:DWORD
	s_mov_b64 s[10:11], 0
	s_and_b64 vcc, exec, s[0:1]
	s_cbranch_vccz .LBB63_1542
; %bb.1535:
	global_load_dword v3, v[16:17], off
	s_mov_b64 s[0:1], 0
	s_mov_b64 s[6:7], -1
	s_waitcnt vmcnt(0)
	v_lshlrev_b32_e32 v3, 16, v3
	v_cvt_f64_f32_e32 v[4:5], v3
	s_branch .LBB63_1543
.LBB63_1536:
	s_mov_b64 s[0:1], -1
	s_mov_b64 s[6:7], 0
                                        ; implicit-def: $vgpr4_vgpr5
	s_branch .LBB63_1609
.LBB63_1537:
	s_mov_b64 s[10:11], -1
	s_mov_b64 s[6:7], 0
	s_mov_b64 s[0:1], 0
                                        ; implicit-def: $vgpr4_vgpr5
	s_branch .LBB63_1572
.LBB63_1538:
	s_mov_b64 s[10:11], -1
	s_mov_b64 s[6:7], 0
	s_mov_b64 s[0:1], 0
                                        ; implicit-def: $vgpr4_vgpr5
	s_branch .LBB63_1553
.LBB63_1539:
	s_mov_b64 s[10:11], -1
	s_mov_b64 s[6:7], 0
	s_mov_b64 s[0:1], 0
                                        ; implicit-def: $vgpr4_vgpr5
	s_branch .LBB63_1548
.LBB63_1540:
	s_trap 2
	s_or_b64 s[2:3], s[2:3], exec
                                        ; implicit-def: $vgpr10_vgpr11
	s_cbranch_execz .LBB63_1479
	s_branch .LBB63_1480
.LBB63_1541:
	s_mov_b64 s[10:11], -1
	s_mov_b64 s[6:7], 0
	s_mov_b64 s[0:1], 0
                                        ; implicit-def: $vgpr4_vgpr5
	s_branch .LBB63_1543
.LBB63_1542:
	s_mov_b64 s[0:1], -1
                                        ; implicit-def: $vgpr4_vgpr5
	s_mov_b64 s[6:7], 0
.LBB63_1543:
	s_and_b64 vcc, exec, s[10:11]
	s_cbranch_vccz .LBB63_1547
; %bb.1544:
	v_mov_b32_e32 v3, 44
	v_cmp_eq_u16_sdwa s[0:1], s18, v3 src0_sel:BYTE_0 src1_sel:DWORD
	s_and_b64 vcc, exec, s[0:1]
	s_cbranch_vccz .LBB63_1546
; %bb.1545:
	global_load_ubyte v3, v[16:17], off
	s_movk_i32 s6, 0xff
	v_bfrev_b32_e32 v9, 4
	v_mov_b32_e32 v13, 0x7ff80000
	v_bfrev_b32_e32 v15, 28
	s_mov_b64 s[0:1], 0
	s_waitcnt vmcnt(0)
	v_lshlrev_b32_e32 v4, 23, v3
	v_cvt_f64_f32_e32 v[4:5], v4
	v_cmp_ne_u32_e32 vcc, s6, v3
	v_cndmask_b32_e32 v4, v9, v4, vcc
	v_cndmask_b32_e32 v5, v13, v5, vcc
	v_cmp_ne_u32_e32 vcc, 0, v3
	v_cndmask_b32_e32 v5, v15, v5, vcc
	v_cndmask_b32_e32 v4, 0, v4, vcc
	s_mov_b64 s[6:7], -1
	s_branch .LBB63_1547
.LBB63_1546:
	s_mov_b64 s[0:1], -1
                                        ; implicit-def: $vgpr4_vgpr5
.LBB63_1547:
	s_mov_b64 s[10:11], 0
.LBB63_1548:
	s_and_b64 vcc, exec, s[10:11]
	s_cbranch_vccz .LBB63_1552
; %bb.1549:
	v_mov_b32_e32 v3, 29
	v_cmp_eq_u16_sdwa s[0:1], s18, v3 src0_sel:BYTE_0 src1_sel:DWORD
	s_and_b64 vcc, exec, s[0:1]
	s_cbranch_vccz .LBB63_1551
; %bb.1550:
	global_load_dwordx2 v[4:5], v[16:17], off
	s_mov_b64 s[0:1], 0
	s_mov_b64 s[6:7], -1
	s_mov_b64 s[10:11], 0
	s_waitcnt vmcnt(0)
	v_cvt_f64_u32_e32 v[18:19], v5
	v_cvt_f64_u32_e32 v[4:5], v4
	v_ldexp_f64 v[18:19], v[18:19], 32
	v_add_f64 v[4:5], v[18:19], v[4:5]
	s_branch .LBB63_1553
.LBB63_1551:
	s_mov_b64 s[0:1], -1
                                        ; implicit-def: $vgpr4_vgpr5
.LBB63_1552:
	s_mov_b64 s[10:11], 0
.LBB63_1553:
	s_and_b64 vcc, exec, s[10:11]
	s_cbranch_vccz .LBB63_1571
; %bb.1554:
	v_mov_b32_e32 v3, 27
	v_cmp_lt_i16_sdwa s[6:7], s18, v3 src0_sel:BYTE_0 src1_sel:DWORD
	s_and_b64 vcc, exec, s[6:7]
	s_cbranch_vccnz .LBB63_1557
; %bb.1555:
	v_cmp_gt_i16_sdwa s[6:7], s18, v3 src0_sel:BYTE_0 src1_sel:DWORD
	s_and_b64 vcc, exec, s[6:7]
	s_cbranch_vccz .LBB63_1558
; %bb.1556:
	global_load_dword v3, v[16:17], off
	s_mov_b64 s[6:7], 0
	s_waitcnt vmcnt(0)
	v_cvt_f64_u32_e32 v[4:5], v3
	s_branch .LBB63_1559
.LBB63_1557:
	s_mov_b64 s[6:7], -1
                                        ; implicit-def: $vgpr4_vgpr5
	s_branch .LBB63_1562
.LBB63_1558:
	s_mov_b64 s[6:7], -1
                                        ; implicit-def: $vgpr4_vgpr5
.LBB63_1559:
	s_andn2_b64 vcc, exec, s[6:7]
	s_cbranch_vccnz .LBB63_1561
; %bb.1560:
	global_load_ushort v3, v[16:17], off
	s_waitcnt vmcnt(0)
	v_cvt_f64_u32_e32 v[4:5], v3
.LBB63_1561:
	s_mov_b64 s[6:7], 0
.LBB63_1562:
	s_andn2_b64 vcc, exec, s[6:7]
	s_cbranch_vccnz .LBB63_1570
; %bb.1563:
	global_load_ubyte v3, v[16:17], off
	s_movk_i32 s6, 0x7f
                                        ; implicit-def: $sgpr10_sgpr11
	s_waitcnt vmcnt(0)
	v_cmp_lt_i16_e32 vcc, s6, v3
	s_mov_b64 s[6:7], 0
	s_and_saveexec_b64 s[12:13], vcc
	s_xor_b64 s[12:13], exec, s[12:13]
	s_cbranch_execz .LBB63_1584
; %bb.1564:
	s_movk_i32 s6, 0x80
	v_cmp_eq_u16_e32 vcc, s6, v3
	s_mov_b64 s[14:15], -1
                                        ; implicit-def: $sgpr10_sgpr11
	s_and_saveexec_b64 s[6:7], vcc
; %bb.1565:
	s_mov_b32 s11, 0x7ff80000
	s_brev_b32 s10, 4
	s_xor_b64 s[14:15], exec, -1
; %bb.1566:
	s_or_b64 exec, exec, s[6:7]
	s_and_b64 s[6:7], s[14:15], exec
	s_or_saveexec_b64 s[12:13], s[12:13]
	v_pk_mov_b32 v[4:5], s[10:11], s[10:11] op_sel:[0,1]
	s_xor_b64 exec, exec, s[12:13]
	s_cbranch_execnz .LBB63_1585
.LBB63_1567:
	s_or_b64 exec, exec, s[12:13]
	s_and_saveexec_b64 s[10:11], s[6:7]
	s_cbranch_execz .LBB63_1569
.LBB63_1568:
	v_lshlrev_b32_e32 v4, 24, v3
	v_and_b32_e32 v3, 0xffff, v3
	v_and_b32_e32 v5, 7, v3
	v_ffbh_u32_e32 v13, v5
	v_min_u32_e32 v13, 32, v13
	v_subrev_u32_e32 v15, 28, v13
	v_bfe_u32 v9, v3, 3, 4
	v_lshlrev_b32_e32 v3, v15, v3
	v_sub_u32_e32 v13, 29, v13
	v_and_b32_e32 v3, 7, v3
	v_cmp_eq_u32_e32 vcc, 0, v9
	v_cndmask_b32_e32 v9, v9, v13, vcc
	v_cndmask_b32_e32 v3, v5, v3, vcc
	v_mov_b32_e32 v5, 0x3b800000
	v_lshlrev_b32_e32 v3, 20, v3
	v_and_b32_e32 v4, 0x80000000, v4
	v_lshl_add_u32 v5, v9, 23, v5
	v_or3_b32 v3, v4, v5, v3
	v_cvt_f64_f32_e32 v[4:5], v3
.LBB63_1569:
	s_or_b64 exec, exec, s[10:11]
.LBB63_1570:
	s_mov_b64 s[6:7], -1
.LBB63_1571:
	s_mov_b64 s[10:11], 0
.LBB63_1572:
	s_and_b64 vcc, exec, s[10:11]
	s_cbranch_vccz .LBB63_1605
; %bb.1573:
	v_mov_b32_e32 v3, 22
	v_cmp_gt_i16_sdwa s[4:5], s18, v3 src0_sel:BYTE_0 src1_sel:DWORD
	s_and_b64 vcc, exec, s[4:5]
	s_cbranch_vccz .LBB63_1583
; %bb.1574:
	v_mov_b32_e32 v3, 24
	v_cmp_lt_i16_sdwa s[4:5], s18, v3 src0_sel:BYTE_0 src1_sel:DWORD
	s_and_b64 vcc, exec, s[4:5]
	s_cbranch_vccnz .LBB63_1586
; %bb.1575:
	v_cmp_gt_i16_sdwa s[4:5], s18, v3 src0_sel:BYTE_0 src1_sel:DWORD
	s_and_b64 vcc, exec, s[4:5]
	s_cbranch_vccz .LBB63_1587
; %bb.1576:
	global_load_ubyte v3, v[16:17], off
	s_movk_i32 s4, 0x7f
                                        ; implicit-def: $sgpr6_sgpr7
	s_waitcnt vmcnt(0)
	v_cmp_lt_i16_e32 vcc, s4, v3
	s_mov_b64 s[4:5], 0
	s_and_saveexec_b64 s[10:11], vcc
	s_xor_b64 s[10:11], exec, s[10:11]
	s_cbranch_execz .LBB63_1599
; %bb.1577:
	s_movk_i32 s4, 0x80
	v_cmp_eq_u16_e32 vcc, s4, v3
	s_mov_b64 s[12:13], -1
                                        ; implicit-def: $sgpr6_sgpr7
	s_and_saveexec_b64 s[4:5], vcc
; %bb.1578:
	s_mov_b32 s7, 0x7ff80000
	s_brev_b32 s6, 4
	s_xor_b64 s[12:13], exec, -1
; %bb.1579:
	s_or_b64 exec, exec, s[4:5]
	s_and_b64 s[4:5], s[12:13], exec
	s_or_saveexec_b64 s[10:11], s[10:11]
	v_pk_mov_b32 v[4:5], s[6:7], s[6:7] op_sel:[0,1]
	s_xor_b64 exec, exec, s[10:11]
	s_cbranch_execnz .LBB63_1600
.LBB63_1580:
	s_or_b64 exec, exec, s[10:11]
	s_and_saveexec_b64 s[6:7], s[4:5]
	s_cbranch_execz .LBB63_1582
.LBB63_1581:
	v_lshlrev_b32_e32 v4, 24, v3
	v_and_b32_e32 v3, 0xffff, v3
	v_and_b32_e32 v5, 3, v3
	v_ffbh_u32_e32 v13, v5
	v_min_u32_e32 v13, 32, v13
	v_subrev_u32_e32 v15, 29, v13
	v_bfe_u32 v9, v3, 2, 5
	v_lshlrev_b32_e32 v3, v15, v3
	v_sub_u32_e32 v13, 30, v13
	v_and_b32_e32 v3, 3, v3
	v_cmp_eq_u32_e32 vcc, 0, v9
	v_cndmask_b32_e32 v9, v9, v13, vcc
	v_cndmask_b32_e32 v3, v5, v3, vcc
	v_mov_b32_e32 v5, 0x37800000
	v_lshlrev_b32_e32 v3, 21, v3
	v_and_b32_e32 v4, 0x80000000, v4
	v_lshl_add_u32 v5, v9, 23, v5
	v_or3_b32 v3, v4, v5, v3
	v_cvt_f64_f32_e32 v[4:5], v3
.LBB63_1582:
	s_or_b64 exec, exec, s[6:7]
	s_mov_b64 s[4:5], 0
	s_branch .LBB63_1588
.LBB63_1583:
	s_mov_b64 s[4:5], -1
                                        ; implicit-def: $vgpr4_vgpr5
	s_branch .LBB63_1594
.LBB63_1584:
	s_or_saveexec_b64 s[12:13], s[12:13]
	v_pk_mov_b32 v[4:5], s[10:11], s[10:11] op_sel:[0,1]
	s_xor_b64 exec, exec, s[12:13]
	s_cbranch_execz .LBB63_1567
.LBB63_1585:
	v_cmp_ne_u16_e32 vcc, 0, v3
	s_andn2_b64 s[6:7], s[6:7], exec
	s_and_b64 s[10:11], vcc, exec
	v_pk_mov_b32 v[4:5], 0, 0
	s_or_b64 s[6:7], s[6:7], s[10:11]
	s_or_b64 exec, exec, s[12:13]
	s_and_saveexec_b64 s[10:11], s[6:7]
	s_cbranch_execnz .LBB63_1568
	s_branch .LBB63_1569
.LBB63_1586:
	s_mov_b64 s[4:5], -1
                                        ; implicit-def: $vgpr4_vgpr5
	s_branch .LBB63_1591
.LBB63_1587:
	s_mov_b64 s[4:5], -1
                                        ; implicit-def: $vgpr4_vgpr5
.LBB63_1588:
	s_and_b64 vcc, exec, s[4:5]
	s_cbranch_vccz .LBB63_1590
; %bb.1589:
	global_load_ubyte v3, v[16:17], off
	s_mov_b32 s4, 0x7f800000
	s_waitcnt vmcnt(0)
	v_lshlrev_b32_e32 v3, 24, v3
	v_and_b32_e32 v4, 0x7f000000, v3
	v_ffbh_u32_e32 v5, v4
	v_min_u32_e32 v5, 32, v5
	v_sub_u32_e64 v5, v5, 4 clamp
	v_lshlrev_b32_e32 v13, v5, v4
	v_lshlrev_b32_e32 v5, 23, v5
	v_lshrrev_b32_e32 v13, 4, v13
	v_add_u32_e32 v9, 0x1000000, v4
	v_sub_u32_e32 v5, v13, v5
	v_ashrrev_i32_e32 v9, 8, v9
	v_add_u32_e32 v5, 0x3c000000, v5
	v_and_or_b32 v5, v9, s4, v5
	v_cmp_ne_u32_e32 vcc, 0, v4
	v_cndmask_b32_e32 v4, 0, v5, vcc
	s_brev_b32 s4, 1
	v_and_or_b32 v3, v3, s4, v4
	v_cvt_f64_f32_e32 v[4:5], v3
.LBB63_1590:
	s_mov_b64 s[4:5], 0
.LBB63_1591:
	s_andn2_b64 vcc, exec, s[4:5]
	s_cbranch_vccnz .LBB63_1593
; %bb.1592:
	global_load_ubyte v3, v[16:17], off
	s_movk_i32 s4, 0x7f00
	s_brev_b32 s5, 16
	s_waitcnt vmcnt(0)
	v_lshlrev_b16_e32 v4, 8, v3
	v_lshlrev_b32_e32 v3, 25, v3
	v_lshrrev_b32_e32 v5, 4, v3
	v_and_or_b32 v9, v4, s4, 0.5
	v_or_b32_e32 v5, 0x70000000, v5
	v_add_f32_e32 v9, -0.5, v9
	v_mul_f32_e32 v5, 0x7800000, v5
	v_cmp_gt_u32_e32 vcc, s5, v3
	v_bfe_i32 v4, v4, 0, 16
	v_cndmask_b32_e32 v3, v5, v9, vcc
	s_brev_b32 s4, 1
	v_and_or_b32 v3, v4, s4, v3
	v_cvt_f64_f32_e32 v[4:5], v3
.LBB63_1593:
	s_mov_b64 s[4:5], 0
	s_mov_b64 s[6:7], -1
.LBB63_1594:
	s_andn2_b64 vcc, exec, s[4:5]
	s_mov_b64 s[4:5], 0
	s_cbranch_vccnz .LBB63_1605
; %bb.1595:
	v_mov_b32_e32 v3, 14
	v_cmp_gt_i16_sdwa s[4:5], s18, v3 src0_sel:BYTE_0 src1_sel:DWORD
	s_and_b64 vcc, exec, s[4:5]
	s_cbranch_vccz .LBB63_1598
; %bb.1596:
	v_mov_b32_e32 v3, 15
	v_cmp_eq_u16_sdwa s[0:1], s18, v3 src0_sel:BYTE_0 src1_sel:DWORD
	s_and_b64 vcc, exec, s[0:1]
	s_cbranch_vccz .LBB63_1601
; %bb.1597:
	global_load_ushort v3, v[16:17], off
	s_mov_b64 s[0:1], 0
	s_mov_b64 s[6:7], -1
	s_waitcnt vmcnt(0)
	v_lshlrev_b32_e32 v3, 16, v3
	v_cvt_f64_f32_e32 v[4:5], v3
	s_branch .LBB63_1602
.LBB63_1598:
	s_mov_b64 s[10:11], -1
                                        ; implicit-def: $vgpr4_vgpr5
	s_branch .LBB63_1603
.LBB63_1599:
	s_or_saveexec_b64 s[10:11], s[10:11]
	v_pk_mov_b32 v[4:5], s[6:7], s[6:7] op_sel:[0,1]
	s_xor_b64 exec, exec, s[10:11]
	s_cbranch_execz .LBB63_1580
.LBB63_1600:
	v_cmp_ne_u16_e32 vcc, 0, v3
	s_andn2_b64 s[4:5], s[4:5], exec
	s_and_b64 s[6:7], vcc, exec
	v_pk_mov_b32 v[4:5], 0, 0
	s_or_b64 s[4:5], s[4:5], s[6:7]
	s_or_b64 exec, exec, s[10:11]
	s_and_saveexec_b64 s[6:7], s[4:5]
	s_cbranch_execnz .LBB63_1581
	s_branch .LBB63_1582
.LBB63_1601:
	s_mov_b64 s[0:1], -1
                                        ; implicit-def: $vgpr4_vgpr5
.LBB63_1602:
	s_mov_b64 s[10:11], 0
.LBB63_1603:
	s_mov_b64 s[4:5], 0
	s_and_b64 vcc, exec, s[10:11]
	s_cbranch_vccz .LBB63_1605
; %bb.1604:
	v_mov_b32_e32 v3, 11
	v_cmp_ne_u16_sdwa s[0:1], s18, v3 src0_sel:BYTE_0 src1_sel:DWORD
	s_mov_b64 s[4:5], -1
                                        ; implicit-def: $vgpr4_vgpr5
.LBB63_1605:
	s_and_b64 vcc, exec, s[0:1]
	s_cbranch_vccnz .LBB63_1669
; %bb.1606:
	s_andn2_b64 vcc, exec, s[4:5]
	s_cbranch_vccnz .LBB63_1608
.LBB63_1607:
	global_load_ubyte v3, v[16:17], off
	v_mov_b32_e32 v5, 0x3ff00000
	v_mov_b32_e32 v4, 0
	s_mov_b64 s[6:7], -1
	s_waitcnt vmcnt(0)
	v_cmp_ne_u16_e32 vcc, 0, v3
	v_cndmask_b32_e32 v5, 0, v5, vcc
.LBB63_1608:
	s_mov_b64 s[0:1], 0
.LBB63_1609:
	s_and_b64 vcc, exec, s[0:1]
	s_cbranch_vccz .LBB63_1658
; %bb.1610:
	v_mov_b32_e32 v3, 5
	v_cmp_lt_i16_sdwa s[0:1], s18, v3 src0_sel:BYTE_0 src1_sel:DWORD
	s_and_b64 vcc, exec, s[0:1]
	s_cbranch_vccnz .LBB63_1615
; %bb.1611:
	v_mov_b32_e32 v3, 8
	v_cmp_lt_i16_sdwa s[0:1], s18, v3 src0_sel:BYTE_0 src1_sel:DWORD
	s_and_b64 vcc, exec, s[0:1]
	s_cbranch_vccnz .LBB63_1616
	;; [unrolled: 5-line block ×3, first 2 shown]
; %bb.1613:
	v_cmp_gt_i16_sdwa s[0:1], s18, v3 src0_sel:BYTE_0 src1_sel:DWORD
	s_and_b64 vcc, exec, s[0:1]
	s_cbranch_vccz .LBB63_1618
; %bb.1614:
	global_load_dwordx2 v[4:5], v[16:17], off
	s_mov_b64 s[0:1], 0
	s_branch .LBB63_1619
.LBB63_1615:
	s_mov_b64 s[0:1], -1
                                        ; implicit-def: $vgpr4_vgpr5
	s_branch .LBB63_1637
.LBB63_1616:
	s_mov_b64 s[0:1], -1
                                        ; implicit-def: $vgpr4_vgpr5
	s_branch .LBB63_1625
.LBB63_1617:
	s_mov_b64 s[0:1], -1
                                        ; implicit-def: $vgpr4_vgpr5
	s_branch .LBB63_1622
.LBB63_1618:
	s_mov_b64 s[0:1], -1
                                        ; implicit-def: $vgpr4_vgpr5
.LBB63_1619:
	s_andn2_b64 vcc, exec, s[0:1]
	s_cbranch_vccnz .LBB63_1621
; %bb.1620:
	global_load_dword v3, v[16:17], off
	s_waitcnt vmcnt(0)
	v_cvt_f64_f32_e32 v[4:5], v3
.LBB63_1621:
	s_mov_b64 s[0:1], 0
.LBB63_1622:
	s_andn2_b64 vcc, exec, s[0:1]
	s_cbranch_vccnz .LBB63_1624
; %bb.1623:
	global_load_dword v3, v[16:17], off
	s_waitcnt vmcnt(0)
	v_cvt_f32_f16_e32 v3, v3
	v_cvt_f64_f32_e32 v[4:5], v3
.LBB63_1624:
	s_mov_b64 s[0:1], 0
.LBB63_1625:
	s_andn2_b64 vcc, exec, s[0:1]
	s_cbranch_vccnz .LBB63_1636
; %bb.1626:
	v_mov_b32_e32 v3, 6
	v_cmp_lt_i16_sdwa s[0:1], s18, v3 src0_sel:BYTE_0 src1_sel:DWORD
	s_and_b64 vcc, exec, s[0:1]
	s_cbranch_vccnz .LBB63_1629
; %bb.1627:
	v_cmp_gt_i16_sdwa s[0:1], s18, v3 src0_sel:BYTE_0 src1_sel:DWORD
	s_and_b64 vcc, exec, s[0:1]
	s_cbranch_vccz .LBB63_1630
; %bb.1628:
	global_load_dwordx2 v[4:5], v[16:17], off
	s_mov_b64 s[0:1], 0
	s_branch .LBB63_1631
.LBB63_1629:
	s_mov_b64 s[0:1], -1
                                        ; implicit-def: $vgpr4_vgpr5
	s_branch .LBB63_1634
.LBB63_1630:
	s_mov_b64 s[0:1], -1
                                        ; implicit-def: $vgpr4_vgpr5
.LBB63_1631:
	s_andn2_b64 vcc, exec, s[0:1]
	s_cbranch_vccnz .LBB63_1633
; %bb.1632:
	global_load_dword v3, v[16:17], off
	s_waitcnt vmcnt(0)
	v_cvt_f64_f32_e32 v[4:5], v3
.LBB63_1633:
	s_mov_b64 s[0:1], 0
.LBB63_1634:
	s_andn2_b64 vcc, exec, s[0:1]
	s_cbranch_vccnz .LBB63_1636
; %bb.1635:
	global_load_ushort v3, v[16:17], off
	s_waitcnt vmcnt(0)
	v_cvt_f32_f16_e32 v3, v3
	v_cvt_f64_f32_e32 v[4:5], v3
.LBB63_1636:
	s_mov_b64 s[0:1], 0
.LBB63_1637:
	s_andn2_b64 vcc, exec, s[0:1]
	s_cbranch_vccnz .LBB63_1657
; %bb.1638:
	v_mov_b32_e32 v3, 2
	v_cmp_lt_i16_sdwa s[0:1], s18, v3 src0_sel:BYTE_0 src1_sel:DWORD
	s_and_b64 vcc, exec, s[0:1]
	s_cbranch_vccnz .LBB63_1642
; %bb.1639:
	v_mov_b32_e32 v3, 3
	v_cmp_lt_i16_sdwa s[0:1], s18, v3 src0_sel:BYTE_0 src1_sel:DWORD
	s_and_b64 vcc, exec, s[0:1]
	s_cbranch_vccnz .LBB63_1643
; %bb.1640:
	v_cmp_gt_i16_sdwa s[0:1], s18, v3 src0_sel:BYTE_0 src1_sel:DWORD
	s_and_b64 vcc, exec, s[0:1]
	s_cbranch_vccz .LBB63_1644
; %bb.1641:
	global_load_dwordx2 v[4:5], v[16:17], off
	s_mov_b64 s[0:1], 0
	s_waitcnt vmcnt(0)
	v_cvt_f64_i32_e32 v[18:19], v5
	v_cvt_f64_u32_e32 v[4:5], v4
	v_ldexp_f64 v[18:19], v[18:19], 32
	v_add_f64 v[4:5], v[18:19], v[4:5]
	s_branch .LBB63_1645
.LBB63_1642:
	s_mov_b64 s[0:1], -1
                                        ; implicit-def: $vgpr4_vgpr5
	s_branch .LBB63_1651
.LBB63_1643:
	s_mov_b64 s[0:1], -1
                                        ; implicit-def: $vgpr4_vgpr5
	s_branch .LBB63_1648
.LBB63_1644:
	s_mov_b64 s[0:1], -1
                                        ; implicit-def: $vgpr4_vgpr5
.LBB63_1645:
	s_andn2_b64 vcc, exec, s[0:1]
	s_cbranch_vccnz .LBB63_1647
; %bb.1646:
	global_load_dword v3, v[16:17], off
	s_waitcnt vmcnt(0)
	v_cvt_f64_i32_e32 v[4:5], v3
.LBB63_1647:
	s_mov_b64 s[0:1], 0
.LBB63_1648:
	s_andn2_b64 vcc, exec, s[0:1]
	s_cbranch_vccnz .LBB63_1650
; %bb.1649:
	global_load_sshort v3, v[16:17], off
	s_waitcnt vmcnt(0)
	v_cvt_f64_i32_e32 v[4:5], v3
.LBB63_1650:
	s_mov_b64 s[0:1], 0
.LBB63_1651:
	s_andn2_b64 vcc, exec, s[0:1]
	s_cbranch_vccnz .LBB63_1657
; %bb.1652:
	v_mov_b32_e32 v3, 0
	v_cmp_gt_i16_sdwa s[0:1], s18, v3 src0_sel:BYTE_0 src1_sel:DWORD
	s_and_b64 vcc, exec, s[0:1]
	s_cbranch_vccz .LBB63_1654
; %bb.1653:
	global_load_sbyte v3, v[16:17], off
	s_mov_b64 s[0:1], 0
	s_waitcnt vmcnt(0)
	v_cvt_f64_i32_e32 v[4:5], v3
	s_branch .LBB63_1655
.LBB63_1654:
	s_mov_b64 s[0:1], -1
                                        ; implicit-def: $vgpr4_vgpr5
.LBB63_1655:
	s_andn2_b64 vcc, exec, s[0:1]
	s_cbranch_vccnz .LBB63_1657
; %bb.1656:
	global_load_ubyte v3, v[16:17], off
	s_waitcnt vmcnt(0)
	v_cvt_f64_u32_e32 v[4:5], v3
.LBB63_1657:
	s_mov_b64 s[6:7], -1
.LBB63_1658:
	s_andn2_b64 vcc, exec, s[6:7]
	s_cbranch_vccnz .LBB63_2044
; %bb.1659:
	s_load_dword s0, s[34:35], 0x168
	s_load_dwordx2 s[4:5], s[34:35], 0x160
	v_mov_b32_e32 v3, s9
	v_add_co_u32_e32 v16, vcc, s8, v2
	s_waitcnt lgkmcnt(0)
	s_and_b32 s18, s0, 0xff
	s_brev_b32 s1, -2
	v_mov_b32_e32 v9, s5
	v_addc_co_u32_e32 v17, vcc, 0, v3, vcc
	v_cmp_lt_i16_e64 s[6:7], s18, 11
	s_waitcnt vmcnt(0)
	v_bfi_b32 v1, s1, v1, v9
	s_and_b64 vcc, exec, s[6:7]
	s_cbranch_vccnz .LBB63_1666
; %bb.1660:
	v_cmp_gt_i16_e64 s[0:1], s18, 25
	s_mov_b64 s[14:15], -1
	s_mov_b64 s[10:11], 0
	s_and_b64 vcc, exec, s[0:1]
	s_mov_b64 s[12:13], 0
	s_mov_b64 s[0:1], 0
	s_cbranch_vccz .LBB63_1698
; %bb.1661:
	v_cmp_gt_i16_e64 s[0:1], s18, 28
	s_and_b64 vcc, exec, s[0:1]
	s_cbranch_vccz .LBB63_1667
; %bb.1662:
	v_cmp_gt_i16_e64 s[0:1], s18, 43
	s_and_b64 vcc, exec, s[0:1]
	;; [unrolled: 4-line block ×3, first 2 shown]
	s_cbranch_vccz .LBB63_1670
; %bb.1664:
	v_cmp_eq_u16_e64 s[12:13], s18, 46
	s_mov_b64 s[0:1], -1
	s_mov_b64 s[14:15], 0
	s_and_b64 vcc, exec, s[12:13]
	s_mov_b64 s[12:13], 0
	s_cbranch_vccz .LBB63_1671
; %bb.1665:
	v_cvt_f32_f64_e32 v2, v[0:1]
	v_bfe_u32 v3, v2, 16, 1
	s_movk_i32 s0, 0x7fff
	v_add3_u32 v3, v2, v3, s0
	v_lshrrev_b32_e32 v3, 16, v3
	v_mov_b32_e32 v9, 0x7fc0
	v_cmp_o_f32_e32 vcc, v2, v2
	v_cndmask_b32_e32 v2, v9, v3, vcc
	global_store_dword v[16:17], v2, off
	s_mov_b64 s[0:1], 0
	s_mov_b64 s[12:13], -1
	s_branch .LBB63_1671
.LBB63_1666:
	s_mov_b64 s[0:1], -1
	s_mov_b64 s[12:13], 0
	s_branch .LBB63_1742
.LBB63_1667:
	s_mov_b64 s[0:1], 0
	s_branch .LBB63_1681
.LBB63_1668:
	s_mov_b64 s[0:1], 0
	s_branch .LBB63_1677
.LBB63_1669:
	s_trap 2
	s_or_b64 s[2:3], s[2:3], exec
                                        ; implicit-def: $vgpr4_vgpr5
	s_cbranch_execz .LBB63_1607
	s_branch .LBB63_1608
.LBB63_1670:
	s_mov_b64 s[0:1], 0
.LBB63_1671:
	s_and_b64 vcc, exec, s[14:15]
	s_cbranch_vccz .LBB63_1676
; %bb.1672:
	v_cmp_eq_u16_e64 s[14:15], s18, 44
	s_mov_b64 s[0:1], -1
	s_and_b64 vcc, exec, s[14:15]
	s_cbranch_vccz .LBB63_1676
; %bb.1673:
	v_cvt_f32_f64_e32 v2, v[0:1]
	v_bfe_u32 v3, v2, 23, 8
	s_movk_i32 s0, 0xff
	v_cmp_ne_u32_e32 vcc, s0, v3
	v_mov_b32_e32 v9, 0xff
	s_and_saveexec_b64 s[12:13], vcc
; %bb.1674:
	s_mov_b32 s0, 0x3fffff
	v_lshrrev_b32_e32 v9, 23, v2
	v_and_b32_e32 v13, 0x400000, v2
	v_and_or_b32 v2, v2, s0, v3
	v_cmp_ne_u32_e32 vcc, 0, v13
	v_cmp_ne_u32_e64 s[0:1], 0, v2
	s_and_b64 s[0:1], vcc, s[0:1]
	v_cndmask_b32_e64 v2, 0, 1, s[0:1]
	v_add_u32_e32 v9, v9, v2
; %bb.1675:
	s_or_b64 exec, exec, s[12:13]
	s_mov_b64 s[0:1], 0
	s_mov_b64 s[12:13], -1
	global_store_byte v[16:17], v9, off
.LBB63_1676:
	s_mov_b64 s[14:15], 0
.LBB63_1677:
	s_and_b64 vcc, exec, s[14:15]
	s_cbranch_vccz .LBB63_1680
; %bb.1678:
	v_cmp_eq_u16_e64 s[14:15], s18, 29
	s_mov_b64 s[0:1], -1
	s_and_b64 vcc, exec, s[14:15]
	s_cbranch_vccz .LBB63_1680
; %bb.1679:
	v_trunc_f64_e32 v[2:3], v[0:1]
	s_movk_i32 s0, 0xffe0
	v_ldexp_f64 v[18:19], v[2:3], s0
	v_floor_f64_e32 v[18:19], v[18:19]
	v_fmac_f64_e32 v[2:3], 0xc1f00000, v[18:19]
	v_cvt_u32_f64_e32 v21, v[18:19]
	v_cvt_u32_f64_e32 v20, v[2:3]
	global_store_dwordx2 v[16:17], v[20:21], off
	s_mov_b64 s[0:1], 0
	s_mov_b64 s[12:13], -1
.LBB63_1680:
	s_mov_b64 s[14:15], 0
.LBB63_1681:
	s_and_b64 vcc, exec, s[14:15]
	s_cbranch_vccz .LBB63_1697
; %bb.1682:
	v_cmp_lt_i16_e64 s[14:15], s18, 27
	s_mov_b64 s[12:13], -1
	s_and_b64 vcc, exec, s[14:15]
	s_cbranch_vccnz .LBB63_1688
; %bb.1683:
	v_cmp_gt_i16_e64 s[14:15], s18, 27
	s_and_b64 vcc, exec, s[14:15]
	v_cvt_u32_f64_e32 v2, v[0:1]
	s_cbranch_vccz .LBB63_1685
; %bb.1684:
	s_mov_b64 s[12:13], 0
	global_store_dword v[16:17], v2, off
.LBB63_1685:
	s_andn2_b64 vcc, exec, s[12:13]
	s_cbranch_vccnz .LBB63_1687
; %bb.1686:
	global_store_short v[16:17], v2, off
.LBB63_1687:
	s_mov_b64 s[12:13], 0
.LBB63_1688:
	s_andn2_b64 vcc, exec, s[12:13]
	s_cbranch_vccnz .LBB63_1696
; %bb.1689:
	v_cvt_f32_f64_e32 v2, v[0:1]
	v_and_b32_e32 v3, 0x7fffffff, v2
	s_mov_b32 s4, 0x43800000
	v_cmp_gt_u32_e32 vcc, s4, v3
	v_mov_b32_e32 v9, 0x80
	s_and_saveexec_b64 s[12:13], vcc
	s_cbranch_execz .LBB63_1695
; %bb.1690:
	s_mov_b32 s4, 0x3bffffff
	v_cmp_lt_u32_e32 vcc, s4, v3
	s_mov_b64 s[14:15], 0
                                        ; implicit-def: $vgpr3
	s_and_saveexec_b64 s[16:17], vcc
	s_xor_b64 s[16:17], exec, s[16:17]
	s_cbranch_execz .LBB63_1791
; %bb.1691:
	v_bfe_u32 v3, v2, 20, 1
	s_mov_b32 s4, 0x487ffff
	v_add3_u32 v3, v2, v3, s4
	s_mov_b64 s[14:15], exec
	v_lshrrev_b32_e32 v3, 20, v3
	s_or_saveexec_b64 s[16:17], s[16:17]
                                        ; implicit-def: $sgpr4
	s_xor_b64 exec, exec, s[16:17]
	s_cbranch_execnz .LBB63_1792
.LBB63_1692:
	s_or_b64 exec, exec, s[16:17]
	v_mov_b32_e32 v9, s4
	s_and_saveexec_b64 s[16:17], s[14:15]
.LBB63_1693:
	v_lshrrev_b32_e32 v2, 24, v2
	s_movk_i32 s4, 0x80
	v_and_or_b32 v9, v2, s4, v3
.LBB63_1694:
	s_or_b64 exec, exec, s[16:17]
.LBB63_1695:
	s_or_b64 exec, exec, s[12:13]
	global_store_byte v[16:17], v9, off
.LBB63_1696:
	s_mov_b64 s[12:13], -1
.LBB63_1697:
	s_mov_b64 s[14:15], 0
.LBB63_1698:
	s_and_b64 vcc, exec, s[14:15]
	s_cbranch_vccz .LBB63_1738
; %bb.1699:
	v_cmp_gt_i16_e64 s[14:15], s18, 22
	s_mov_b64 s[10:11], -1
	s_and_b64 vcc, exec, s[14:15]
	s_cbranch_vccz .LBB63_1731
; %bb.1700:
	v_cmp_lt_i16_e64 s[12:13], s18, 24
	s_and_b64 vcc, exec, s[12:13]
	s_cbranch_vccnz .LBB63_1720
; %bb.1701:
	v_cmp_gt_i16_e64 s[12:13], s18, 24
	s_and_b64 vcc, exec, s[12:13]
	s_cbranch_vccz .LBB63_1709
; %bb.1702:
	v_cvt_f32_f64_e32 v2, v[0:1]
	v_and_b32_e32 v3, 0x7fffffff, v2
	s_mov_b32 s4, 0x47800000
	v_cmp_gt_u32_e32 vcc, s4, v3
	v_mov_b32_e32 v9, 0x80
	s_and_saveexec_b64 s[10:11], vcc
	s_cbranch_execz .LBB63_1708
; %bb.1703:
	s_mov_b32 s4, 0x37ffffff
	v_cmp_lt_u32_e32 vcc, s4, v3
	s_mov_b64 s[12:13], 0
                                        ; implicit-def: $vgpr3
	s_and_saveexec_b64 s[14:15], vcc
	s_xor_b64 s[14:15], exec, s[14:15]
	s_cbranch_execz .LBB63_1795
; %bb.1704:
	v_bfe_u32 v3, v2, 21, 1
	s_mov_b32 s4, 0x88fffff
	v_add3_u32 v3, v2, v3, s4
	s_mov_b64 s[12:13], exec
	v_lshrrev_b32_e32 v3, 21, v3
	s_or_saveexec_b64 s[14:15], s[14:15]
                                        ; implicit-def: $sgpr4
	s_xor_b64 exec, exec, s[14:15]
	s_cbranch_execnz .LBB63_1796
.LBB63_1705:
	s_or_b64 exec, exec, s[14:15]
	v_mov_b32_e32 v9, s4
	s_and_saveexec_b64 s[14:15], s[12:13]
.LBB63_1706:
	v_lshrrev_b32_e32 v2, 24, v2
	s_movk_i32 s4, 0x80
	v_and_or_b32 v9, v2, s4, v3
.LBB63_1707:
	s_or_b64 exec, exec, s[14:15]
.LBB63_1708:
	s_or_b64 exec, exec, s[10:11]
	s_mov_b64 s[10:11], 0
	global_store_byte v[16:17], v9, off
.LBB63_1709:
	s_and_b64 vcc, exec, s[10:11]
	s_cbranch_vccz .LBB63_1719
; %bb.1710:
	v_cvt_f32_f64_e32 v2, v[0:1]
	v_and_b32_e32 v9, 0x7fffffff, v2
	s_mov_b32 s4, 0x43f00000
	v_cmp_gt_u32_e32 vcc, s4, v9
                                        ; implicit-def: $vgpr3
	s_and_saveexec_b64 s[10:11], vcc
	s_xor_b64 s[10:11], exec, s[10:11]
	s_cbranch_execz .LBB63_1716
; %bb.1711:
	s_mov_b32 s4, 0x3c7fffff
	v_cmp_lt_u32_e32 vcc, s4, v9
                                        ; implicit-def: $vgpr3
	s_and_saveexec_b64 s[12:13], vcc
	s_xor_b64 s[12:13], exec, s[12:13]
; %bb.1712:
	v_bfe_u32 v3, v2, 20, 1
	s_mov_b32 s4, 0x407ffff
	v_add3_u32 v3, v2, v3, s4
	v_lshrrev_b32_e32 v9, 20, v3
	v_and_b32_e32 v3, 0xff00000, v3
	s_mov_b32 s4, 0x7f00000
	v_mov_b32_e32 v13, 0x7e
	v_cmp_ne_u32_e32 vcc, s4, v3
	v_cndmask_b32_e32 v3, v13, v9, vcc
; %bb.1713:
	s_andn2_saveexec_b64 s[12:13], s[12:13]
; %bb.1714:
	s_mov_b32 s4, 0x46800000
	v_add_f32_e64 v3, |v2|, s4
; %bb.1715:
	s_or_b64 exec, exec, s[12:13]
                                        ; implicit-def: $vgpr9
.LBB63_1716:
	s_andn2_saveexec_b64 s[10:11], s[10:11]
; %bb.1717:
	s_mov_b32 s4, 0x7f800000
	v_mov_b32_e32 v3, 0x7e
	v_mov_b32_e32 v13, 0x7f
	v_cmp_lt_u32_e32 vcc, s4, v9
	v_cndmask_b32_e32 v3, v3, v13, vcc
; %bb.1718:
	s_or_b64 exec, exec, s[10:11]
	v_lshrrev_b32_e32 v2, 24, v2
	s_movk_i32 s4, 0x80
	v_and_or_b32 v2, v2, s4, v3
	global_store_byte v[16:17], v2, off
.LBB63_1719:
	s_mov_b64 s[10:11], 0
.LBB63_1720:
	s_andn2_b64 vcc, exec, s[10:11]
	s_cbranch_vccnz .LBB63_1730
; %bb.1721:
	v_cvt_f32_f64_e32 v2, v[0:1]
	v_and_b32_e32 v9, 0x7fffffff, v2
	s_mov_b32 s4, 0x47800000
	v_cmp_gt_u32_e32 vcc, s4, v9
                                        ; implicit-def: $vgpr3
	s_and_saveexec_b64 s[10:11], vcc
	s_xor_b64 s[10:11], exec, s[10:11]
	s_cbranch_execz .LBB63_1727
; %bb.1722:
	s_mov_b32 s4, 0x387fffff
	v_cmp_lt_u32_e32 vcc, s4, v9
                                        ; implicit-def: $vgpr3
	s_and_saveexec_b64 s[12:13], vcc
	s_xor_b64 s[12:13], exec, s[12:13]
; %bb.1723:
	v_bfe_u32 v3, v2, 21, 1
	s_mov_b32 s4, 0x80fffff
	v_add3_u32 v3, v2, v3, s4
	v_lshrrev_b32_e32 v3, 21, v3
; %bb.1724:
	s_andn2_saveexec_b64 s[12:13], s[12:13]
; %bb.1725:
	s_mov_b32 s4, 0x43000000
	v_add_f32_e64 v3, |v2|, s4
; %bb.1726:
	s_or_b64 exec, exec, s[12:13]
                                        ; implicit-def: $vgpr9
.LBB63_1727:
	s_andn2_saveexec_b64 s[10:11], s[10:11]
; %bb.1728:
	s_mov_b32 s4, 0x7f800000
	v_mov_b32_e32 v3, 0x7c
	v_mov_b32_e32 v13, 0x7f
	v_cmp_lt_u32_e32 vcc, s4, v9
	v_cndmask_b32_e32 v3, v3, v13, vcc
; %bb.1729:
	s_or_b64 exec, exec, s[10:11]
	v_lshrrev_b32_e32 v2, 24, v2
	s_movk_i32 s4, 0x80
	v_and_or_b32 v2, v2, s4, v3
	global_store_byte v[16:17], v2, off
.LBB63_1730:
	s_mov_b64 s[10:11], 0
	s_mov_b64 s[12:13], -1
.LBB63_1731:
	s_andn2_b64 vcc, exec, s[10:11]
	s_mov_b64 s[10:11], 0
	s_cbranch_vccnz .LBB63_1738
; %bb.1732:
	v_cmp_gt_i16_e64 s[10:11], s18, 14
	s_mov_b64 s[14:15], -1
	s_and_b64 vcc, exec, s[10:11]
	s_cbranch_vccz .LBB63_1736
; %bb.1733:
	v_cmp_eq_u16_e64 s[10:11], s18, 15
	s_mov_b64 s[0:1], -1
	s_and_b64 vcc, exec, s[10:11]
	s_cbranch_vccz .LBB63_1735
; %bb.1734:
	v_cvt_f32_f64_e32 v2, v[0:1]
	v_bfe_u32 v3, v2, 16, 1
	s_movk_i32 s0, 0x7fff
	v_add3_u32 v3, v2, v3, s0
	v_lshrrev_b32_e32 v3, 16, v3
	v_mov_b32_e32 v9, 0x7fc0
	v_cmp_o_f32_e32 vcc, v2, v2
	v_cndmask_b32_e32 v2, v9, v3, vcc
	global_store_short v[16:17], v2, off
	s_mov_b64 s[0:1], 0
	s_mov_b64 s[12:13], -1
.LBB63_1735:
	s_mov_b64 s[14:15], 0
.LBB63_1736:
	s_mov_b64 s[10:11], 0
	s_and_b64 vcc, exec, s[14:15]
	s_cbranch_vccz .LBB63_1738
; %bb.1737:
	v_cmp_ne_u16_e64 s[0:1], s18, 11
	s_mov_b64 s[10:11], -1
.LBB63_1738:
	s_and_b64 vcc, exec, s[0:1]
	s_cbranch_vccnz .LBB63_1794
; %bb.1739:
	s_andn2_b64 vcc, exec, s[10:11]
	s_cbranch_vccnz .LBB63_1741
.LBB63_1740:
	v_cmp_neq_f64_e32 vcc, 0, v[0:1]
	v_cndmask_b32_e64 v2, 0, 1, vcc
	s_mov_b64 s[12:13], -1
	global_store_byte v[16:17], v2, off
.LBB63_1741:
	s_mov_b64 s[0:1], 0
.LBB63_1742:
	s_and_b64 vcc, exec, s[0:1]
	s_cbranch_vccz .LBB63_1781
; %bb.1743:
	v_cmp_lt_i16_e64 s[10:11], s18, 5
	s_mov_b64 s[0:1], -1
	s_and_b64 vcc, exec, s[10:11]
	s_cbranch_vccnz .LBB63_1764
; %bb.1744:
	v_cmp_lt_i16_e64 s[10:11], s18, 8
	s_and_b64 vcc, exec, s[10:11]
	s_cbranch_vccnz .LBB63_1754
; %bb.1745:
	v_cmp_lt_i16_e64 s[10:11], s18, 9
	s_and_b64 vcc, exec, s[10:11]
	s_cbranch_vccnz .LBB63_1751
; %bb.1746:
	v_cmp_gt_i16_e64 s[10:11], s18, 9
	s_and_b64 vcc, exec, s[10:11]
	s_cbranch_vccz .LBB63_1748
; %bb.1747:
	v_mov_b32_e32 v2, 0
	v_mov_b32_e32 v3, v2
	global_store_dwordx4 v[16:17], v[0:3], off
	s_mov_b64 s[0:1], 0
.LBB63_1748:
	s_andn2_b64 vcc, exec, s[0:1]
	s_cbranch_vccnz .LBB63_1750
; %bb.1749:
	v_cvt_f32_f64_e32 v2, v[0:1]
	v_mov_b32_e32 v3, 0
	global_store_dwordx2 v[16:17], v[2:3], off
.LBB63_1750:
	s_mov_b64 s[0:1], 0
.LBB63_1751:
	s_andn2_b64 vcc, exec, s[0:1]
	s_cbranch_vccnz .LBB63_1753
; %bb.1752:
	v_cvt_f32_f64_e32 v2, v[0:1]
	v_cvt_f16_f32_e32 v2, v2
	global_store_dword v[16:17], v2, off
.LBB63_1753:
	s_mov_b64 s[0:1], 0
.LBB63_1754:
	s_andn2_b64 vcc, exec, s[0:1]
	s_cbranch_vccnz .LBB63_1763
; %bb.1755:
	v_cmp_lt_i16_e64 s[10:11], s18, 6
	s_mov_b64 s[0:1], -1
	s_and_b64 vcc, exec, s[10:11]
	s_cbranch_vccnz .LBB63_1761
; %bb.1756:
	v_cmp_gt_i16_e64 s[10:11], s18, 6
	s_and_b64 vcc, exec, s[10:11]
	s_cbranch_vccz .LBB63_1758
; %bb.1757:
	global_store_dwordx2 v[16:17], v[0:1], off
	s_mov_b64 s[0:1], 0
.LBB63_1758:
	s_andn2_b64 vcc, exec, s[0:1]
	s_cbranch_vccnz .LBB63_1760
; %bb.1759:
	v_cvt_f32_f64_e32 v2, v[0:1]
	global_store_dword v[16:17], v2, off
.LBB63_1760:
	s_mov_b64 s[0:1], 0
.LBB63_1761:
	s_andn2_b64 vcc, exec, s[0:1]
	s_cbranch_vccnz .LBB63_1763
; %bb.1762:
	v_cvt_f32_f64_e32 v2, v[0:1]
	v_cvt_f16_f32_e32 v2, v2
	global_store_short v[16:17], v2, off
.LBB63_1763:
	s_mov_b64 s[0:1], 0
.LBB63_1764:
	s_andn2_b64 vcc, exec, s[0:1]
	s_cbranch_vccnz .LBB63_1780
; %bb.1765:
	v_cmp_lt_i16_e64 s[10:11], s18, 2
	s_mov_b64 s[0:1], -1
	s_and_b64 vcc, exec, s[10:11]
	s_cbranch_vccnz .LBB63_1775
; %bb.1766:
	v_cmp_lt_i16_e64 s[10:11], s18, 3
	s_and_b64 vcc, exec, s[10:11]
	s_cbranch_vccnz .LBB63_1772
; %bb.1767:
	v_cmp_gt_i16_e64 s[10:11], s18, 3
	s_and_b64 vcc, exec, s[10:11]
	s_cbranch_vccz .LBB63_1769
; %bb.1768:
	v_trunc_f64_e32 v[2:3], v[0:1]
	s_movk_i32 s0, 0xffe0
	v_ldexp_f64 v[18:19], v[2:3], s0
	v_floor_f64_e32 v[18:19], v[18:19]
	v_fmac_f64_e32 v[2:3], 0xc1f00000, v[18:19]
	v_cvt_i32_f64_e32 v21, v[18:19]
	v_cvt_u32_f64_e32 v20, v[2:3]
	global_store_dwordx2 v[16:17], v[20:21], off
	s_mov_b64 s[0:1], 0
.LBB63_1769:
	s_andn2_b64 vcc, exec, s[0:1]
	s_cbranch_vccnz .LBB63_1771
; %bb.1770:
	v_cvt_i32_f64_e32 v2, v[0:1]
	global_store_dword v[16:17], v2, off
.LBB63_1771:
	s_mov_b64 s[0:1], 0
.LBB63_1772:
	s_andn2_b64 vcc, exec, s[0:1]
	s_cbranch_vccnz .LBB63_1774
; %bb.1773:
	v_cvt_i32_f64_e32 v2, v[0:1]
	global_store_short v[16:17], v2, off
.LBB63_1774:
	s_mov_b64 s[0:1], 0
.LBB63_1775:
	s_andn2_b64 vcc, exec, s[0:1]
	s_cbranch_vccnz .LBB63_1780
; %bb.1776:
	v_cmp_gt_i16_e64 s[10:11], s18, 0
	s_mov_b64 s[0:1], -1
	s_and_b64 vcc, exec, s[10:11]
	s_cbranch_vccz .LBB63_1778
; %bb.1777:
	v_cvt_i32_f64_e32 v2, v[0:1]
	global_store_byte v[16:17], v2, off
	s_mov_b64 s[0:1], 0
.LBB63_1778:
	s_andn2_b64 vcc, exec, s[0:1]
	s_cbranch_vccnz .LBB63_1780
; %bb.1779:
	v_trunc_f64_e32 v[0:1], v[0:1]
	s_movk_i32 s0, 0xffe0
	v_ldexp_f64 v[2:3], v[0:1], s0
	v_floor_f64_e32 v[2:3], v[2:3]
	v_fmac_f64_e32 v[0:1], 0xc1f00000, v[2:3]
	v_cvt_u32_f64_e32 v0, v[0:1]
	global_store_byte v[16:17], v0, off
.LBB63_1780:
	s_mov_b64 s[12:13], -1
.LBB63_1781:
	s_andn2_b64 vcc, exec, s[12:13]
	s_cbranch_vccnz .LBB63_2044
; %bb.1782:
	s_brev_b32 s0, -2
	v_mov_b32_e32 v0, s5
	v_bfi_b32 v7, s0, v7, v0
	v_mov_b32_e32 v1, s9
	v_add_co_u32_e32 v0, vcc, s8, v8
	v_addc_co_u32_e32 v1, vcc, 0, v1, vcc
	s_and_b64 vcc, exec, s[6:7]
	s_cbranch_vccnz .LBB63_1789
; %bb.1783:
	v_cmp_gt_i16_e64 s[0:1], s18, 25
	s_mov_b64 s[14:15], -1
	s_mov_b64 s[10:11], 0
	s_and_b64 vcc, exec, s[0:1]
	s_mov_b64 s[12:13], 0
	s_mov_b64 s[0:1], 0
	s_cbranch_vccz .LBB63_1825
; %bb.1784:
	v_cmp_gt_i16_e64 s[0:1], s18, 28
	s_and_b64 vcc, exec, s[0:1]
	s_cbranch_vccz .LBB63_1790
; %bb.1785:
	v_cmp_gt_i16_e64 s[0:1], s18, 43
	s_and_b64 vcc, exec, s[0:1]
	;; [unrolled: 4-line block ×3, first 2 shown]
	s_cbranch_vccz .LBB63_1797
; %bb.1787:
	v_cmp_eq_u16_e64 s[12:13], s18, 46
	s_mov_b64 s[0:1], -1
	s_mov_b64 s[14:15], 0
	s_and_b64 vcc, exec, s[12:13]
	s_mov_b64 s[12:13], 0
	s_cbranch_vccz .LBB63_1798
; %bb.1788:
	v_cvt_f32_f64_e32 v2, v[6:7]
	v_bfe_u32 v3, v2, 16, 1
	s_movk_i32 s0, 0x7fff
	v_add3_u32 v3, v2, v3, s0
	v_lshrrev_b32_e32 v3, 16, v3
	v_mov_b32_e32 v8, 0x7fc0
	v_cmp_o_f32_e32 vcc, v2, v2
	v_cndmask_b32_e32 v2, v8, v3, vcc
	global_store_dword v[0:1], v2, off
	s_mov_b64 s[0:1], 0
	s_mov_b64 s[12:13], -1
	s_branch .LBB63_1798
.LBB63_1789:
	s_mov_b64 s[0:1], -1
	s_mov_b64 s[12:13], 0
	s_branch .LBB63_1869
.LBB63_1790:
	s_mov_b64 s[0:1], 0
	s_branch .LBB63_1808
.LBB63_1791:
	s_or_saveexec_b64 s[16:17], s[16:17]
                                        ; implicit-def: $sgpr4
	s_xor_b64 exec, exec, s[16:17]
	s_cbranch_execz .LBB63_1692
.LBB63_1792:
	s_mov_b32 s4, 0x46000000
	v_add_f32_e64 v3, |v2|, s4
	v_and_b32_e32 v3, 0xff, v3
	v_cmp_ne_u32_e32 vcc, 0, v3
	s_andn2_b64 s[14:15], s[14:15], exec
	s_and_b64 s[20:21], vcc, exec
	s_mov_b32 s4, 0
	s_or_b64 s[14:15], s[14:15], s[20:21]
	s_or_b64 exec, exec, s[16:17]
	v_mov_b32_e32 v9, s4
	s_and_saveexec_b64 s[16:17], s[14:15]
	s_cbranch_execnz .LBB63_1693
	s_branch .LBB63_1694
.LBB63_1793:
	s_mov_b64 s[0:1], 0
	s_branch .LBB63_1804
.LBB63_1794:
	s_trap 2
	s_or_b64 s[2:3], s[2:3], exec
	s_cbranch_execz .LBB63_1740
	s_branch .LBB63_1741
.LBB63_1795:
	s_or_saveexec_b64 s[14:15], s[14:15]
                                        ; implicit-def: $sgpr4
	s_xor_b64 exec, exec, s[14:15]
	s_cbranch_execz .LBB63_1705
.LBB63_1796:
	s_mov_b32 s4, 0x42800000
	v_add_f32_e64 v3, |v2|, s4
	v_and_b32_e32 v3, 0xff, v3
	v_cmp_ne_u32_e32 vcc, 0, v3
	s_andn2_b64 s[12:13], s[12:13], exec
	s_and_b64 s[16:17], vcc, exec
	s_mov_b32 s4, 0
	s_or_b64 s[12:13], s[12:13], s[16:17]
	s_or_b64 exec, exec, s[14:15]
	v_mov_b32_e32 v9, s4
	s_and_saveexec_b64 s[14:15], s[12:13]
	s_cbranch_execnz .LBB63_1706
	s_branch .LBB63_1707
.LBB63_1797:
	s_mov_b64 s[0:1], 0
.LBB63_1798:
	s_and_b64 vcc, exec, s[14:15]
	s_cbranch_vccz .LBB63_1803
; %bb.1799:
	v_cmp_eq_u16_e64 s[14:15], s18, 44
	s_mov_b64 s[0:1], -1
	s_and_b64 vcc, exec, s[14:15]
	s_cbranch_vccz .LBB63_1803
; %bb.1800:
	v_cvt_f32_f64_e32 v2, v[6:7]
	v_bfe_u32 v3, v2, 23, 8
	s_movk_i32 s0, 0xff
	v_cmp_ne_u32_e32 vcc, s0, v3
	v_mov_b32_e32 v8, 0xff
	s_and_saveexec_b64 s[12:13], vcc
; %bb.1801:
	s_mov_b32 s0, 0x3fffff
	v_lshrrev_b32_e32 v8, 23, v2
	v_and_b32_e32 v9, 0x400000, v2
	v_and_or_b32 v2, v2, s0, v3
	v_cmp_ne_u32_e32 vcc, 0, v9
	v_cmp_ne_u32_e64 s[0:1], 0, v2
	s_and_b64 s[0:1], vcc, s[0:1]
	v_cndmask_b32_e64 v2, 0, 1, s[0:1]
	v_add_u32_e32 v8, v8, v2
; %bb.1802:
	s_or_b64 exec, exec, s[12:13]
	s_mov_b64 s[0:1], 0
	s_mov_b64 s[12:13], -1
	global_store_byte v[0:1], v8, off
.LBB63_1803:
	s_mov_b64 s[14:15], 0
.LBB63_1804:
	s_and_b64 vcc, exec, s[14:15]
	s_cbranch_vccz .LBB63_1807
; %bb.1805:
	v_cmp_eq_u16_e64 s[14:15], s18, 29
	s_mov_b64 s[0:1], -1
	s_and_b64 vcc, exec, s[14:15]
	s_cbranch_vccz .LBB63_1807
; %bb.1806:
	v_trunc_f64_e32 v[2:3], v[6:7]
	s_movk_i32 s0, 0xffe0
	v_ldexp_f64 v[8:9], v[2:3], s0
	v_floor_f64_e32 v[8:9], v[8:9]
	v_fmac_f64_e32 v[2:3], 0xc1f00000, v[8:9]
	v_cvt_u32_f64_e32 v17, v[8:9]
	v_cvt_u32_f64_e32 v16, v[2:3]
	global_store_dwordx2 v[0:1], v[16:17], off
	s_mov_b64 s[0:1], 0
	s_mov_b64 s[12:13], -1
.LBB63_1807:
	s_mov_b64 s[14:15], 0
.LBB63_1808:
	s_and_b64 vcc, exec, s[14:15]
	s_cbranch_vccz .LBB63_1824
; %bb.1809:
	v_cmp_lt_i16_e64 s[14:15], s18, 27
	s_mov_b64 s[12:13], -1
	s_and_b64 vcc, exec, s[14:15]
	s_cbranch_vccnz .LBB63_1815
; %bb.1810:
	v_cmp_gt_i16_e64 s[14:15], s18, 27
	s_and_b64 vcc, exec, s[14:15]
	s_cbranch_vccz .LBB63_1812
; %bb.1811:
	v_cvt_u32_f64_e32 v2, v[6:7]
	s_mov_b64 s[12:13], 0
	global_store_dword v[0:1], v2, off
.LBB63_1812:
	s_andn2_b64 vcc, exec, s[12:13]
	s_cbranch_vccnz .LBB63_1814
; %bb.1813:
	v_cvt_u32_f64_e32 v2, v[6:7]
	global_store_short v[0:1], v2, off
.LBB63_1814:
	s_mov_b64 s[12:13], 0
.LBB63_1815:
	s_andn2_b64 vcc, exec, s[12:13]
	s_cbranch_vccnz .LBB63_1823
; %bb.1816:
	v_cvt_f32_f64_e32 v2, v[6:7]
	v_and_b32_e32 v3, 0x7fffffff, v2
	s_mov_b32 s4, 0x43800000
	v_cmp_gt_u32_e32 vcc, s4, v3
	v_mov_b32_e32 v8, 0x80
	s_and_saveexec_b64 s[12:13], vcc
	s_cbranch_execz .LBB63_1822
; %bb.1817:
	s_mov_b32 s4, 0x3bffffff
	v_cmp_lt_u32_e32 vcc, s4, v3
	s_mov_b64 s[14:15], 0
                                        ; implicit-def: $vgpr3
	s_and_saveexec_b64 s[16:17], vcc
	s_xor_b64 s[16:17], exec, s[16:17]
	s_cbranch_execz .LBB63_1918
; %bb.1818:
	v_bfe_u32 v3, v2, 20, 1
	s_mov_b32 s4, 0x487ffff
	v_add3_u32 v3, v2, v3, s4
	s_mov_b64 s[14:15], exec
	v_lshrrev_b32_e32 v3, 20, v3
	s_or_saveexec_b64 s[16:17], s[16:17]
                                        ; implicit-def: $sgpr4
	s_xor_b64 exec, exec, s[16:17]
	s_cbranch_execnz .LBB63_1919
.LBB63_1819:
	s_or_b64 exec, exec, s[16:17]
	v_mov_b32_e32 v8, s4
	s_and_saveexec_b64 s[16:17], s[14:15]
.LBB63_1820:
	v_lshrrev_b32_e32 v2, 24, v2
	s_movk_i32 s4, 0x80
	v_and_or_b32 v8, v2, s4, v3
.LBB63_1821:
	s_or_b64 exec, exec, s[16:17]
.LBB63_1822:
	s_or_b64 exec, exec, s[12:13]
	global_store_byte v[0:1], v8, off
.LBB63_1823:
	s_mov_b64 s[12:13], -1
.LBB63_1824:
	s_mov_b64 s[14:15], 0
.LBB63_1825:
	s_and_b64 vcc, exec, s[14:15]
	s_cbranch_vccz .LBB63_1865
; %bb.1826:
	v_cmp_gt_i16_e64 s[14:15], s18, 22
	s_mov_b64 s[10:11], -1
	s_and_b64 vcc, exec, s[14:15]
	s_cbranch_vccz .LBB63_1858
; %bb.1827:
	v_cmp_lt_i16_e64 s[12:13], s18, 24
	s_and_b64 vcc, exec, s[12:13]
	s_cbranch_vccnz .LBB63_1847
; %bb.1828:
	v_cmp_gt_i16_e64 s[12:13], s18, 24
	s_and_b64 vcc, exec, s[12:13]
	s_cbranch_vccz .LBB63_1836
; %bb.1829:
	v_cvt_f32_f64_e32 v2, v[6:7]
	v_and_b32_e32 v3, 0x7fffffff, v2
	s_mov_b32 s4, 0x47800000
	v_cmp_gt_u32_e32 vcc, s4, v3
	v_mov_b32_e32 v8, 0x80
	s_and_saveexec_b64 s[10:11], vcc
	s_cbranch_execz .LBB63_1835
; %bb.1830:
	s_mov_b32 s4, 0x37ffffff
	v_cmp_lt_u32_e32 vcc, s4, v3
	s_mov_b64 s[12:13], 0
                                        ; implicit-def: $vgpr3
	s_and_saveexec_b64 s[14:15], vcc
	s_xor_b64 s[14:15], exec, s[14:15]
	s_cbranch_execz .LBB63_1922
; %bb.1831:
	v_bfe_u32 v3, v2, 21, 1
	s_mov_b32 s4, 0x88fffff
	v_add3_u32 v3, v2, v3, s4
	s_mov_b64 s[12:13], exec
	v_lshrrev_b32_e32 v3, 21, v3
	s_or_saveexec_b64 s[14:15], s[14:15]
                                        ; implicit-def: $sgpr4
	s_xor_b64 exec, exec, s[14:15]
	s_cbranch_execnz .LBB63_1923
.LBB63_1832:
	s_or_b64 exec, exec, s[14:15]
	v_mov_b32_e32 v8, s4
	s_and_saveexec_b64 s[14:15], s[12:13]
.LBB63_1833:
	v_lshrrev_b32_e32 v2, 24, v2
	s_movk_i32 s4, 0x80
	v_and_or_b32 v8, v2, s4, v3
.LBB63_1834:
	s_or_b64 exec, exec, s[14:15]
.LBB63_1835:
	s_or_b64 exec, exec, s[10:11]
	s_mov_b64 s[10:11], 0
	global_store_byte v[0:1], v8, off
.LBB63_1836:
	s_and_b64 vcc, exec, s[10:11]
	s_cbranch_vccz .LBB63_1846
; %bb.1837:
	v_cvt_f32_f64_e32 v2, v[6:7]
	v_and_b32_e32 v8, 0x7fffffff, v2
	s_mov_b32 s4, 0x43f00000
	v_cmp_gt_u32_e32 vcc, s4, v8
                                        ; implicit-def: $vgpr3
	s_and_saveexec_b64 s[10:11], vcc
	s_xor_b64 s[10:11], exec, s[10:11]
	s_cbranch_execz .LBB63_1843
; %bb.1838:
	s_mov_b32 s4, 0x3c7fffff
	v_cmp_lt_u32_e32 vcc, s4, v8
                                        ; implicit-def: $vgpr3
	s_and_saveexec_b64 s[12:13], vcc
	s_xor_b64 s[12:13], exec, s[12:13]
; %bb.1839:
	v_bfe_u32 v3, v2, 20, 1
	s_mov_b32 s4, 0x407ffff
	v_add3_u32 v3, v2, v3, s4
	v_lshrrev_b32_e32 v8, 20, v3
	v_and_b32_e32 v3, 0xff00000, v3
	s_mov_b32 s4, 0x7f00000
	v_mov_b32_e32 v9, 0x7e
	v_cmp_ne_u32_e32 vcc, s4, v3
	v_cndmask_b32_e32 v3, v9, v8, vcc
; %bb.1840:
	s_andn2_saveexec_b64 s[12:13], s[12:13]
; %bb.1841:
	s_mov_b32 s4, 0x46800000
	v_add_f32_e64 v3, |v2|, s4
; %bb.1842:
	s_or_b64 exec, exec, s[12:13]
                                        ; implicit-def: $vgpr8
.LBB63_1843:
	s_andn2_saveexec_b64 s[10:11], s[10:11]
; %bb.1844:
	s_mov_b32 s4, 0x7f800000
	v_mov_b32_e32 v3, 0x7e
	v_mov_b32_e32 v9, 0x7f
	v_cmp_lt_u32_e32 vcc, s4, v8
	v_cndmask_b32_e32 v3, v3, v9, vcc
; %bb.1845:
	s_or_b64 exec, exec, s[10:11]
	v_lshrrev_b32_e32 v2, 24, v2
	s_movk_i32 s4, 0x80
	v_and_or_b32 v2, v2, s4, v3
	global_store_byte v[0:1], v2, off
.LBB63_1846:
	s_mov_b64 s[10:11], 0
.LBB63_1847:
	s_andn2_b64 vcc, exec, s[10:11]
	s_cbranch_vccnz .LBB63_1857
; %bb.1848:
	v_cvt_f32_f64_e32 v2, v[6:7]
	v_and_b32_e32 v8, 0x7fffffff, v2
	s_mov_b32 s4, 0x47800000
	v_cmp_gt_u32_e32 vcc, s4, v8
                                        ; implicit-def: $vgpr3
	s_and_saveexec_b64 s[10:11], vcc
	s_xor_b64 s[10:11], exec, s[10:11]
	s_cbranch_execz .LBB63_1854
; %bb.1849:
	s_mov_b32 s4, 0x387fffff
	v_cmp_lt_u32_e32 vcc, s4, v8
                                        ; implicit-def: $vgpr3
	s_and_saveexec_b64 s[12:13], vcc
	s_xor_b64 s[12:13], exec, s[12:13]
; %bb.1850:
	v_bfe_u32 v3, v2, 21, 1
	s_mov_b32 s4, 0x80fffff
	v_add3_u32 v3, v2, v3, s4
	v_lshrrev_b32_e32 v3, 21, v3
; %bb.1851:
	s_andn2_saveexec_b64 s[12:13], s[12:13]
; %bb.1852:
	s_mov_b32 s4, 0x43000000
	v_add_f32_e64 v3, |v2|, s4
; %bb.1853:
	s_or_b64 exec, exec, s[12:13]
                                        ; implicit-def: $vgpr8
.LBB63_1854:
	s_andn2_saveexec_b64 s[10:11], s[10:11]
; %bb.1855:
	s_mov_b32 s4, 0x7f800000
	v_mov_b32_e32 v3, 0x7c
	v_mov_b32_e32 v9, 0x7f
	v_cmp_lt_u32_e32 vcc, s4, v8
	v_cndmask_b32_e32 v3, v3, v9, vcc
; %bb.1856:
	s_or_b64 exec, exec, s[10:11]
	v_lshrrev_b32_e32 v2, 24, v2
	s_movk_i32 s4, 0x80
	v_and_or_b32 v2, v2, s4, v3
	global_store_byte v[0:1], v2, off
.LBB63_1857:
	s_mov_b64 s[10:11], 0
	s_mov_b64 s[12:13], -1
.LBB63_1858:
	s_andn2_b64 vcc, exec, s[10:11]
	s_mov_b64 s[10:11], 0
	s_cbranch_vccnz .LBB63_1865
; %bb.1859:
	v_cmp_gt_i16_e64 s[10:11], s18, 14
	s_mov_b64 s[14:15], -1
	s_and_b64 vcc, exec, s[10:11]
	s_cbranch_vccz .LBB63_1863
; %bb.1860:
	v_cmp_eq_u16_e64 s[10:11], s18, 15
	s_mov_b64 s[0:1], -1
	s_and_b64 vcc, exec, s[10:11]
	s_cbranch_vccz .LBB63_1862
; %bb.1861:
	v_cvt_f32_f64_e32 v2, v[6:7]
	v_bfe_u32 v3, v2, 16, 1
	s_movk_i32 s0, 0x7fff
	v_add3_u32 v3, v2, v3, s0
	v_lshrrev_b32_e32 v3, 16, v3
	v_mov_b32_e32 v8, 0x7fc0
	v_cmp_o_f32_e32 vcc, v2, v2
	v_cndmask_b32_e32 v2, v8, v3, vcc
	global_store_short v[0:1], v2, off
	s_mov_b64 s[0:1], 0
	s_mov_b64 s[12:13], -1
.LBB63_1862:
	s_mov_b64 s[14:15], 0
.LBB63_1863:
	s_mov_b64 s[10:11], 0
	s_and_b64 vcc, exec, s[14:15]
	s_cbranch_vccz .LBB63_1865
; %bb.1864:
	v_cmp_ne_u16_e64 s[0:1], s18, 11
	s_mov_b64 s[10:11], -1
.LBB63_1865:
	s_and_b64 vcc, exec, s[0:1]
	s_cbranch_vccnz .LBB63_1921
; %bb.1866:
	s_andn2_b64 vcc, exec, s[10:11]
	s_cbranch_vccnz .LBB63_1868
.LBB63_1867:
	v_cmp_neq_f64_e32 vcc, 0, v[6:7]
	v_cndmask_b32_e64 v2, 0, 1, vcc
	s_mov_b64 s[12:13], -1
	global_store_byte v[0:1], v2, off
.LBB63_1868:
	s_mov_b64 s[0:1], 0
.LBB63_1869:
	s_and_b64 vcc, exec, s[0:1]
	s_cbranch_vccz .LBB63_1908
; %bb.1870:
	v_cmp_lt_i16_e64 s[10:11], s18, 5
	s_mov_b64 s[0:1], -1
	s_and_b64 vcc, exec, s[10:11]
	s_cbranch_vccnz .LBB63_1891
; %bb.1871:
	v_cmp_lt_i16_e64 s[10:11], s18, 8
	s_and_b64 vcc, exec, s[10:11]
	s_cbranch_vccnz .LBB63_1881
; %bb.1872:
	v_cmp_lt_i16_e64 s[10:11], s18, 9
	s_and_b64 vcc, exec, s[10:11]
	s_cbranch_vccnz .LBB63_1878
; %bb.1873:
	v_cmp_gt_i16_e64 s[10:11], s18, 9
	s_and_b64 vcc, exec, s[10:11]
	s_cbranch_vccz .LBB63_1875
; %bb.1874:
	v_mov_b32_e32 v8, 0
	v_mov_b32_e32 v9, v8
	global_store_dwordx4 v[0:1], v[6:9], off
	s_mov_b64 s[0:1], 0
.LBB63_1875:
	s_andn2_b64 vcc, exec, s[0:1]
	s_cbranch_vccnz .LBB63_1877
; %bb.1876:
	v_cvt_f32_f64_e32 v2, v[6:7]
	v_mov_b32_e32 v3, 0
	global_store_dwordx2 v[0:1], v[2:3], off
.LBB63_1877:
	s_mov_b64 s[0:1], 0
.LBB63_1878:
	s_andn2_b64 vcc, exec, s[0:1]
	s_cbranch_vccnz .LBB63_1880
; %bb.1879:
	v_cvt_f32_f64_e32 v2, v[6:7]
	v_cvt_f16_f32_e32 v2, v2
	global_store_dword v[0:1], v2, off
.LBB63_1880:
	s_mov_b64 s[0:1], 0
.LBB63_1881:
	s_andn2_b64 vcc, exec, s[0:1]
	s_cbranch_vccnz .LBB63_1890
; %bb.1882:
	v_cmp_lt_i16_e64 s[10:11], s18, 6
	s_mov_b64 s[0:1], -1
	s_and_b64 vcc, exec, s[10:11]
	s_cbranch_vccnz .LBB63_1888
; %bb.1883:
	v_cmp_gt_i16_e64 s[10:11], s18, 6
	s_and_b64 vcc, exec, s[10:11]
	s_cbranch_vccz .LBB63_1885
; %bb.1884:
	global_store_dwordx2 v[0:1], v[6:7], off
	s_mov_b64 s[0:1], 0
.LBB63_1885:
	s_andn2_b64 vcc, exec, s[0:1]
	s_cbranch_vccnz .LBB63_1887
; %bb.1886:
	v_cvt_f32_f64_e32 v2, v[6:7]
	global_store_dword v[0:1], v2, off
.LBB63_1887:
	s_mov_b64 s[0:1], 0
.LBB63_1888:
	s_andn2_b64 vcc, exec, s[0:1]
	s_cbranch_vccnz .LBB63_1890
; %bb.1889:
	v_cvt_f32_f64_e32 v2, v[6:7]
	v_cvt_f16_f32_e32 v2, v2
	global_store_short v[0:1], v2, off
.LBB63_1890:
	s_mov_b64 s[0:1], 0
.LBB63_1891:
	s_andn2_b64 vcc, exec, s[0:1]
	s_cbranch_vccnz .LBB63_1907
; %bb.1892:
	v_cmp_lt_i16_e64 s[10:11], s18, 2
	s_mov_b64 s[0:1], -1
	s_and_b64 vcc, exec, s[10:11]
	s_cbranch_vccnz .LBB63_1902
; %bb.1893:
	v_cmp_lt_i16_e64 s[10:11], s18, 3
	s_and_b64 vcc, exec, s[10:11]
	s_cbranch_vccnz .LBB63_1899
; %bb.1894:
	v_cmp_gt_i16_e64 s[10:11], s18, 3
	s_and_b64 vcc, exec, s[10:11]
	s_cbranch_vccz .LBB63_1896
; %bb.1895:
	v_trunc_f64_e32 v[2:3], v[6:7]
	s_movk_i32 s0, 0xffe0
	v_ldexp_f64 v[8:9], v[2:3], s0
	v_floor_f64_e32 v[8:9], v[8:9]
	v_fmac_f64_e32 v[2:3], 0xc1f00000, v[8:9]
	v_cvt_i32_f64_e32 v17, v[8:9]
	v_cvt_u32_f64_e32 v16, v[2:3]
	global_store_dwordx2 v[0:1], v[16:17], off
	s_mov_b64 s[0:1], 0
.LBB63_1896:
	s_andn2_b64 vcc, exec, s[0:1]
	s_cbranch_vccnz .LBB63_1898
; %bb.1897:
	v_cvt_i32_f64_e32 v2, v[6:7]
	global_store_dword v[0:1], v2, off
.LBB63_1898:
	s_mov_b64 s[0:1], 0
.LBB63_1899:
	s_andn2_b64 vcc, exec, s[0:1]
	s_cbranch_vccnz .LBB63_1901
; %bb.1900:
	v_cvt_i32_f64_e32 v2, v[6:7]
	global_store_short v[0:1], v2, off
.LBB63_1901:
	s_mov_b64 s[0:1], 0
.LBB63_1902:
	s_andn2_b64 vcc, exec, s[0:1]
	s_cbranch_vccnz .LBB63_1907
; %bb.1903:
	v_cmp_gt_i16_e64 s[10:11], s18, 0
	s_mov_b64 s[0:1], -1
	s_and_b64 vcc, exec, s[10:11]
	s_cbranch_vccz .LBB63_1905
; %bb.1904:
	v_cvt_i32_f64_e32 v2, v[6:7]
	global_store_byte v[0:1], v2, off
	s_mov_b64 s[0:1], 0
.LBB63_1905:
	s_andn2_b64 vcc, exec, s[0:1]
	s_cbranch_vccnz .LBB63_1907
; %bb.1906:
	v_trunc_f64_e32 v[2:3], v[6:7]
	s_movk_i32 s0, 0xffe0
	v_ldexp_f64 v[6:7], v[2:3], s0
	v_floor_f64_e32 v[6:7], v[6:7]
	v_fmac_f64_e32 v[2:3], 0xc1f00000, v[6:7]
	v_cvt_u32_f64_e32 v2, v[2:3]
	global_store_byte v[0:1], v2, off
.LBB63_1907:
	s_mov_b64 s[12:13], -1
.LBB63_1908:
	s_andn2_b64 vcc, exec, s[12:13]
	s_cbranch_vccnz .LBB63_2044
; %bb.1909:
	s_brev_b32 s0, -2
	v_mov_b32_e32 v0, s5
	v_bfi_b32 v11, s0, v11, v0
	v_mov_b32_e32 v1, s9
	v_add_co_u32_e32 v0, vcc, s8, v12
	v_addc_co_u32_e32 v1, vcc, 0, v1, vcc
	s_and_b64 vcc, exec, s[6:7]
	s_cbranch_vccnz .LBB63_1916
; %bb.1910:
	v_cmp_gt_i16_e64 s[0:1], s18, 25
	s_mov_b64 s[14:15], -1
	s_mov_b64 s[10:11], 0
	s_and_b64 vcc, exec, s[0:1]
	s_mov_b64 s[12:13], 0
	s_mov_b64 s[0:1], 0
	s_cbranch_vccz .LBB63_1952
; %bb.1911:
	v_cmp_gt_i16_e64 s[0:1], s18, 28
	s_and_b64 vcc, exec, s[0:1]
	s_cbranch_vccz .LBB63_1917
; %bb.1912:
	v_cmp_gt_i16_e64 s[0:1], s18, 43
	s_and_b64 vcc, exec, s[0:1]
	;; [unrolled: 4-line block ×3, first 2 shown]
	s_cbranch_vccz .LBB63_1924
; %bb.1914:
	v_cmp_eq_u16_e64 s[12:13], s18, 46
	s_mov_b64 s[0:1], -1
	s_mov_b64 s[14:15], 0
	s_and_b64 vcc, exec, s[12:13]
	s_mov_b64 s[12:13], 0
	s_cbranch_vccz .LBB63_1925
; %bb.1915:
	v_cvt_f32_f64_e32 v2, v[10:11]
	v_bfe_u32 v3, v2, 16, 1
	s_movk_i32 s0, 0x7fff
	v_add3_u32 v3, v2, v3, s0
	v_lshrrev_b32_e32 v3, 16, v3
	v_mov_b32_e32 v6, 0x7fc0
	v_cmp_o_f32_e32 vcc, v2, v2
	v_cndmask_b32_e32 v2, v6, v3, vcc
	global_store_dword v[0:1], v2, off
	s_mov_b64 s[0:1], 0
	s_mov_b64 s[12:13], -1
	s_branch .LBB63_1925
.LBB63_1916:
	s_mov_b64 s[0:1], -1
	s_mov_b64 s[12:13], 0
	s_branch .LBB63_1996
.LBB63_1917:
	s_mov_b64 s[0:1], 0
	s_branch .LBB63_1935
.LBB63_1918:
	s_or_saveexec_b64 s[16:17], s[16:17]
                                        ; implicit-def: $sgpr4
	s_xor_b64 exec, exec, s[16:17]
	s_cbranch_execz .LBB63_1819
.LBB63_1919:
	s_mov_b32 s4, 0x46000000
	v_add_f32_e64 v3, |v2|, s4
	v_and_b32_e32 v3, 0xff, v3
	v_cmp_ne_u32_e32 vcc, 0, v3
	s_andn2_b64 s[14:15], s[14:15], exec
	s_and_b64 s[20:21], vcc, exec
	s_mov_b32 s4, 0
	s_or_b64 s[14:15], s[14:15], s[20:21]
	s_or_b64 exec, exec, s[16:17]
	v_mov_b32_e32 v8, s4
	s_and_saveexec_b64 s[16:17], s[14:15]
	s_cbranch_execnz .LBB63_1820
	s_branch .LBB63_1821
.LBB63_1920:
	s_mov_b64 s[0:1], 0
	s_branch .LBB63_1931
.LBB63_1921:
	s_trap 2
	s_or_b64 s[2:3], s[2:3], exec
	s_cbranch_execz .LBB63_1867
	s_branch .LBB63_1868
.LBB63_1922:
	s_or_saveexec_b64 s[14:15], s[14:15]
                                        ; implicit-def: $sgpr4
	s_xor_b64 exec, exec, s[14:15]
	s_cbranch_execz .LBB63_1832
.LBB63_1923:
	s_mov_b32 s4, 0x42800000
	v_add_f32_e64 v3, |v2|, s4
	v_and_b32_e32 v3, 0xff, v3
	v_cmp_ne_u32_e32 vcc, 0, v3
	s_andn2_b64 s[12:13], s[12:13], exec
	s_and_b64 s[16:17], vcc, exec
	s_mov_b32 s4, 0
	s_or_b64 s[12:13], s[12:13], s[16:17]
	s_or_b64 exec, exec, s[14:15]
	v_mov_b32_e32 v8, s4
	s_and_saveexec_b64 s[14:15], s[12:13]
	s_cbranch_execnz .LBB63_1833
	s_branch .LBB63_1834
.LBB63_1924:
	s_mov_b64 s[0:1], 0
.LBB63_1925:
	s_and_b64 vcc, exec, s[14:15]
	s_cbranch_vccz .LBB63_1930
; %bb.1926:
	v_cmp_eq_u16_e64 s[14:15], s18, 44
	s_mov_b64 s[0:1], -1
	s_and_b64 vcc, exec, s[14:15]
	s_cbranch_vccz .LBB63_1930
; %bb.1927:
	v_cvt_f32_f64_e32 v2, v[10:11]
	v_bfe_u32 v3, v2, 23, 8
	s_movk_i32 s0, 0xff
	v_cmp_ne_u32_e32 vcc, s0, v3
	v_mov_b32_e32 v6, 0xff
	s_and_saveexec_b64 s[12:13], vcc
; %bb.1928:
	s_mov_b32 s0, 0x3fffff
	v_lshrrev_b32_e32 v6, 23, v2
	v_and_b32_e32 v7, 0x400000, v2
	v_and_or_b32 v2, v2, s0, v3
	v_cmp_ne_u32_e32 vcc, 0, v7
	v_cmp_ne_u32_e64 s[0:1], 0, v2
	s_and_b64 s[0:1], vcc, s[0:1]
	v_cndmask_b32_e64 v2, 0, 1, s[0:1]
	v_add_u32_e32 v6, v6, v2
; %bb.1929:
	s_or_b64 exec, exec, s[12:13]
	s_mov_b64 s[0:1], 0
	s_mov_b64 s[12:13], -1
	global_store_byte v[0:1], v6, off
.LBB63_1930:
	s_mov_b64 s[14:15], 0
.LBB63_1931:
	s_and_b64 vcc, exec, s[14:15]
	s_cbranch_vccz .LBB63_1934
; %bb.1932:
	v_cmp_eq_u16_e64 s[14:15], s18, 29
	s_mov_b64 s[0:1], -1
	s_and_b64 vcc, exec, s[14:15]
	s_cbranch_vccz .LBB63_1934
; %bb.1933:
	v_trunc_f64_e32 v[2:3], v[10:11]
	s_movk_i32 s0, 0xffe0
	v_ldexp_f64 v[6:7], v[2:3], s0
	v_floor_f64_e32 v[6:7], v[6:7]
	v_fmac_f64_e32 v[2:3], 0xc1f00000, v[6:7]
	v_cvt_u32_f64_e32 v9, v[6:7]
	v_cvt_u32_f64_e32 v8, v[2:3]
	global_store_dwordx2 v[0:1], v[8:9], off
	s_mov_b64 s[0:1], 0
	s_mov_b64 s[12:13], -1
.LBB63_1934:
	s_mov_b64 s[14:15], 0
.LBB63_1935:
	s_and_b64 vcc, exec, s[14:15]
	s_cbranch_vccz .LBB63_1951
; %bb.1936:
	v_cmp_lt_i16_e64 s[14:15], s18, 27
	s_mov_b64 s[12:13], -1
	s_and_b64 vcc, exec, s[14:15]
	s_cbranch_vccnz .LBB63_1942
; %bb.1937:
	v_cmp_gt_i16_e64 s[14:15], s18, 27
	s_and_b64 vcc, exec, s[14:15]
	v_cvt_u32_f64_e32 v2, v[10:11]
	s_cbranch_vccz .LBB63_1939
; %bb.1938:
	s_mov_b64 s[12:13], 0
	global_store_dword v[0:1], v2, off
.LBB63_1939:
	s_andn2_b64 vcc, exec, s[12:13]
	s_cbranch_vccnz .LBB63_1941
; %bb.1940:
	global_store_short v[0:1], v2, off
.LBB63_1941:
	s_mov_b64 s[12:13], 0
.LBB63_1942:
	s_andn2_b64 vcc, exec, s[12:13]
	s_cbranch_vccnz .LBB63_1950
; %bb.1943:
	v_cvt_f32_f64_e32 v2, v[10:11]
	v_and_b32_e32 v3, 0x7fffffff, v2
	s_mov_b32 s4, 0x43800000
	v_cmp_gt_u32_e32 vcc, s4, v3
	v_mov_b32_e32 v6, 0x80
	s_and_saveexec_b64 s[12:13], vcc
	s_cbranch_execz .LBB63_1949
; %bb.1944:
	s_mov_b32 s4, 0x3bffffff
	v_cmp_lt_u32_e32 vcc, s4, v3
	s_mov_b64 s[14:15], 0
                                        ; implicit-def: $vgpr3
	s_and_saveexec_b64 s[16:17], vcc
	s_xor_b64 s[16:17], exec, s[16:17]
	s_cbranch_execz .LBB63_2091
; %bb.1945:
	v_bfe_u32 v3, v2, 20, 1
	s_mov_b32 s4, 0x487ffff
	v_add3_u32 v3, v2, v3, s4
	s_mov_b64 s[14:15], exec
	v_lshrrev_b32_e32 v3, 20, v3
	s_or_saveexec_b64 s[16:17], s[16:17]
                                        ; implicit-def: $sgpr4
	s_xor_b64 exec, exec, s[16:17]
	s_cbranch_execnz .LBB63_2092
.LBB63_1946:
	s_or_b64 exec, exec, s[16:17]
	v_mov_b32_e32 v6, s4
	s_and_saveexec_b64 s[16:17], s[14:15]
.LBB63_1947:
	v_lshrrev_b32_e32 v2, 24, v2
	s_movk_i32 s4, 0x80
	v_and_or_b32 v6, v2, s4, v3
.LBB63_1948:
	s_or_b64 exec, exec, s[16:17]
.LBB63_1949:
	s_or_b64 exec, exec, s[12:13]
	global_store_byte v[0:1], v6, off
.LBB63_1950:
	s_mov_b64 s[12:13], -1
.LBB63_1951:
	s_mov_b64 s[14:15], 0
.LBB63_1952:
	s_and_b64 vcc, exec, s[14:15]
	s_cbranch_vccz .LBB63_1992
; %bb.1953:
	v_cmp_gt_i16_e64 s[14:15], s18, 22
	s_mov_b64 s[10:11], -1
	s_and_b64 vcc, exec, s[14:15]
	s_cbranch_vccz .LBB63_1985
; %bb.1954:
	v_cmp_lt_i16_e64 s[12:13], s18, 24
	s_and_b64 vcc, exec, s[12:13]
	s_cbranch_vccnz .LBB63_1974
; %bb.1955:
	v_cmp_gt_i16_e64 s[12:13], s18, 24
	s_and_b64 vcc, exec, s[12:13]
	s_cbranch_vccz .LBB63_1963
; %bb.1956:
	v_cvt_f32_f64_e32 v2, v[10:11]
	v_and_b32_e32 v3, 0x7fffffff, v2
	s_mov_b32 s4, 0x47800000
	v_cmp_gt_u32_e32 vcc, s4, v3
	v_mov_b32_e32 v6, 0x80
	s_and_saveexec_b64 s[10:11], vcc
	s_cbranch_execz .LBB63_1962
; %bb.1957:
	s_mov_b32 s4, 0x37ffffff
	v_cmp_lt_u32_e32 vcc, s4, v3
	s_mov_b64 s[12:13], 0
                                        ; implicit-def: $vgpr3
	s_and_saveexec_b64 s[14:15], vcc
	s_xor_b64 s[14:15], exec, s[14:15]
	s_cbranch_execz .LBB63_2095
; %bb.1958:
	v_bfe_u32 v3, v2, 21, 1
	s_mov_b32 s4, 0x88fffff
	v_add3_u32 v3, v2, v3, s4
	s_mov_b64 s[12:13], exec
	v_lshrrev_b32_e32 v3, 21, v3
	s_or_saveexec_b64 s[14:15], s[14:15]
                                        ; implicit-def: $sgpr4
	s_xor_b64 exec, exec, s[14:15]
	s_cbranch_execnz .LBB63_2096
.LBB63_1959:
	s_or_b64 exec, exec, s[14:15]
	v_mov_b32_e32 v6, s4
	s_and_saveexec_b64 s[14:15], s[12:13]
.LBB63_1960:
	v_lshrrev_b32_e32 v2, 24, v2
	s_movk_i32 s4, 0x80
	v_and_or_b32 v6, v2, s4, v3
.LBB63_1961:
	s_or_b64 exec, exec, s[14:15]
.LBB63_1962:
	s_or_b64 exec, exec, s[10:11]
	s_mov_b64 s[10:11], 0
	global_store_byte v[0:1], v6, off
.LBB63_1963:
	s_and_b64 vcc, exec, s[10:11]
	s_cbranch_vccz .LBB63_1973
; %bb.1964:
	v_cvt_f32_f64_e32 v2, v[10:11]
	v_and_b32_e32 v6, 0x7fffffff, v2
	s_mov_b32 s4, 0x43f00000
	v_cmp_gt_u32_e32 vcc, s4, v6
                                        ; implicit-def: $vgpr3
	s_and_saveexec_b64 s[10:11], vcc
	s_xor_b64 s[10:11], exec, s[10:11]
	s_cbranch_execz .LBB63_1970
; %bb.1965:
	s_mov_b32 s4, 0x3c7fffff
	v_cmp_lt_u32_e32 vcc, s4, v6
                                        ; implicit-def: $vgpr3
	s_and_saveexec_b64 s[12:13], vcc
	s_xor_b64 s[12:13], exec, s[12:13]
; %bb.1966:
	v_bfe_u32 v3, v2, 20, 1
	s_mov_b32 s4, 0x407ffff
	v_add3_u32 v3, v2, v3, s4
	v_lshrrev_b32_e32 v6, 20, v3
	v_and_b32_e32 v3, 0xff00000, v3
	s_mov_b32 s4, 0x7f00000
	v_mov_b32_e32 v7, 0x7e
	v_cmp_ne_u32_e32 vcc, s4, v3
	v_cndmask_b32_e32 v3, v7, v6, vcc
; %bb.1967:
	s_andn2_saveexec_b64 s[12:13], s[12:13]
; %bb.1968:
	s_mov_b32 s4, 0x46800000
	v_add_f32_e64 v3, |v2|, s4
; %bb.1969:
	s_or_b64 exec, exec, s[12:13]
                                        ; implicit-def: $vgpr6
.LBB63_1970:
	s_andn2_saveexec_b64 s[10:11], s[10:11]
; %bb.1971:
	s_mov_b32 s4, 0x7f800000
	v_mov_b32_e32 v3, 0x7e
	v_mov_b32_e32 v7, 0x7f
	v_cmp_lt_u32_e32 vcc, s4, v6
	v_cndmask_b32_e32 v3, v3, v7, vcc
; %bb.1972:
	s_or_b64 exec, exec, s[10:11]
	v_lshrrev_b32_e32 v2, 24, v2
	s_movk_i32 s4, 0x80
	v_and_or_b32 v2, v2, s4, v3
	global_store_byte v[0:1], v2, off
.LBB63_1973:
	s_mov_b64 s[10:11], 0
.LBB63_1974:
	s_andn2_b64 vcc, exec, s[10:11]
	s_cbranch_vccnz .LBB63_1984
; %bb.1975:
	v_cvt_f32_f64_e32 v2, v[10:11]
	v_and_b32_e32 v6, 0x7fffffff, v2
	s_mov_b32 s4, 0x47800000
	v_cmp_gt_u32_e32 vcc, s4, v6
                                        ; implicit-def: $vgpr3
	s_and_saveexec_b64 s[10:11], vcc
	s_xor_b64 s[10:11], exec, s[10:11]
	s_cbranch_execz .LBB63_1981
; %bb.1976:
	s_mov_b32 s4, 0x387fffff
	v_cmp_lt_u32_e32 vcc, s4, v6
                                        ; implicit-def: $vgpr3
	s_and_saveexec_b64 s[12:13], vcc
	s_xor_b64 s[12:13], exec, s[12:13]
; %bb.1977:
	v_bfe_u32 v3, v2, 21, 1
	s_mov_b32 s4, 0x80fffff
	v_add3_u32 v3, v2, v3, s4
	v_lshrrev_b32_e32 v3, 21, v3
; %bb.1978:
	s_andn2_saveexec_b64 s[12:13], s[12:13]
; %bb.1979:
	s_mov_b32 s4, 0x43000000
	v_add_f32_e64 v3, |v2|, s4
; %bb.1980:
	s_or_b64 exec, exec, s[12:13]
                                        ; implicit-def: $vgpr6
.LBB63_1981:
	s_andn2_saveexec_b64 s[10:11], s[10:11]
; %bb.1982:
	s_mov_b32 s4, 0x7f800000
	v_mov_b32_e32 v3, 0x7c
	v_mov_b32_e32 v7, 0x7f
	v_cmp_lt_u32_e32 vcc, s4, v6
	v_cndmask_b32_e32 v3, v3, v7, vcc
; %bb.1983:
	s_or_b64 exec, exec, s[10:11]
	v_lshrrev_b32_e32 v2, 24, v2
	s_movk_i32 s4, 0x80
	v_and_or_b32 v2, v2, s4, v3
	global_store_byte v[0:1], v2, off
.LBB63_1984:
	s_mov_b64 s[10:11], 0
	s_mov_b64 s[12:13], -1
.LBB63_1985:
	s_andn2_b64 vcc, exec, s[10:11]
	s_mov_b64 s[10:11], 0
	s_cbranch_vccnz .LBB63_1992
; %bb.1986:
	v_cmp_gt_i16_e64 s[10:11], s18, 14
	s_mov_b64 s[14:15], -1
	s_and_b64 vcc, exec, s[10:11]
	s_cbranch_vccz .LBB63_1990
; %bb.1987:
	v_cmp_eq_u16_e64 s[10:11], s18, 15
	s_mov_b64 s[0:1], -1
	s_and_b64 vcc, exec, s[10:11]
	s_cbranch_vccz .LBB63_1989
; %bb.1988:
	v_cvt_f32_f64_e32 v2, v[10:11]
	v_bfe_u32 v3, v2, 16, 1
	s_movk_i32 s0, 0x7fff
	v_add3_u32 v3, v2, v3, s0
	v_lshrrev_b32_e32 v3, 16, v3
	v_mov_b32_e32 v6, 0x7fc0
	v_cmp_o_f32_e32 vcc, v2, v2
	v_cndmask_b32_e32 v2, v6, v3, vcc
	global_store_short v[0:1], v2, off
	s_mov_b64 s[0:1], 0
	s_mov_b64 s[12:13], -1
.LBB63_1989:
	s_mov_b64 s[14:15], 0
.LBB63_1990:
	s_mov_b64 s[10:11], 0
	s_and_b64 vcc, exec, s[14:15]
	s_cbranch_vccz .LBB63_1992
; %bb.1991:
	v_cmp_ne_u16_e64 s[0:1], s18, 11
	s_mov_b64 s[10:11], -1
.LBB63_1992:
	s_and_b64 vcc, exec, s[0:1]
	s_cbranch_vccnz .LBB63_2094
; %bb.1993:
	s_andn2_b64 vcc, exec, s[10:11]
	s_cbranch_vccnz .LBB63_1995
.LBB63_1994:
	v_cmp_neq_f64_e32 vcc, 0, v[10:11]
	v_cndmask_b32_e64 v2, 0, 1, vcc
	s_mov_b64 s[12:13], -1
	global_store_byte v[0:1], v2, off
.LBB63_1995:
	s_mov_b64 s[0:1], 0
.LBB63_1996:
	s_and_b64 vcc, exec, s[0:1]
	s_cbranch_vccz .LBB63_2035
; %bb.1997:
	v_cmp_lt_i16_e64 s[10:11], s18, 5
	s_mov_b64 s[0:1], -1
	s_and_b64 vcc, exec, s[10:11]
	s_cbranch_vccnz .LBB63_2018
; %bb.1998:
	v_cmp_lt_i16_e64 s[10:11], s18, 8
	s_and_b64 vcc, exec, s[10:11]
	s_cbranch_vccnz .LBB63_2008
; %bb.1999:
	v_cmp_lt_i16_e64 s[10:11], s18, 9
	s_and_b64 vcc, exec, s[10:11]
	s_cbranch_vccnz .LBB63_2005
; %bb.2000:
	v_cmp_gt_i16_e64 s[10:11], s18, 9
	s_and_b64 vcc, exec, s[10:11]
	s_cbranch_vccz .LBB63_2002
; %bb.2001:
	v_mov_b32_e32 v12, 0
	v_mov_b32_e32 v13, v12
	global_store_dwordx4 v[0:1], v[10:13], off
	s_mov_b64 s[0:1], 0
.LBB63_2002:
	s_andn2_b64 vcc, exec, s[0:1]
	s_cbranch_vccnz .LBB63_2004
; %bb.2003:
	v_cvt_f32_f64_e32 v2, v[10:11]
	v_mov_b32_e32 v3, 0
	global_store_dwordx2 v[0:1], v[2:3], off
.LBB63_2004:
	s_mov_b64 s[0:1], 0
.LBB63_2005:
	s_andn2_b64 vcc, exec, s[0:1]
	s_cbranch_vccnz .LBB63_2007
; %bb.2006:
	v_cvt_f32_f64_e32 v2, v[10:11]
	v_cvt_f16_f32_e32 v2, v2
	global_store_dword v[0:1], v2, off
.LBB63_2007:
	s_mov_b64 s[0:1], 0
.LBB63_2008:
	s_andn2_b64 vcc, exec, s[0:1]
	s_cbranch_vccnz .LBB63_2017
; %bb.2009:
	v_cmp_lt_i16_e64 s[10:11], s18, 6
	s_mov_b64 s[0:1], -1
	s_and_b64 vcc, exec, s[10:11]
	s_cbranch_vccnz .LBB63_2015
; %bb.2010:
	v_cmp_gt_i16_e64 s[10:11], s18, 6
	s_and_b64 vcc, exec, s[10:11]
	s_cbranch_vccz .LBB63_2012
; %bb.2011:
	global_store_dwordx2 v[0:1], v[10:11], off
	s_mov_b64 s[0:1], 0
.LBB63_2012:
	s_andn2_b64 vcc, exec, s[0:1]
	s_cbranch_vccnz .LBB63_2014
; %bb.2013:
	v_cvt_f32_f64_e32 v2, v[10:11]
	global_store_dword v[0:1], v2, off
.LBB63_2014:
	s_mov_b64 s[0:1], 0
.LBB63_2015:
	s_andn2_b64 vcc, exec, s[0:1]
	s_cbranch_vccnz .LBB63_2017
; %bb.2016:
	v_cvt_f32_f64_e32 v2, v[10:11]
	v_cvt_f16_f32_e32 v2, v2
	global_store_short v[0:1], v2, off
.LBB63_2017:
	s_mov_b64 s[0:1], 0
.LBB63_2018:
	s_andn2_b64 vcc, exec, s[0:1]
	s_cbranch_vccnz .LBB63_2034
; %bb.2019:
	v_cmp_lt_i16_e64 s[10:11], s18, 2
	s_mov_b64 s[0:1], -1
	s_and_b64 vcc, exec, s[10:11]
	s_cbranch_vccnz .LBB63_2029
; %bb.2020:
	v_cmp_lt_i16_e64 s[10:11], s18, 3
	s_and_b64 vcc, exec, s[10:11]
	s_cbranch_vccnz .LBB63_2026
; %bb.2021:
	v_cmp_gt_i16_e64 s[10:11], s18, 3
	s_and_b64 vcc, exec, s[10:11]
	s_cbranch_vccz .LBB63_2023
; %bb.2022:
	v_trunc_f64_e32 v[2:3], v[10:11]
	s_movk_i32 s0, 0xffe0
	v_ldexp_f64 v[6:7], v[2:3], s0
	v_floor_f64_e32 v[6:7], v[6:7]
	v_fmac_f64_e32 v[2:3], 0xc1f00000, v[6:7]
	v_cvt_i32_f64_e32 v9, v[6:7]
	v_cvt_u32_f64_e32 v8, v[2:3]
	global_store_dwordx2 v[0:1], v[8:9], off
	s_mov_b64 s[0:1], 0
.LBB63_2023:
	s_andn2_b64 vcc, exec, s[0:1]
	s_cbranch_vccnz .LBB63_2025
; %bb.2024:
	v_cvt_i32_f64_e32 v2, v[10:11]
	global_store_dword v[0:1], v2, off
.LBB63_2025:
	s_mov_b64 s[0:1], 0
.LBB63_2026:
	s_andn2_b64 vcc, exec, s[0:1]
	s_cbranch_vccnz .LBB63_2028
; %bb.2027:
	v_cvt_i32_f64_e32 v2, v[10:11]
	global_store_short v[0:1], v2, off
.LBB63_2028:
	s_mov_b64 s[0:1], 0
.LBB63_2029:
	s_andn2_b64 vcc, exec, s[0:1]
	s_cbranch_vccnz .LBB63_2034
; %bb.2030:
	v_cmp_gt_i16_e64 s[10:11], s18, 0
	s_mov_b64 s[0:1], -1
	s_and_b64 vcc, exec, s[10:11]
	s_cbranch_vccz .LBB63_2032
; %bb.2031:
	v_cvt_i32_f64_e32 v2, v[10:11]
	global_store_byte v[0:1], v2, off
	s_mov_b64 s[0:1], 0
.LBB63_2032:
	s_andn2_b64 vcc, exec, s[0:1]
	s_cbranch_vccnz .LBB63_2034
; %bb.2033:
	v_trunc_f64_e32 v[2:3], v[10:11]
	s_movk_i32 s0, 0xffe0
	v_ldexp_f64 v[6:7], v[2:3], s0
	v_floor_f64_e32 v[6:7], v[6:7]
	v_fmac_f64_e32 v[2:3], 0xc1f00000, v[6:7]
	v_cvt_u32_f64_e32 v2, v[2:3]
	global_store_byte v[0:1], v2, off
.LBB63_2034:
	s_mov_b64 s[12:13], -1
.LBB63_2035:
	s_andn2_b64 vcc, exec, s[12:13]
	s_cbranch_vccnz .LBB63_2044
; %bb.2036:
	s_brev_b32 s0, -2
	v_mov_b32_e32 v0, s5
	v_bfi_b32 v5, s0, v5, v0
	v_mov_b32_e32 v1, s9
	v_add_co_u32_e32 v0, vcc, s8, v14
	v_addc_co_u32_e32 v1, vcc, 0, v1, vcc
	s_and_b64 vcc, exec, s[6:7]
	s_cbranch_vccnz .LBB63_2089
; %bb.2037:
	v_cmp_gt_i16_e64 s[0:1], s18, 25
	s_mov_b64 s[6:7], -1
	s_mov_b64 s[4:5], 0
	s_and_b64 vcc, exec, s[0:1]
	s_mov_b64 s[0:1], 0
	s_cbranch_vccz .LBB63_2124
; %bb.2038:
	v_cmp_gt_i16_e64 s[0:1], s18, 28
	s_and_b64 vcc, exec, s[0:1]
	s_cbranch_vccz .LBB63_2090
; %bb.2039:
	v_cmp_gt_i16_e64 s[0:1], s18, 43
	s_and_b64 vcc, exec, s[0:1]
	;; [unrolled: 4-line block ×3, first 2 shown]
	s_cbranch_vccz .LBB63_2097
; %bb.2041:
	v_cmp_eq_u16_e64 s[6:7], s18, 46
	s_mov_b64 s[0:1], -1
	s_and_b64 vcc, exec, s[6:7]
	s_cbranch_vccz .LBB63_2043
; %bb.2042:
	v_cvt_f32_f64_e32 v2, v[4:5]
	v_bfe_u32 v3, v2, 16, 1
	s_movk_i32 s0, 0x7fff
	v_add3_u32 v3, v2, v3, s0
	v_lshrrev_b32_e32 v3, 16, v3
	v_mov_b32_e32 v6, 0x7fc0
	v_cmp_o_f32_e32 vcc, v2, v2
	v_cndmask_b32_e32 v2, v6, v3, vcc
	global_store_dword v[0:1], v2, off
	s_mov_b64 s[0:1], 0
.LBB63_2043:
	s_mov_b64 s[6:7], 0
	s_branch .LBB63_2098
.LBB63_2044:
	s_mov_b64 s[0:1], 0
	s_mov_b64 s[4:5], 0
                                        ; implicit-def: $vgpr0_vgpr1
                                        ; implicit-def: $sgpr18
                                        ; implicit-def: $vgpr4_vgpr5
.LBB63_2045:
	s_and_b64 s[6:7], s[4:5], exec
	s_andn2_b64 s[4:5], s[28:29], exec
	s_and_b64 s[2:3], s[2:3], exec
	s_and_b64 s[0:1], s[0:1], exec
	s_or_b64 s[28:29], s[4:5], s[2:3]
.LBB63_2046:
	s_or_b64 exec, exec, s[30:31]
	s_and_saveexec_b64 s[2:3], s[28:29]
	s_cbranch_execz .LBB63_2049
; %bb.2047:
	; divergent unreachable
	s_or_b64 exec, exec, s[2:3]
	s_and_saveexec_b64 s[2:3], s[6:7]
	s_xor_b64 s[2:3], exec, s[2:3]
	s_cbranch_execnz .LBB63_2050
.LBB63_2048:
	s_or_b64 exec, exec, s[2:3]
	s_and_saveexec_b64 s[2:3], s[0:1]
	s_cbranch_execnz .LBB63_2051
	s_branch .LBB63_2088
.LBB63_2049:
	s_or_b64 exec, exec, s[2:3]
	s_and_saveexec_b64 s[2:3], s[6:7]
	s_xor_b64 s[2:3], exec, s[2:3]
	s_cbranch_execz .LBB63_2048
.LBB63_2050:
	s_waitcnt vmcnt(0)
	v_cmp_neq_f64_e32 vcc, 0, v[4:5]
	v_cndmask_b32_e64 v2, 0, 1, vcc
	global_store_byte v[0:1], v2, off
	s_or_b64 exec, exec, s[2:3]
	s_and_saveexec_b64 s[2:3], s[0:1]
	s_cbranch_execz .LBB63_2088
.LBB63_2051:
	v_cmp_lt_i16_e64 s[2:3], s18, 5
	s_mov_b64 s[0:1], -1
	s_and_b64 vcc, exec, s[2:3]
	s_cbranch_vccnz .LBB63_2072
; %bb.2052:
	v_cmp_lt_i16_e64 s[2:3], s18, 8
	s_and_b64 vcc, exec, s[2:3]
	s_cbranch_vccnz .LBB63_2062
; %bb.2053:
	v_cmp_lt_i16_e64 s[2:3], s18, 9
	s_and_b64 vcc, exec, s[2:3]
	s_cbranch_vccnz .LBB63_2059
; %bb.2054:
	v_cmp_gt_i16_e64 s[2:3], s18, 9
	s_and_b64 vcc, exec, s[2:3]
	s_cbranch_vccz .LBB63_2056
; %bb.2055:
	s_waitcnt vmcnt(0)
	v_mov_b32_e32 v6, 0
	v_mov_b32_e32 v7, v6
	global_store_dwordx4 v[0:1], v[4:7], off
	s_mov_b64 s[0:1], 0
.LBB63_2056:
	s_andn2_b64 vcc, exec, s[0:1]
	s_cbranch_vccnz .LBB63_2058
; %bb.2057:
	s_waitcnt vmcnt(0)
	v_cvt_f32_f64_e32 v2, v[4:5]
	v_mov_b32_e32 v3, 0
	global_store_dwordx2 v[0:1], v[2:3], off
.LBB63_2058:
	s_mov_b64 s[0:1], 0
.LBB63_2059:
	s_andn2_b64 vcc, exec, s[0:1]
	s_cbranch_vccnz .LBB63_2061
; %bb.2060:
	s_waitcnt vmcnt(0)
	v_cvt_f32_f64_e32 v2, v[4:5]
	v_cvt_f16_f32_e32 v2, v2
	global_store_dword v[0:1], v2, off
.LBB63_2061:
	s_mov_b64 s[0:1], 0
.LBB63_2062:
	s_andn2_b64 vcc, exec, s[0:1]
	s_cbranch_vccnz .LBB63_2071
; %bb.2063:
	v_cmp_lt_i16_e64 s[2:3], s18, 6
	s_mov_b64 s[0:1], -1
	s_and_b64 vcc, exec, s[2:3]
	s_cbranch_vccnz .LBB63_2069
; %bb.2064:
	v_cmp_gt_i16_e64 s[2:3], s18, 6
	s_and_b64 vcc, exec, s[2:3]
	s_cbranch_vccz .LBB63_2066
; %bb.2065:
	s_waitcnt vmcnt(0)
	global_store_dwordx2 v[0:1], v[4:5], off
	s_mov_b64 s[0:1], 0
.LBB63_2066:
	s_andn2_b64 vcc, exec, s[0:1]
	s_cbranch_vccnz .LBB63_2068
; %bb.2067:
	s_waitcnt vmcnt(0)
	v_cvt_f32_f64_e32 v2, v[4:5]
	global_store_dword v[0:1], v2, off
.LBB63_2068:
	s_mov_b64 s[0:1], 0
.LBB63_2069:
	s_andn2_b64 vcc, exec, s[0:1]
	s_cbranch_vccnz .LBB63_2071
; %bb.2070:
	s_waitcnt vmcnt(0)
	v_cvt_f32_f64_e32 v2, v[4:5]
	v_cvt_f16_f32_e32 v2, v2
	global_store_short v[0:1], v2, off
.LBB63_2071:
	s_mov_b64 s[0:1], 0
.LBB63_2072:
	s_andn2_b64 vcc, exec, s[0:1]
	s_cbranch_vccnz .LBB63_2088
; %bb.2073:
	v_cmp_lt_i16_e64 s[2:3], s18, 2
	s_mov_b64 s[0:1], -1
	s_and_b64 vcc, exec, s[2:3]
	s_cbranch_vccnz .LBB63_2083
; %bb.2074:
	v_cmp_lt_i16_e64 s[2:3], s18, 3
	s_and_b64 vcc, exec, s[2:3]
	s_cbranch_vccnz .LBB63_2080
; %bb.2075:
	v_cmp_gt_i16_e64 s[2:3], s18, 3
	s_and_b64 vcc, exec, s[2:3]
	s_cbranch_vccz .LBB63_2077
; %bb.2076:
	s_waitcnt vmcnt(0)
	v_trunc_f64_e32 v[2:3], v[4:5]
	s_movk_i32 s0, 0xffe0
	v_ldexp_f64 v[6:7], v[2:3], s0
	v_floor_f64_e32 v[6:7], v[6:7]
	v_fmac_f64_e32 v[2:3], 0xc1f00000, v[6:7]
	v_cvt_i32_f64_e32 v9, v[6:7]
	v_cvt_u32_f64_e32 v8, v[2:3]
	global_store_dwordx2 v[0:1], v[8:9], off
	s_mov_b64 s[0:1], 0
.LBB63_2077:
	s_andn2_b64 vcc, exec, s[0:1]
	s_cbranch_vccnz .LBB63_2079
; %bb.2078:
	s_waitcnt vmcnt(0)
	v_cvt_i32_f64_e32 v2, v[4:5]
	global_store_dword v[0:1], v2, off
.LBB63_2079:
	s_mov_b64 s[0:1], 0
.LBB63_2080:
	s_andn2_b64 vcc, exec, s[0:1]
	s_cbranch_vccnz .LBB63_2082
; %bb.2081:
	s_waitcnt vmcnt(0)
	v_cvt_i32_f64_e32 v2, v[4:5]
	global_store_short v[0:1], v2, off
.LBB63_2082:
	s_mov_b64 s[0:1], 0
.LBB63_2083:
	s_andn2_b64 vcc, exec, s[0:1]
	s_cbranch_vccnz .LBB63_2088
; %bb.2084:
	v_cmp_gt_i16_e64 s[2:3], s18, 0
	s_mov_b64 s[0:1], -1
	s_and_b64 vcc, exec, s[2:3]
	s_cbranch_vccz .LBB63_2086
; %bb.2085:
	s_waitcnt vmcnt(0)
	v_cvt_i32_f64_e32 v2, v[4:5]
	global_store_byte v[0:1], v2, off
	s_mov_b64 s[0:1], 0
.LBB63_2086:
	s_andn2_b64 vcc, exec, s[0:1]
	s_cbranch_vccnz .LBB63_2088
; %bb.2087:
	s_waitcnt vmcnt(0)
	v_trunc_f64_e32 v[2:3], v[4:5]
	s_movk_i32 s0, 0xffe0
	v_ldexp_f64 v[4:5], v[2:3], s0
	v_floor_f64_e32 v[4:5], v[4:5]
	v_fmac_f64_e32 v[2:3], 0xc1f00000, v[4:5]
	v_cvt_u32_f64_e32 v2, v[2:3]
	global_store_byte v[0:1], v2, off
	s_endpgm
.LBB63_2088:
	s_endpgm
.LBB63_2089:
	s_mov_b64 s[4:5], 0
	s_mov_b64 s[0:1], -1
	s_branch .LBB63_2045
.LBB63_2090:
	s_mov_b64 s[0:1], 0
	s_branch .LBB63_2108
.LBB63_2091:
	s_or_saveexec_b64 s[16:17], s[16:17]
                                        ; implicit-def: $sgpr4
	s_xor_b64 exec, exec, s[16:17]
	s_cbranch_execz .LBB63_1946
.LBB63_2092:
	s_mov_b32 s4, 0x46000000
	v_add_f32_e64 v3, |v2|, s4
	v_and_b32_e32 v3, 0xff, v3
	v_cmp_ne_u32_e32 vcc, 0, v3
	s_andn2_b64 s[14:15], s[14:15], exec
	s_and_b64 s[20:21], vcc, exec
	s_mov_b32 s4, 0
	s_or_b64 s[14:15], s[14:15], s[20:21]
	s_or_b64 exec, exec, s[16:17]
	v_mov_b32_e32 v6, s4
	s_and_saveexec_b64 s[16:17], s[14:15]
	s_cbranch_execnz .LBB63_1947
	s_branch .LBB63_1948
.LBB63_2093:
	s_mov_b64 s[0:1], 0
	s_branch .LBB63_2104
.LBB63_2094:
	s_trap 2
	s_or_b64 s[2:3], s[2:3], exec
	s_cbranch_execz .LBB63_1994
	s_branch .LBB63_1995
.LBB63_2095:
	s_or_saveexec_b64 s[14:15], s[14:15]
                                        ; implicit-def: $sgpr4
	s_xor_b64 exec, exec, s[14:15]
	s_cbranch_execz .LBB63_1959
.LBB63_2096:
	s_mov_b32 s4, 0x42800000
	v_add_f32_e64 v3, |v2|, s4
	v_and_b32_e32 v3, 0xff, v3
	v_cmp_ne_u32_e32 vcc, 0, v3
	s_andn2_b64 s[12:13], s[12:13], exec
	s_and_b64 s[16:17], vcc, exec
	s_mov_b32 s4, 0
	s_or_b64 s[12:13], s[12:13], s[16:17]
	s_or_b64 exec, exec, s[14:15]
	v_mov_b32_e32 v6, s4
	s_and_saveexec_b64 s[14:15], s[12:13]
	s_cbranch_execnz .LBB63_1960
	s_branch .LBB63_1961
.LBB63_2097:
	s_mov_b64 s[0:1], 0
.LBB63_2098:
	s_and_b64 vcc, exec, s[6:7]
	s_cbranch_vccz .LBB63_2103
; %bb.2099:
	v_cmp_eq_u16_e64 s[6:7], s18, 44
	s_mov_b64 s[0:1], -1
	s_and_b64 vcc, exec, s[6:7]
	s_cbranch_vccz .LBB63_2103
; %bb.2100:
	v_cvt_f32_f64_e32 v2, v[4:5]
	v_bfe_u32 v3, v2, 23, 8
	s_movk_i32 s0, 0xff
	v_cmp_ne_u32_e32 vcc, s0, v3
	v_mov_b32_e32 v6, 0xff
	s_and_saveexec_b64 s[6:7], vcc
; %bb.2101:
	s_mov_b32 s0, 0x3fffff
	v_lshrrev_b32_e32 v6, 23, v2
	v_and_b32_e32 v7, 0x400000, v2
	v_and_or_b32 v2, v2, s0, v3
	v_cmp_ne_u32_e32 vcc, 0, v7
	v_cmp_ne_u32_e64 s[0:1], 0, v2
	s_and_b64 s[0:1], vcc, s[0:1]
	v_cndmask_b32_e64 v2, 0, 1, s[0:1]
	v_add_u32_e32 v6, v6, v2
; %bb.2102:
	s_or_b64 exec, exec, s[6:7]
	s_mov_b64 s[0:1], 0
	global_store_byte v[0:1], v6, off
.LBB63_2103:
	s_mov_b64 s[6:7], 0
.LBB63_2104:
	s_and_b64 vcc, exec, s[6:7]
	s_cbranch_vccz .LBB63_2107
; %bb.2105:
	v_cmp_eq_u16_e64 s[6:7], s18, 29
	s_mov_b64 s[0:1], -1
	s_and_b64 vcc, exec, s[6:7]
	s_cbranch_vccz .LBB63_2107
; %bb.2106:
	v_trunc_f64_e32 v[2:3], v[4:5]
	s_movk_i32 s0, 0xffe0
	v_ldexp_f64 v[6:7], v[2:3], s0
	v_floor_f64_e32 v[6:7], v[6:7]
	v_fmac_f64_e32 v[2:3], 0xc1f00000, v[6:7]
	v_cvt_u32_f64_e32 v9, v[6:7]
	v_cvt_u32_f64_e32 v8, v[2:3]
	global_store_dwordx2 v[0:1], v[8:9], off
	s_mov_b64 s[0:1], 0
.LBB63_2107:
	s_mov_b64 s[6:7], 0
.LBB63_2108:
	s_and_b64 vcc, exec, s[6:7]
	s_cbranch_vccz .LBB63_2123
; %bb.2109:
	v_cmp_lt_i16_e64 s[8:9], s18, 27
	s_mov_b64 s[6:7], -1
	s_and_b64 vcc, exec, s[8:9]
	s_cbranch_vccnz .LBB63_2115
; %bb.2110:
	v_cmp_gt_i16_e64 s[8:9], s18, 27
	s_and_b64 vcc, exec, s[8:9]
	s_cbranch_vccz .LBB63_2112
; %bb.2111:
	v_cvt_u32_f64_e32 v2, v[4:5]
	global_store_dword v[0:1], v2, off
	s_mov_b64 s[6:7], 0
.LBB63_2112:
	s_andn2_b64 vcc, exec, s[6:7]
	s_cbranch_vccnz .LBB63_2114
; %bb.2113:
	v_cvt_u32_f64_e32 v2, v[4:5]
	global_store_short v[0:1], v2, off
.LBB63_2114:
	s_mov_b64 s[6:7], 0
.LBB63_2115:
	s_andn2_b64 vcc, exec, s[6:7]
	s_cbranch_vccnz .LBB63_2123
; %bb.2116:
	v_cvt_f32_f64_e32 v2, v[4:5]
	v_and_b32_e32 v3, 0x7fffffff, v2
	s_mov_b32 s6, 0x43800000
	v_cmp_gt_u32_e32 vcc, s6, v3
	v_mov_b32_e32 v6, 0x80
	s_and_saveexec_b64 s[6:7], vcc
	s_cbranch_execz .LBB63_2122
; %bb.2117:
	s_mov_b32 s8, 0x3bffffff
	v_cmp_lt_u32_e32 vcc, s8, v3
	s_mov_b64 s[8:9], 0
                                        ; implicit-def: $vgpr3
	s_and_saveexec_b64 s[10:11], vcc
	s_xor_b64 s[10:11], exec, s[10:11]
	s_cbranch_execz .LBB63_2166
; %bb.2118:
	v_bfe_u32 v3, v2, 20, 1
	s_mov_b32 s12, 0x487ffff
	v_add3_u32 v3, v2, v3, s12
	s_mov_b64 s[8:9], exec
	v_lshrrev_b32_e32 v3, 20, v3
	s_or_saveexec_b64 s[10:11], s[10:11]
                                        ; implicit-def: $sgpr12
	s_xor_b64 exec, exec, s[10:11]
	s_cbranch_execnz .LBB63_2167
.LBB63_2119:
	s_or_b64 exec, exec, s[10:11]
	v_mov_b32_e32 v6, s12
	s_and_saveexec_b64 s[10:11], s[8:9]
.LBB63_2120:
	v_lshrrev_b32_e32 v2, 24, v2
	s_movk_i32 s8, 0x80
	v_and_or_b32 v6, v2, s8, v3
.LBB63_2121:
	s_or_b64 exec, exec, s[10:11]
.LBB63_2122:
	s_or_b64 exec, exec, s[6:7]
	global_store_byte v[0:1], v6, off
.LBB63_2123:
	s_mov_b64 s[6:7], 0
.LBB63_2124:
	s_and_b64 vcc, exec, s[6:7]
	s_cbranch_vccz .LBB63_2164
; %bb.2125:
	v_cmp_gt_i16_e64 s[6:7], s18, 22
	s_mov_b64 s[4:5], -1
	s_and_b64 vcc, exec, s[6:7]
	s_cbranch_vccz .LBB63_2157
; %bb.2126:
	v_cmp_lt_i16_e64 s[6:7], s18, 24
	s_and_b64 vcc, exec, s[6:7]
	s_cbranch_vccnz .LBB63_2146
; %bb.2127:
	v_cmp_gt_i16_e64 s[6:7], s18, 24
	s_and_b64 vcc, exec, s[6:7]
	s_cbranch_vccz .LBB63_2135
; %bb.2128:
	v_cvt_f32_f64_e32 v2, v[4:5]
	v_and_b32_e32 v3, 0x7fffffff, v2
	s_mov_b32 s4, 0x47800000
	v_cmp_gt_u32_e32 vcc, s4, v3
	v_mov_b32_e32 v6, 0x80
	s_and_saveexec_b64 s[4:5], vcc
	s_cbranch_execz .LBB63_2134
; %bb.2129:
	s_mov_b32 s6, 0x37ffffff
	v_cmp_lt_u32_e32 vcc, s6, v3
	s_mov_b64 s[6:7], 0
                                        ; implicit-def: $vgpr3
	s_and_saveexec_b64 s[8:9], vcc
	s_xor_b64 s[8:9], exec, s[8:9]
	s_cbranch_execz .LBB63_2169
; %bb.2130:
	v_bfe_u32 v3, v2, 21, 1
	s_mov_b32 s10, 0x88fffff
	v_add3_u32 v3, v2, v3, s10
	s_mov_b64 s[6:7], exec
	v_lshrrev_b32_e32 v3, 21, v3
	s_or_saveexec_b64 s[8:9], s[8:9]
                                        ; implicit-def: $sgpr10
	s_xor_b64 exec, exec, s[8:9]
	s_cbranch_execnz .LBB63_2170
.LBB63_2131:
	s_or_b64 exec, exec, s[8:9]
	v_mov_b32_e32 v6, s10
	s_and_saveexec_b64 s[8:9], s[6:7]
.LBB63_2132:
	v_lshrrev_b32_e32 v2, 24, v2
	s_movk_i32 s6, 0x80
	v_and_or_b32 v6, v2, s6, v3
.LBB63_2133:
	s_or_b64 exec, exec, s[8:9]
.LBB63_2134:
	s_or_b64 exec, exec, s[4:5]
	s_mov_b64 s[4:5], 0
	global_store_byte v[0:1], v6, off
.LBB63_2135:
	s_and_b64 vcc, exec, s[4:5]
	s_cbranch_vccz .LBB63_2145
; %bb.2136:
	v_cvt_f32_f64_e32 v2, v[4:5]
	v_and_b32_e32 v6, 0x7fffffff, v2
	s_mov_b32 s4, 0x43f00000
	v_cmp_gt_u32_e32 vcc, s4, v6
                                        ; implicit-def: $vgpr3
	s_and_saveexec_b64 s[4:5], vcc
	s_xor_b64 s[4:5], exec, s[4:5]
	s_cbranch_execz .LBB63_2142
; %bb.2137:
	s_mov_b32 s6, 0x3c7fffff
	v_cmp_lt_u32_e32 vcc, s6, v6
                                        ; implicit-def: $vgpr3
	s_and_saveexec_b64 s[6:7], vcc
	s_xor_b64 s[6:7], exec, s[6:7]
; %bb.2138:
	v_bfe_u32 v3, v2, 20, 1
	s_mov_b32 s8, 0x407ffff
	v_add3_u32 v3, v2, v3, s8
	v_lshrrev_b32_e32 v6, 20, v3
	v_and_b32_e32 v3, 0xff00000, v3
	s_mov_b32 s8, 0x7f00000
	v_mov_b32_e32 v7, 0x7e
	v_cmp_ne_u32_e32 vcc, s8, v3
	v_cndmask_b32_e32 v3, v7, v6, vcc
; %bb.2139:
	s_andn2_saveexec_b64 s[6:7], s[6:7]
; %bb.2140:
	s_mov_b32 s8, 0x46800000
	v_add_f32_e64 v3, |v2|, s8
; %bb.2141:
	s_or_b64 exec, exec, s[6:7]
                                        ; implicit-def: $vgpr6
.LBB63_2142:
	s_andn2_saveexec_b64 s[4:5], s[4:5]
; %bb.2143:
	s_mov_b32 s6, 0x7f800000
	v_mov_b32_e32 v3, 0x7e
	v_mov_b32_e32 v7, 0x7f
	v_cmp_lt_u32_e32 vcc, s6, v6
	v_cndmask_b32_e32 v3, v3, v7, vcc
; %bb.2144:
	s_or_b64 exec, exec, s[4:5]
	v_lshrrev_b32_e32 v2, 24, v2
	s_movk_i32 s4, 0x80
	v_and_or_b32 v2, v2, s4, v3
	global_store_byte v[0:1], v2, off
.LBB63_2145:
	s_mov_b64 s[4:5], 0
.LBB63_2146:
	s_andn2_b64 vcc, exec, s[4:5]
	s_cbranch_vccnz .LBB63_2156
; %bb.2147:
	v_cvt_f32_f64_e32 v2, v[4:5]
	v_and_b32_e32 v6, 0x7fffffff, v2
	s_mov_b32 s4, 0x47800000
	v_cmp_gt_u32_e32 vcc, s4, v6
                                        ; implicit-def: $vgpr3
	s_and_saveexec_b64 s[4:5], vcc
	s_xor_b64 s[4:5], exec, s[4:5]
	s_cbranch_execz .LBB63_2153
; %bb.2148:
	s_mov_b32 s6, 0x387fffff
	v_cmp_lt_u32_e32 vcc, s6, v6
                                        ; implicit-def: $vgpr3
	s_and_saveexec_b64 s[6:7], vcc
	s_xor_b64 s[6:7], exec, s[6:7]
; %bb.2149:
	v_bfe_u32 v3, v2, 21, 1
	s_mov_b32 s8, 0x80fffff
	v_add3_u32 v3, v2, v3, s8
	v_lshrrev_b32_e32 v3, 21, v3
; %bb.2150:
	s_andn2_saveexec_b64 s[6:7], s[6:7]
; %bb.2151:
	s_mov_b32 s8, 0x43000000
	v_add_f32_e64 v3, |v2|, s8
; %bb.2152:
	s_or_b64 exec, exec, s[6:7]
                                        ; implicit-def: $vgpr6
.LBB63_2153:
	s_andn2_saveexec_b64 s[4:5], s[4:5]
; %bb.2154:
	s_mov_b32 s6, 0x7f800000
	v_mov_b32_e32 v3, 0x7c
	v_mov_b32_e32 v7, 0x7f
	v_cmp_lt_u32_e32 vcc, s6, v6
	v_cndmask_b32_e32 v3, v3, v7, vcc
; %bb.2155:
	s_or_b64 exec, exec, s[4:5]
	v_lshrrev_b32_e32 v2, 24, v2
	s_movk_i32 s4, 0x80
	v_and_or_b32 v2, v2, s4, v3
	global_store_byte v[0:1], v2, off
.LBB63_2156:
	s_mov_b64 s[4:5], 0
.LBB63_2157:
	s_andn2_b64 vcc, exec, s[4:5]
	s_mov_b64 s[4:5], 0
	s_cbranch_vccnz .LBB63_2164
; %bb.2158:
	v_cmp_gt_i16_e64 s[4:5], s18, 14
	s_mov_b64 s[6:7], -1
	s_and_b64 vcc, exec, s[4:5]
	s_cbranch_vccz .LBB63_2162
; %bb.2159:
	v_cmp_eq_u16_e64 s[4:5], s18, 15
	s_mov_b64 s[0:1], -1
	s_and_b64 vcc, exec, s[4:5]
	s_cbranch_vccz .LBB63_2161
; %bb.2160:
	v_cvt_f32_f64_e32 v2, v[4:5]
	v_bfe_u32 v3, v2, 16, 1
	s_movk_i32 s0, 0x7fff
	v_add3_u32 v3, v2, v3, s0
	v_lshrrev_b32_e32 v3, 16, v3
	v_mov_b32_e32 v6, 0x7fc0
	v_cmp_o_f32_e32 vcc, v2, v2
	v_cndmask_b32_e32 v2, v6, v3, vcc
	global_store_short v[0:1], v2, off
	s_mov_b64 s[0:1], 0
.LBB63_2161:
	s_mov_b64 s[6:7], 0
.LBB63_2162:
	s_mov_b64 s[4:5], 0
	s_and_b64 vcc, exec, s[6:7]
	s_cbranch_vccz .LBB63_2164
; %bb.2163:
	v_cmp_ne_u16_e64 s[0:1], s18, 11
	s_mov_b64 s[4:5], -1
.LBB63_2164:
	s_and_b64 vcc, exec, s[0:1]
	s_cbranch_vccnz .LBB63_2168
.LBB63_2165:
	s_mov_b64 s[0:1], 0
	s_branch .LBB63_2045
.LBB63_2166:
	s_or_saveexec_b64 s[10:11], s[10:11]
                                        ; implicit-def: $sgpr12
	s_xor_b64 exec, exec, s[10:11]
	s_cbranch_execz .LBB63_2119
.LBB63_2167:
	s_mov_b32 s12, 0x46000000
	v_add_f32_e64 v3, |v2|, s12
	v_and_b32_e32 v3, 0xff, v3
	v_cmp_ne_u32_e32 vcc, 0, v3
	s_andn2_b64 s[8:9], s[8:9], exec
	s_and_b64 s[14:15], vcc, exec
	s_mov_b32 s12, 0
	s_or_b64 s[8:9], s[8:9], s[14:15]
	s_or_b64 exec, exec, s[10:11]
	v_mov_b32_e32 v6, s12
	s_and_saveexec_b64 s[10:11], s[8:9]
	s_cbranch_execnz .LBB63_2120
	s_branch .LBB63_2121
.LBB63_2168:
	s_mov_b64 s[4:5], 0
	s_or_b64 s[2:3], s[2:3], exec
	s_trap 2
	s_branch .LBB63_2165
.LBB63_2169:
	s_or_saveexec_b64 s[8:9], s[8:9]
                                        ; implicit-def: $sgpr10
	s_xor_b64 exec, exec, s[8:9]
	s_cbranch_execz .LBB63_2131
.LBB63_2170:
	s_mov_b32 s10, 0x42800000
	v_add_f32_e64 v3, |v2|, s10
	v_and_b32_e32 v3, 0xff, v3
	v_cmp_ne_u32_e32 vcc, 0, v3
	s_andn2_b64 s[6:7], s[6:7], exec
	s_and_b64 s[12:13], vcc, exec
	s_mov_b32 s10, 0
	s_or_b64 s[6:7], s[6:7], s[12:13]
	s_or_b64 exec, exec, s[8:9]
	v_mov_b32_e32 v6, s10
	s_and_saveexec_b64 s[8:9], s[6:7]
	s_cbranch_execnz .LBB63_2132
	s_branch .LBB63_2133
	.section	.rodata,"a",@progbits
	.p2align	6, 0x0
	.amdhsa_kernel _ZN2at6native32elementwise_kernel_manual_unrollILi128ELi4EZNS0_15gpu_kernel_implINS0_13BUnaryFunctorIdddZZZNS0_20copysign_kernel_cudaERNS_18TensorIteratorBaseEENKUlvE_clEvENKUlvE_clEvEUlddE_EEEEvS5_RKT_EUlibE0_EEviT1_
		.amdhsa_group_segment_fixed_size 0
		.amdhsa_private_segment_fixed_size 0
		.amdhsa_kernarg_size 376
		.amdhsa_user_sgpr_count 6
		.amdhsa_user_sgpr_private_segment_buffer 1
		.amdhsa_user_sgpr_dispatch_ptr 0
		.amdhsa_user_sgpr_queue_ptr 0
		.amdhsa_user_sgpr_kernarg_segment_ptr 1
		.amdhsa_user_sgpr_dispatch_id 0
		.amdhsa_user_sgpr_flat_scratch_init 0
		.amdhsa_user_sgpr_kernarg_preload_length 0
		.amdhsa_user_sgpr_kernarg_preload_offset 0
		.amdhsa_user_sgpr_private_segment_size 0
		.amdhsa_uses_dynamic_stack 0
		.amdhsa_system_sgpr_private_segment_wavefront_offset 0
		.amdhsa_system_sgpr_workgroup_id_x 1
		.amdhsa_system_sgpr_workgroup_id_y 0
		.amdhsa_system_sgpr_workgroup_id_z 0
		.amdhsa_system_sgpr_workgroup_info 0
		.amdhsa_system_vgpr_workitem_id 0
		.amdhsa_next_free_vgpr 22
		.amdhsa_next_free_sgpr 78
		.amdhsa_accum_offset 24
		.amdhsa_reserve_vcc 1
		.amdhsa_reserve_flat_scratch 0
		.amdhsa_float_round_mode_32 0
		.amdhsa_float_round_mode_16_64 0
		.amdhsa_float_denorm_mode_32 3
		.amdhsa_float_denorm_mode_16_64 3
		.amdhsa_dx10_clamp 1
		.amdhsa_ieee_mode 1
		.amdhsa_fp16_overflow 0
		.amdhsa_tg_split 0
		.amdhsa_exception_fp_ieee_invalid_op 0
		.amdhsa_exception_fp_denorm_src 0
		.amdhsa_exception_fp_ieee_div_zero 0
		.amdhsa_exception_fp_ieee_overflow 0
		.amdhsa_exception_fp_ieee_underflow 0
		.amdhsa_exception_fp_ieee_inexact 0
		.amdhsa_exception_int_div_zero 0
	.end_amdhsa_kernel
	.section	.text._ZN2at6native32elementwise_kernel_manual_unrollILi128ELi4EZNS0_15gpu_kernel_implINS0_13BUnaryFunctorIdddZZZNS0_20copysign_kernel_cudaERNS_18TensorIteratorBaseEENKUlvE_clEvENKUlvE_clEvEUlddE_EEEEvS5_RKT_EUlibE0_EEviT1_,"axG",@progbits,_ZN2at6native32elementwise_kernel_manual_unrollILi128ELi4EZNS0_15gpu_kernel_implINS0_13BUnaryFunctorIdddZZZNS0_20copysign_kernel_cudaERNS_18TensorIteratorBaseEENKUlvE_clEvENKUlvE_clEvEUlddE_EEEEvS5_RKT_EUlibE0_EEviT1_,comdat
.Lfunc_end63:
	.size	_ZN2at6native32elementwise_kernel_manual_unrollILi128ELi4EZNS0_15gpu_kernel_implINS0_13BUnaryFunctorIdddZZZNS0_20copysign_kernel_cudaERNS_18TensorIteratorBaseEENKUlvE_clEvENKUlvE_clEvEUlddE_EEEEvS5_RKT_EUlibE0_EEviT1_, .Lfunc_end63-_ZN2at6native32elementwise_kernel_manual_unrollILi128ELi4EZNS0_15gpu_kernel_implINS0_13BUnaryFunctorIdddZZZNS0_20copysign_kernel_cudaERNS_18TensorIteratorBaseEENKUlvE_clEvENKUlvE_clEvEUlddE_EEEEvS5_RKT_EUlibE0_EEviT1_
                                        ; -- End function
	.section	.AMDGPU.csdata,"",@progbits
; Kernel info:
; codeLenInByte = 40736
; NumSgprs: 82
; NumVgprs: 22
; NumAgprs: 0
; TotalNumVgprs: 22
; ScratchSize: 0
; MemoryBound: 1
; FloatMode: 240
; IeeeMode: 1
; LDSByteSize: 0 bytes/workgroup (compile time only)
; SGPRBlocks: 10
; VGPRBlocks: 2
; NumSGPRsForWavesPerEU: 82
; NumVGPRsForWavesPerEU: 22
; AccumOffset: 24
; Occupancy: 8
; WaveLimiterHint : 1
; COMPUTE_PGM_RSRC2:SCRATCH_EN: 0
; COMPUTE_PGM_RSRC2:USER_SGPR: 6
; COMPUTE_PGM_RSRC2:TRAP_HANDLER: 0
; COMPUTE_PGM_RSRC2:TGID_X_EN: 1
; COMPUTE_PGM_RSRC2:TGID_Y_EN: 0
; COMPUTE_PGM_RSRC2:TGID_Z_EN: 0
; COMPUTE_PGM_RSRC2:TIDIG_COMP_CNT: 0
; COMPUTE_PGM_RSRC3_GFX90A:ACCUM_OFFSET: 5
; COMPUTE_PGM_RSRC3_GFX90A:TG_SPLIT: 0
	.section	.text._ZN2at6native29vectorized_elementwise_kernelILi16ENS0_13BinaryFunctorIdddZZZNS0_20copysign_kernel_cudaERNS_18TensorIteratorBaseEENKUlvE_clEvENKUlvE_clEvEUlddE_EESt5arrayIPcLm3EEEEviT0_T1_,"axG",@progbits,_ZN2at6native29vectorized_elementwise_kernelILi16ENS0_13BinaryFunctorIdddZZZNS0_20copysign_kernel_cudaERNS_18TensorIteratorBaseEENKUlvE_clEvENKUlvE_clEvEUlddE_EESt5arrayIPcLm3EEEEviT0_T1_,comdat
	.globl	_ZN2at6native29vectorized_elementwise_kernelILi16ENS0_13BinaryFunctorIdddZZZNS0_20copysign_kernel_cudaERNS_18TensorIteratorBaseEENKUlvE_clEvENKUlvE_clEvEUlddE_EESt5arrayIPcLm3EEEEviT0_T1_ ; -- Begin function _ZN2at6native29vectorized_elementwise_kernelILi16ENS0_13BinaryFunctorIdddZZZNS0_20copysign_kernel_cudaERNS_18TensorIteratorBaseEENKUlvE_clEvENKUlvE_clEvEUlddE_EESt5arrayIPcLm3EEEEviT0_T1_
	.p2align	8
	.type	_ZN2at6native29vectorized_elementwise_kernelILi16ENS0_13BinaryFunctorIdddZZZNS0_20copysign_kernel_cudaERNS_18TensorIteratorBaseEENKUlvE_clEvENKUlvE_clEvEUlddE_EESt5arrayIPcLm3EEEEviT0_T1_,@function
_ZN2at6native29vectorized_elementwise_kernelILi16ENS0_13BinaryFunctorIdddZZZNS0_20copysign_kernel_cudaERNS_18TensorIteratorBaseEENKUlvE_clEvENKUlvE_clEvEUlddE_EESt5arrayIPcLm3EEEEviT0_T1_: ; @_ZN2at6native29vectorized_elementwise_kernelILi16ENS0_13BinaryFunctorIdddZZZNS0_20copysign_kernel_cudaERNS_18TensorIteratorBaseEENKUlvE_clEvENKUlvE_clEvEUlddE_EESt5arrayIPcLm3EEEEviT0_T1_
; %bb.0:
	s_load_dword s0, s[4:5], 0x0
	s_load_dwordx4 s[8:11], s[4:5], 0x8
	s_load_dwordx2 s[12:13], s[4:5], 0x18
	s_lshl_b32 s2, s6, 10
	s_waitcnt lgkmcnt(0)
	s_sub_i32 s6, s0, s2
	s_cmpk_gt_i32 s6, 0x3ff
	s_mov_b64 s[0:1], -1
	s_cbranch_scc0 .LBB64_2
; %bb.1:
	s_ashr_i32 s3, s2, 31
	s_lshl_b64 s[0:1], s[2:3], 3
	s_add_u32 s4, s10, s0
	s_addc_u32 s5, s11, s1
	v_lshlrev_b32_e32 v1, 5, v0
	s_add_u32 s14, s12, s0
	global_load_dwordx4 v[2:5], v1, s[4:5]
	s_addc_u32 s15, s13, s1
	global_load_dwordx4 v[6:9], v1, s[14:15]
	global_load_dwordx4 v[10:13], v1, s[4:5] offset:16
	global_load_dwordx4 v[14:17], v1, s[14:15] offset:16
	s_brev_b32 s3, -2
	s_add_u32 s0, s8, s0
	s_addc_u32 s1, s9, s1
	s_waitcnt vmcnt(2)
	v_bfi_b32 v3, s3, v3, v7
	v_bfi_b32 v5, s3, v5, v9
	s_waitcnt vmcnt(0)
	v_bfi_b32 v11, s3, v11, v15
	v_bfi_b32 v13, s3, v13, v17
	global_store_dwordx4 v1, v[2:5], s[0:1]
	global_store_dwordx4 v1, v[10:13], s[0:1] offset:16
	s_mov_b64 s[0:1], 0
.LBB64_2:
	s_andn2_b64 vcc, exec, s[0:1]
	s_cbranch_vccnz .LBB64_16
; %bb.3:
	v_pk_mov_b32 v[6:7], 0, 0
	v_cmp_gt_i32_e32 vcc, s6, v0
	v_or_b32_e32 v2, s2, v0
	v_pk_mov_b32 v[4:5], v[6:7], v[6:7] op_sel:[0,1]
	v_pk_mov_b32 v[8:9], v[6:7], v[6:7] op_sel:[0,1]
	v_mov_b32_e32 v1, v0
	s_and_saveexec_b64 s[4:5], vcc
	s_cbranch_execz .LBB64_5
; %bb.4:
	v_mov_b32_e32 v3, 0
	v_lshlrev_b64 v[4:5], 3, v[2:3]
	v_mov_b32_e32 v1, s13
	v_add_co_u32_e64 v10, s[0:1], s12, v4
	v_addc_co_u32_e64 v11, s[0:1], v1, v5, s[0:1]
	v_mov_b32_e32 v1, s11
	v_add_co_u32_e64 v12, s[0:1], s10, v4
	v_addc_co_u32_e64 v13, s[0:1], v1, v5, s[0:1]
	global_load_dwordx2 v[4:5], v[12:13], off
	global_load_dwordx2 v[8:9], v[10:11], off
	v_or_b32_e32 v1, 0x100, v0
.LBB64_5:
	s_or_b64 exec, exec, s[4:5]
	v_cmp_gt_i32_e64 s[0:1], s6, v1
	v_pk_mov_b32 v[10:11], v[6:7], v[6:7] op_sel:[0,1]
	s_and_saveexec_b64 s[4:5], s[0:1]
	s_cbranch_execz .LBB64_7
; %bb.6:
	v_add_u32_e32 v6, s2, v1
	v_mov_b32_e32 v7, 0
	v_lshlrev_b64 v[6:7], 3, v[6:7]
	v_mov_b32_e32 v3, s13
	v_add_co_u32_e64 v12, s[0:1], s12, v6
	v_addc_co_u32_e64 v13, s[0:1], v3, v7, s[0:1]
	v_mov_b32_e32 v3, s11
	v_add_co_u32_e64 v14, s[0:1], s10, v6
	v_addc_co_u32_e64 v15, s[0:1], v3, v7, s[0:1]
	global_load_dwordx2 v[6:7], v[14:15], off
	global_load_dwordx2 v[10:11], v[12:13], off
	v_add_u32_e32 v1, 0x100, v1
.LBB64_7:
	s_or_b64 exec, exec, s[4:5]
	v_pk_mov_b32 v[12:13], 0, 0
	v_cmp_gt_i32_e64 s[0:1], s6, v1
	v_pk_mov_b32 v[14:15], v[12:13], v[12:13] op_sel:[0,1]
	v_pk_mov_b32 v[16:17], v[12:13], v[12:13] op_sel:[0,1]
	s_and_saveexec_b64 s[4:5], s[0:1]
	s_cbranch_execz .LBB64_9
; %bb.8:
	v_add_u32_e32 v14, s2, v1
	v_mov_b32_e32 v15, 0
	v_lshlrev_b64 v[14:15], 3, v[14:15]
	v_mov_b32_e32 v3, s13
	v_add_co_u32_e64 v18, s[0:1], s12, v14
	v_addc_co_u32_e64 v19, s[0:1], v3, v15, s[0:1]
	v_mov_b32_e32 v3, s11
	v_add_co_u32_e64 v20, s[0:1], s10, v14
	v_addc_co_u32_e64 v21, s[0:1], v3, v15, s[0:1]
	global_load_dwordx2 v[14:15], v[20:21], off
	global_load_dwordx2 v[16:17], v[18:19], off
	v_add_u32_e32 v1, 0x100, v1
.LBB64_9:
	s_or_b64 exec, exec, s[4:5]
	v_cmp_gt_i32_e64 s[0:1], s6, v1
	v_pk_mov_b32 v[18:19], v[12:13], v[12:13] op_sel:[0,1]
	s_and_saveexec_b64 s[4:5], s[0:1]
	s_cbranch_execz .LBB64_11
; %bb.10:
	v_add_u32_e32 v12, s2, v1
	v_mov_b32_e32 v13, 0
	v_lshlrev_b64 v[12:13], 3, v[12:13]
	v_mov_b32_e32 v1, s13
	v_add_co_u32_e64 v20, s[0:1], s12, v12
	v_addc_co_u32_e64 v21, s[0:1], v1, v13, s[0:1]
	v_mov_b32_e32 v1, s11
	v_add_co_u32_e64 v22, s[0:1], s10, v12
	v_addc_co_u32_e64 v23, s[0:1], v1, v13, s[0:1]
	global_load_dwordx2 v[12:13], v[22:23], off
	global_load_dwordx2 v[18:19], v[20:21], off
.LBB64_11:
	s_or_b64 exec, exec, s[4:5]
	s_brev_b32 s3, -2
	v_or_b32_e32 v1, 0x100, v0
	s_waitcnt vmcnt(0)
	v_bfi_b32 v5, s3, v5, v9
	v_bfi_b32 v3, s3, v7, v11
	v_cmp_gt_i32_e64 s[0:1], s6, v1
	v_cndmask_b32_e64 v11, v5, v3, s[0:1]
	v_or_b32_e32 v3, 0x200, v0
	v_cndmask_b32_e64 v10, v4, v6, s[0:1]
	v_bfi_b32 v6, s3, v15, v17
	v_cmp_gt_i32_e64 s[0:1], s6, v3
	v_or_b32_e32 v3, 0x300, v0
	v_cndmask_b32_e64 v9, v5, v6, s[0:1]
	v_cndmask_b32_e64 v8, v4, v14, s[0:1]
	v_bfi_b32 v6, s3, v13, v19
	v_cmp_gt_i32_e64 s[0:1], s6, v3
	v_cndmask_b32_e64 v7, v5, v6, s[0:1]
	v_cndmask_b32_e64 v6, v4, v12, s[0:1]
	s_and_saveexec_b64 s[0:1], vcc
	s_cbranch_execnz .LBB64_17
; %bb.12:
	s_or_b64 exec, exec, s[0:1]
	v_cmp_gt_i32_e32 vcc, s6, v0
	s_and_saveexec_b64 s[0:1], vcc
	s_cbranch_execnz .LBB64_18
.LBB64_13:
	s_or_b64 exec, exec, s[0:1]
	v_cmp_gt_i32_e32 vcc, s6, v0
	s_and_saveexec_b64 s[0:1], vcc
	s_cbranch_execnz .LBB64_19
.LBB64_14:
	s_or_b64 exec, exec, s[0:1]
	v_cmp_gt_i32_e32 vcc, s6, v0
	s_and_saveexec_b64 s[0:1], vcc
	s_cbranch_execz .LBB64_16
.LBB64_15:
	v_add_u32_e32 v0, s2, v0
	v_mov_b32_e32 v1, 0
	v_lshlrev_b64 v[0:1], 3, v[0:1]
	v_mov_b32_e32 v2, s9
	v_add_co_u32_e32 v0, vcc, s8, v0
	v_addc_co_u32_e32 v1, vcc, v2, v1, vcc
	global_store_dwordx2 v[0:1], v[6:7], off
.LBB64_16:
	s_endpgm
.LBB64_17:
	v_mov_b32_e32 v3, 0
	v_lshlrev_b64 v[2:3], 3, v[2:3]
	v_mov_b32_e32 v0, s9
	v_add_co_u32_e32 v2, vcc, s8, v2
	v_addc_co_u32_e32 v3, vcc, v0, v3, vcc
	v_mov_b32_e32 v0, v1
	global_store_dwordx2 v[2:3], v[4:5], off
	s_or_b64 exec, exec, s[0:1]
	v_cmp_gt_i32_e32 vcc, s6, v0
	s_and_saveexec_b64 s[0:1], vcc
	s_cbranch_execz .LBB64_13
.LBB64_18:
	v_add_u32_e32 v2, s2, v0
	v_mov_b32_e32 v3, 0
	v_lshlrev_b64 v[2:3], 3, v[2:3]
	v_mov_b32_e32 v1, s9
	v_add_co_u32_e32 v2, vcc, s8, v2
	v_addc_co_u32_e32 v3, vcc, v1, v3, vcc
	v_add_u32_e32 v0, 0x100, v0
	global_store_dwordx2 v[2:3], v[10:11], off
	s_or_b64 exec, exec, s[0:1]
	v_cmp_gt_i32_e32 vcc, s6, v0
	s_and_saveexec_b64 s[0:1], vcc
	s_cbranch_execz .LBB64_14
.LBB64_19:
	v_add_u32_e32 v2, s2, v0
	v_mov_b32_e32 v3, 0
	v_lshlrev_b64 v[2:3], 3, v[2:3]
	v_mov_b32_e32 v1, s9
	v_add_co_u32_e32 v2, vcc, s8, v2
	v_addc_co_u32_e32 v3, vcc, v1, v3, vcc
	v_add_u32_e32 v0, 0x100, v0
	global_store_dwordx2 v[2:3], v[8:9], off
	s_or_b64 exec, exec, s[0:1]
	v_cmp_gt_i32_e32 vcc, s6, v0
	s_and_saveexec_b64 s[0:1], vcc
	s_cbranch_execnz .LBB64_15
	s_branch .LBB64_16
	.section	.rodata,"a",@progbits
	.p2align	6, 0x0
	.amdhsa_kernel _ZN2at6native29vectorized_elementwise_kernelILi16ENS0_13BinaryFunctorIdddZZZNS0_20copysign_kernel_cudaERNS_18TensorIteratorBaseEENKUlvE_clEvENKUlvE_clEvEUlddE_EESt5arrayIPcLm3EEEEviT0_T1_
		.amdhsa_group_segment_fixed_size 0
		.amdhsa_private_segment_fixed_size 0
		.amdhsa_kernarg_size 32
		.amdhsa_user_sgpr_count 6
		.amdhsa_user_sgpr_private_segment_buffer 1
		.amdhsa_user_sgpr_dispatch_ptr 0
		.amdhsa_user_sgpr_queue_ptr 0
		.amdhsa_user_sgpr_kernarg_segment_ptr 1
		.amdhsa_user_sgpr_dispatch_id 0
		.amdhsa_user_sgpr_flat_scratch_init 0
		.amdhsa_user_sgpr_kernarg_preload_length 0
		.amdhsa_user_sgpr_kernarg_preload_offset 0
		.amdhsa_user_sgpr_private_segment_size 0
		.amdhsa_uses_dynamic_stack 0
		.amdhsa_system_sgpr_private_segment_wavefront_offset 0
		.amdhsa_system_sgpr_workgroup_id_x 1
		.amdhsa_system_sgpr_workgroup_id_y 0
		.amdhsa_system_sgpr_workgroup_id_z 0
		.amdhsa_system_sgpr_workgroup_info 0
		.amdhsa_system_vgpr_workitem_id 0
		.amdhsa_next_free_vgpr 24
		.amdhsa_next_free_sgpr 16
		.amdhsa_accum_offset 24
		.amdhsa_reserve_vcc 1
		.amdhsa_reserve_flat_scratch 0
		.amdhsa_float_round_mode_32 0
		.amdhsa_float_round_mode_16_64 0
		.amdhsa_float_denorm_mode_32 3
		.amdhsa_float_denorm_mode_16_64 3
		.amdhsa_dx10_clamp 1
		.amdhsa_ieee_mode 1
		.amdhsa_fp16_overflow 0
		.amdhsa_tg_split 0
		.amdhsa_exception_fp_ieee_invalid_op 0
		.amdhsa_exception_fp_denorm_src 0
		.amdhsa_exception_fp_ieee_div_zero 0
		.amdhsa_exception_fp_ieee_overflow 0
		.amdhsa_exception_fp_ieee_underflow 0
		.amdhsa_exception_fp_ieee_inexact 0
		.amdhsa_exception_int_div_zero 0
	.end_amdhsa_kernel
	.section	.text._ZN2at6native29vectorized_elementwise_kernelILi16ENS0_13BinaryFunctorIdddZZZNS0_20copysign_kernel_cudaERNS_18TensorIteratorBaseEENKUlvE_clEvENKUlvE_clEvEUlddE_EESt5arrayIPcLm3EEEEviT0_T1_,"axG",@progbits,_ZN2at6native29vectorized_elementwise_kernelILi16ENS0_13BinaryFunctorIdddZZZNS0_20copysign_kernel_cudaERNS_18TensorIteratorBaseEENKUlvE_clEvENKUlvE_clEvEUlddE_EESt5arrayIPcLm3EEEEviT0_T1_,comdat
.Lfunc_end64:
	.size	_ZN2at6native29vectorized_elementwise_kernelILi16ENS0_13BinaryFunctorIdddZZZNS0_20copysign_kernel_cudaERNS_18TensorIteratorBaseEENKUlvE_clEvENKUlvE_clEvEUlddE_EESt5arrayIPcLm3EEEEviT0_T1_, .Lfunc_end64-_ZN2at6native29vectorized_elementwise_kernelILi16ENS0_13BinaryFunctorIdddZZZNS0_20copysign_kernel_cudaERNS_18TensorIteratorBaseEENKUlvE_clEvENKUlvE_clEvEUlddE_EESt5arrayIPcLm3EEEEviT0_T1_
                                        ; -- End function
	.section	.AMDGPU.csdata,"",@progbits
; Kernel info:
; codeLenInByte = 1052
; NumSgprs: 20
; NumVgprs: 24
; NumAgprs: 0
; TotalNumVgprs: 24
; ScratchSize: 0
; MemoryBound: 0
; FloatMode: 240
; IeeeMode: 1
; LDSByteSize: 0 bytes/workgroup (compile time only)
; SGPRBlocks: 2
; VGPRBlocks: 2
; NumSGPRsForWavesPerEU: 20
; NumVGPRsForWavesPerEU: 24
; AccumOffset: 24
; Occupancy: 8
; WaveLimiterHint : 0
; COMPUTE_PGM_RSRC2:SCRATCH_EN: 0
; COMPUTE_PGM_RSRC2:USER_SGPR: 6
; COMPUTE_PGM_RSRC2:TRAP_HANDLER: 0
; COMPUTE_PGM_RSRC2:TGID_X_EN: 1
; COMPUTE_PGM_RSRC2:TGID_Y_EN: 0
; COMPUTE_PGM_RSRC2:TGID_Z_EN: 0
; COMPUTE_PGM_RSRC2:TIDIG_COMP_CNT: 0
; COMPUTE_PGM_RSRC3_GFX90A:ACCUM_OFFSET: 5
; COMPUTE_PGM_RSRC3_GFX90A:TG_SPLIT: 0
	.section	.text._ZN2at6native29vectorized_elementwise_kernelILi8ENS0_13BinaryFunctorIdddZZZNS0_20copysign_kernel_cudaERNS_18TensorIteratorBaseEENKUlvE_clEvENKUlvE_clEvEUlddE_EESt5arrayIPcLm3EEEEviT0_T1_,"axG",@progbits,_ZN2at6native29vectorized_elementwise_kernelILi8ENS0_13BinaryFunctorIdddZZZNS0_20copysign_kernel_cudaERNS_18TensorIteratorBaseEENKUlvE_clEvENKUlvE_clEvEUlddE_EESt5arrayIPcLm3EEEEviT0_T1_,comdat
	.globl	_ZN2at6native29vectorized_elementwise_kernelILi8ENS0_13BinaryFunctorIdddZZZNS0_20copysign_kernel_cudaERNS_18TensorIteratorBaseEENKUlvE_clEvENKUlvE_clEvEUlddE_EESt5arrayIPcLm3EEEEviT0_T1_ ; -- Begin function _ZN2at6native29vectorized_elementwise_kernelILi8ENS0_13BinaryFunctorIdddZZZNS0_20copysign_kernel_cudaERNS_18TensorIteratorBaseEENKUlvE_clEvENKUlvE_clEvEUlddE_EESt5arrayIPcLm3EEEEviT0_T1_
	.p2align	8
	.type	_ZN2at6native29vectorized_elementwise_kernelILi8ENS0_13BinaryFunctorIdddZZZNS0_20copysign_kernel_cudaERNS_18TensorIteratorBaseEENKUlvE_clEvENKUlvE_clEvEUlddE_EESt5arrayIPcLm3EEEEviT0_T1_,@function
_ZN2at6native29vectorized_elementwise_kernelILi8ENS0_13BinaryFunctorIdddZZZNS0_20copysign_kernel_cudaERNS_18TensorIteratorBaseEENKUlvE_clEvENKUlvE_clEvEUlddE_EESt5arrayIPcLm3EEEEviT0_T1_: ; @_ZN2at6native29vectorized_elementwise_kernelILi8ENS0_13BinaryFunctorIdddZZZNS0_20copysign_kernel_cudaERNS_18TensorIteratorBaseEENKUlvE_clEvENKUlvE_clEvEUlddE_EESt5arrayIPcLm3EEEEviT0_T1_
; %bb.0:
	s_load_dword s0, s[4:5], 0x0
	s_load_dwordx4 s[8:11], s[4:5], 0x8
	s_load_dwordx2 s[12:13], s[4:5], 0x18
	s_lshl_b32 s2, s6, 10
	s_waitcnt lgkmcnt(0)
	s_sub_i32 s6, s0, s2
	s_cmpk_gt_i32 s6, 0x3ff
	s_mov_b64 s[0:1], -1
	s_cbranch_scc0 .LBB65_2
; %bb.1:
	s_ashr_i32 s3, s2, 31
	s_lshl_b64 s[0:1], s[2:3], 3
	s_add_u32 s4, s10, s0
	s_addc_u32 s5, s11, s1
	v_lshlrev_b32_e32 v1, 5, v0
	s_add_u32 s14, s12, s0
	global_load_dwordx4 v[2:5], v1, s[4:5]
	s_addc_u32 s15, s13, s1
	global_load_dwordx4 v[6:9], v1, s[14:15]
	global_load_dwordx4 v[10:13], v1, s[4:5] offset:16
	global_load_dwordx4 v[14:17], v1, s[14:15] offset:16
	s_brev_b32 s3, -2
	s_add_u32 s0, s8, s0
	s_addc_u32 s1, s9, s1
	s_waitcnt vmcnt(2)
	v_bfi_b32 v3, s3, v3, v7
	v_bfi_b32 v5, s3, v5, v9
	s_waitcnt vmcnt(0)
	v_bfi_b32 v11, s3, v11, v15
	v_bfi_b32 v13, s3, v13, v17
	global_store_dwordx4 v1, v[2:5], s[0:1]
	global_store_dwordx4 v1, v[10:13], s[0:1] offset:16
	s_mov_b64 s[0:1], 0
.LBB65_2:
	s_andn2_b64 vcc, exec, s[0:1]
	s_cbranch_vccnz .LBB65_16
; %bb.3:
	v_pk_mov_b32 v[6:7], 0, 0
	v_cmp_gt_i32_e32 vcc, s6, v0
	v_or_b32_e32 v2, s2, v0
	v_pk_mov_b32 v[4:5], v[6:7], v[6:7] op_sel:[0,1]
	v_pk_mov_b32 v[8:9], v[6:7], v[6:7] op_sel:[0,1]
	v_mov_b32_e32 v1, v0
	s_and_saveexec_b64 s[4:5], vcc
	s_cbranch_execz .LBB65_5
; %bb.4:
	v_mov_b32_e32 v3, 0
	v_lshlrev_b64 v[4:5], 3, v[2:3]
	v_mov_b32_e32 v1, s13
	v_add_co_u32_e64 v10, s[0:1], s12, v4
	v_addc_co_u32_e64 v11, s[0:1], v1, v5, s[0:1]
	v_mov_b32_e32 v1, s11
	v_add_co_u32_e64 v12, s[0:1], s10, v4
	v_addc_co_u32_e64 v13, s[0:1], v1, v5, s[0:1]
	global_load_dwordx2 v[4:5], v[12:13], off
	global_load_dwordx2 v[8:9], v[10:11], off
	v_or_b32_e32 v1, 0x100, v0
.LBB65_5:
	s_or_b64 exec, exec, s[4:5]
	v_cmp_gt_i32_e64 s[0:1], s6, v1
	v_pk_mov_b32 v[10:11], v[6:7], v[6:7] op_sel:[0,1]
	s_and_saveexec_b64 s[4:5], s[0:1]
	s_cbranch_execz .LBB65_7
; %bb.6:
	v_add_u32_e32 v6, s2, v1
	v_mov_b32_e32 v7, 0
	v_lshlrev_b64 v[6:7], 3, v[6:7]
	v_mov_b32_e32 v3, s13
	v_add_co_u32_e64 v12, s[0:1], s12, v6
	v_addc_co_u32_e64 v13, s[0:1], v3, v7, s[0:1]
	v_mov_b32_e32 v3, s11
	v_add_co_u32_e64 v14, s[0:1], s10, v6
	v_addc_co_u32_e64 v15, s[0:1], v3, v7, s[0:1]
	global_load_dwordx2 v[6:7], v[14:15], off
	global_load_dwordx2 v[10:11], v[12:13], off
	v_add_u32_e32 v1, 0x100, v1
.LBB65_7:
	s_or_b64 exec, exec, s[4:5]
	v_pk_mov_b32 v[12:13], 0, 0
	v_cmp_gt_i32_e64 s[0:1], s6, v1
	v_pk_mov_b32 v[14:15], v[12:13], v[12:13] op_sel:[0,1]
	v_pk_mov_b32 v[16:17], v[12:13], v[12:13] op_sel:[0,1]
	s_and_saveexec_b64 s[4:5], s[0:1]
	s_cbranch_execz .LBB65_9
; %bb.8:
	v_add_u32_e32 v14, s2, v1
	v_mov_b32_e32 v15, 0
	v_lshlrev_b64 v[14:15], 3, v[14:15]
	v_mov_b32_e32 v3, s13
	v_add_co_u32_e64 v18, s[0:1], s12, v14
	v_addc_co_u32_e64 v19, s[0:1], v3, v15, s[0:1]
	v_mov_b32_e32 v3, s11
	v_add_co_u32_e64 v20, s[0:1], s10, v14
	v_addc_co_u32_e64 v21, s[0:1], v3, v15, s[0:1]
	global_load_dwordx2 v[14:15], v[20:21], off
	global_load_dwordx2 v[16:17], v[18:19], off
	v_add_u32_e32 v1, 0x100, v1
.LBB65_9:
	s_or_b64 exec, exec, s[4:5]
	v_cmp_gt_i32_e64 s[0:1], s6, v1
	v_pk_mov_b32 v[18:19], v[12:13], v[12:13] op_sel:[0,1]
	s_and_saveexec_b64 s[4:5], s[0:1]
	s_cbranch_execz .LBB65_11
; %bb.10:
	v_add_u32_e32 v12, s2, v1
	v_mov_b32_e32 v13, 0
	v_lshlrev_b64 v[12:13], 3, v[12:13]
	v_mov_b32_e32 v1, s13
	v_add_co_u32_e64 v20, s[0:1], s12, v12
	v_addc_co_u32_e64 v21, s[0:1], v1, v13, s[0:1]
	v_mov_b32_e32 v1, s11
	v_add_co_u32_e64 v22, s[0:1], s10, v12
	v_addc_co_u32_e64 v23, s[0:1], v1, v13, s[0:1]
	global_load_dwordx2 v[12:13], v[22:23], off
	global_load_dwordx2 v[18:19], v[20:21], off
.LBB65_11:
	s_or_b64 exec, exec, s[4:5]
	s_brev_b32 s3, -2
	v_or_b32_e32 v1, 0x100, v0
	s_waitcnt vmcnt(0)
	v_bfi_b32 v5, s3, v5, v9
	v_bfi_b32 v3, s3, v7, v11
	v_cmp_gt_i32_e64 s[0:1], s6, v1
	v_cndmask_b32_e64 v11, v5, v3, s[0:1]
	v_or_b32_e32 v3, 0x200, v0
	v_cndmask_b32_e64 v10, v4, v6, s[0:1]
	v_bfi_b32 v6, s3, v15, v17
	v_cmp_gt_i32_e64 s[0:1], s6, v3
	v_or_b32_e32 v3, 0x300, v0
	v_cndmask_b32_e64 v9, v5, v6, s[0:1]
	v_cndmask_b32_e64 v8, v4, v14, s[0:1]
	v_bfi_b32 v6, s3, v13, v19
	v_cmp_gt_i32_e64 s[0:1], s6, v3
	v_cndmask_b32_e64 v7, v5, v6, s[0:1]
	v_cndmask_b32_e64 v6, v4, v12, s[0:1]
	s_and_saveexec_b64 s[0:1], vcc
	s_cbranch_execnz .LBB65_17
; %bb.12:
	s_or_b64 exec, exec, s[0:1]
	v_cmp_gt_i32_e32 vcc, s6, v0
	s_and_saveexec_b64 s[0:1], vcc
	s_cbranch_execnz .LBB65_18
.LBB65_13:
	s_or_b64 exec, exec, s[0:1]
	v_cmp_gt_i32_e32 vcc, s6, v0
	s_and_saveexec_b64 s[0:1], vcc
	s_cbranch_execnz .LBB65_19
.LBB65_14:
	s_or_b64 exec, exec, s[0:1]
	v_cmp_gt_i32_e32 vcc, s6, v0
	s_and_saveexec_b64 s[0:1], vcc
	s_cbranch_execz .LBB65_16
.LBB65_15:
	v_add_u32_e32 v0, s2, v0
	v_mov_b32_e32 v1, 0
	v_lshlrev_b64 v[0:1], 3, v[0:1]
	v_mov_b32_e32 v2, s9
	v_add_co_u32_e32 v0, vcc, s8, v0
	v_addc_co_u32_e32 v1, vcc, v2, v1, vcc
	global_store_dwordx2 v[0:1], v[6:7], off
.LBB65_16:
	s_endpgm
.LBB65_17:
	v_mov_b32_e32 v3, 0
	v_lshlrev_b64 v[2:3], 3, v[2:3]
	v_mov_b32_e32 v0, s9
	v_add_co_u32_e32 v2, vcc, s8, v2
	v_addc_co_u32_e32 v3, vcc, v0, v3, vcc
	v_mov_b32_e32 v0, v1
	global_store_dwordx2 v[2:3], v[4:5], off
	s_or_b64 exec, exec, s[0:1]
	v_cmp_gt_i32_e32 vcc, s6, v0
	s_and_saveexec_b64 s[0:1], vcc
	s_cbranch_execz .LBB65_13
.LBB65_18:
	v_add_u32_e32 v2, s2, v0
	v_mov_b32_e32 v3, 0
	v_lshlrev_b64 v[2:3], 3, v[2:3]
	v_mov_b32_e32 v1, s9
	v_add_co_u32_e32 v2, vcc, s8, v2
	v_addc_co_u32_e32 v3, vcc, v1, v3, vcc
	v_add_u32_e32 v0, 0x100, v0
	global_store_dwordx2 v[2:3], v[10:11], off
	s_or_b64 exec, exec, s[0:1]
	v_cmp_gt_i32_e32 vcc, s6, v0
	s_and_saveexec_b64 s[0:1], vcc
	s_cbranch_execz .LBB65_14
.LBB65_19:
	v_add_u32_e32 v2, s2, v0
	v_mov_b32_e32 v3, 0
	v_lshlrev_b64 v[2:3], 3, v[2:3]
	v_mov_b32_e32 v1, s9
	v_add_co_u32_e32 v2, vcc, s8, v2
	v_addc_co_u32_e32 v3, vcc, v1, v3, vcc
	v_add_u32_e32 v0, 0x100, v0
	global_store_dwordx2 v[2:3], v[8:9], off
	s_or_b64 exec, exec, s[0:1]
	v_cmp_gt_i32_e32 vcc, s6, v0
	s_and_saveexec_b64 s[0:1], vcc
	s_cbranch_execnz .LBB65_15
	s_branch .LBB65_16
	.section	.rodata,"a",@progbits
	.p2align	6, 0x0
	.amdhsa_kernel _ZN2at6native29vectorized_elementwise_kernelILi8ENS0_13BinaryFunctorIdddZZZNS0_20copysign_kernel_cudaERNS_18TensorIteratorBaseEENKUlvE_clEvENKUlvE_clEvEUlddE_EESt5arrayIPcLm3EEEEviT0_T1_
		.amdhsa_group_segment_fixed_size 0
		.amdhsa_private_segment_fixed_size 0
		.amdhsa_kernarg_size 32
		.amdhsa_user_sgpr_count 6
		.amdhsa_user_sgpr_private_segment_buffer 1
		.amdhsa_user_sgpr_dispatch_ptr 0
		.amdhsa_user_sgpr_queue_ptr 0
		.amdhsa_user_sgpr_kernarg_segment_ptr 1
		.amdhsa_user_sgpr_dispatch_id 0
		.amdhsa_user_sgpr_flat_scratch_init 0
		.amdhsa_user_sgpr_kernarg_preload_length 0
		.amdhsa_user_sgpr_kernarg_preload_offset 0
		.amdhsa_user_sgpr_private_segment_size 0
		.amdhsa_uses_dynamic_stack 0
		.amdhsa_system_sgpr_private_segment_wavefront_offset 0
		.amdhsa_system_sgpr_workgroup_id_x 1
		.amdhsa_system_sgpr_workgroup_id_y 0
		.amdhsa_system_sgpr_workgroup_id_z 0
		.amdhsa_system_sgpr_workgroup_info 0
		.amdhsa_system_vgpr_workitem_id 0
		.amdhsa_next_free_vgpr 24
		.amdhsa_next_free_sgpr 16
		.amdhsa_accum_offset 24
		.amdhsa_reserve_vcc 1
		.amdhsa_reserve_flat_scratch 0
		.amdhsa_float_round_mode_32 0
		.amdhsa_float_round_mode_16_64 0
		.amdhsa_float_denorm_mode_32 3
		.amdhsa_float_denorm_mode_16_64 3
		.amdhsa_dx10_clamp 1
		.amdhsa_ieee_mode 1
		.amdhsa_fp16_overflow 0
		.amdhsa_tg_split 0
		.amdhsa_exception_fp_ieee_invalid_op 0
		.amdhsa_exception_fp_denorm_src 0
		.amdhsa_exception_fp_ieee_div_zero 0
		.amdhsa_exception_fp_ieee_overflow 0
		.amdhsa_exception_fp_ieee_underflow 0
		.amdhsa_exception_fp_ieee_inexact 0
		.amdhsa_exception_int_div_zero 0
	.end_amdhsa_kernel
	.section	.text._ZN2at6native29vectorized_elementwise_kernelILi8ENS0_13BinaryFunctorIdddZZZNS0_20copysign_kernel_cudaERNS_18TensorIteratorBaseEENKUlvE_clEvENKUlvE_clEvEUlddE_EESt5arrayIPcLm3EEEEviT0_T1_,"axG",@progbits,_ZN2at6native29vectorized_elementwise_kernelILi8ENS0_13BinaryFunctorIdddZZZNS0_20copysign_kernel_cudaERNS_18TensorIteratorBaseEENKUlvE_clEvENKUlvE_clEvEUlddE_EESt5arrayIPcLm3EEEEviT0_T1_,comdat
.Lfunc_end65:
	.size	_ZN2at6native29vectorized_elementwise_kernelILi8ENS0_13BinaryFunctorIdddZZZNS0_20copysign_kernel_cudaERNS_18TensorIteratorBaseEENKUlvE_clEvENKUlvE_clEvEUlddE_EESt5arrayIPcLm3EEEEviT0_T1_, .Lfunc_end65-_ZN2at6native29vectorized_elementwise_kernelILi8ENS0_13BinaryFunctorIdddZZZNS0_20copysign_kernel_cudaERNS_18TensorIteratorBaseEENKUlvE_clEvENKUlvE_clEvEUlddE_EESt5arrayIPcLm3EEEEviT0_T1_
                                        ; -- End function
	.section	.AMDGPU.csdata,"",@progbits
; Kernel info:
; codeLenInByte = 1052
; NumSgprs: 20
; NumVgprs: 24
; NumAgprs: 0
; TotalNumVgprs: 24
; ScratchSize: 0
; MemoryBound: 0
; FloatMode: 240
; IeeeMode: 1
; LDSByteSize: 0 bytes/workgroup (compile time only)
; SGPRBlocks: 2
; VGPRBlocks: 2
; NumSGPRsForWavesPerEU: 20
; NumVGPRsForWavesPerEU: 24
; AccumOffset: 24
; Occupancy: 8
; WaveLimiterHint : 0
; COMPUTE_PGM_RSRC2:SCRATCH_EN: 0
; COMPUTE_PGM_RSRC2:USER_SGPR: 6
; COMPUTE_PGM_RSRC2:TRAP_HANDLER: 0
; COMPUTE_PGM_RSRC2:TGID_X_EN: 1
; COMPUTE_PGM_RSRC2:TGID_Y_EN: 0
; COMPUTE_PGM_RSRC2:TGID_Z_EN: 0
; COMPUTE_PGM_RSRC2:TIDIG_COMP_CNT: 0
; COMPUTE_PGM_RSRC3_GFX90A:ACCUM_OFFSET: 5
; COMPUTE_PGM_RSRC3_GFX90A:TG_SPLIT: 0
	.section	.text._ZN2at6native29vectorized_elementwise_kernelILi4ENS0_13BinaryFunctorIdddZZZNS0_20copysign_kernel_cudaERNS_18TensorIteratorBaseEENKUlvE_clEvENKUlvE_clEvEUlddE_EESt5arrayIPcLm3EEEEviT0_T1_,"axG",@progbits,_ZN2at6native29vectorized_elementwise_kernelILi4ENS0_13BinaryFunctorIdddZZZNS0_20copysign_kernel_cudaERNS_18TensorIteratorBaseEENKUlvE_clEvENKUlvE_clEvEUlddE_EESt5arrayIPcLm3EEEEviT0_T1_,comdat
	.globl	_ZN2at6native29vectorized_elementwise_kernelILi4ENS0_13BinaryFunctorIdddZZZNS0_20copysign_kernel_cudaERNS_18TensorIteratorBaseEENKUlvE_clEvENKUlvE_clEvEUlddE_EESt5arrayIPcLm3EEEEviT0_T1_ ; -- Begin function _ZN2at6native29vectorized_elementwise_kernelILi4ENS0_13BinaryFunctorIdddZZZNS0_20copysign_kernel_cudaERNS_18TensorIteratorBaseEENKUlvE_clEvENKUlvE_clEvEUlddE_EESt5arrayIPcLm3EEEEviT0_T1_
	.p2align	8
	.type	_ZN2at6native29vectorized_elementwise_kernelILi4ENS0_13BinaryFunctorIdddZZZNS0_20copysign_kernel_cudaERNS_18TensorIteratorBaseEENKUlvE_clEvENKUlvE_clEvEUlddE_EESt5arrayIPcLm3EEEEviT0_T1_,@function
_ZN2at6native29vectorized_elementwise_kernelILi4ENS0_13BinaryFunctorIdddZZZNS0_20copysign_kernel_cudaERNS_18TensorIteratorBaseEENKUlvE_clEvENKUlvE_clEvEUlddE_EESt5arrayIPcLm3EEEEviT0_T1_: ; @_ZN2at6native29vectorized_elementwise_kernelILi4ENS0_13BinaryFunctorIdddZZZNS0_20copysign_kernel_cudaERNS_18TensorIteratorBaseEENKUlvE_clEvENKUlvE_clEvEUlddE_EESt5arrayIPcLm3EEEEviT0_T1_
; %bb.0:
	s_load_dword s0, s[4:5], 0x0
	s_load_dwordx4 s[8:11], s[4:5], 0x8
	s_load_dwordx2 s[12:13], s[4:5], 0x18
	s_lshl_b32 s2, s6, 10
	s_waitcnt lgkmcnt(0)
	s_sub_i32 s6, s0, s2
	s_cmpk_gt_i32 s6, 0x3ff
	s_mov_b64 s[0:1], -1
	s_cbranch_scc0 .LBB66_2
; %bb.1:
	s_ashr_i32 s3, s2, 31
	s_lshl_b64 s[0:1], s[2:3], 3
	s_add_u32 s4, s10, s0
	s_addc_u32 s5, s11, s1
	v_lshlrev_b32_e32 v1, 5, v0
	s_add_u32 s14, s12, s0
	global_load_dwordx4 v[2:5], v1, s[4:5]
	s_addc_u32 s15, s13, s1
	global_load_dwordx4 v[6:9], v1, s[14:15]
	global_load_dwordx4 v[10:13], v1, s[4:5] offset:16
	global_load_dwordx4 v[14:17], v1, s[14:15] offset:16
	s_brev_b32 s3, -2
	s_add_u32 s0, s8, s0
	s_addc_u32 s1, s9, s1
	s_waitcnt vmcnt(2)
	v_bfi_b32 v3, s3, v3, v7
	v_bfi_b32 v5, s3, v5, v9
	s_waitcnt vmcnt(0)
	v_bfi_b32 v11, s3, v11, v15
	v_bfi_b32 v13, s3, v13, v17
	global_store_dwordx4 v1, v[2:5], s[0:1]
	global_store_dwordx4 v1, v[10:13], s[0:1] offset:16
	s_mov_b64 s[0:1], 0
.LBB66_2:
	s_andn2_b64 vcc, exec, s[0:1]
	s_cbranch_vccnz .LBB66_16
; %bb.3:
	v_pk_mov_b32 v[6:7], 0, 0
	v_cmp_gt_i32_e32 vcc, s6, v0
	v_or_b32_e32 v2, s2, v0
	v_pk_mov_b32 v[4:5], v[6:7], v[6:7] op_sel:[0,1]
	v_pk_mov_b32 v[8:9], v[6:7], v[6:7] op_sel:[0,1]
	v_mov_b32_e32 v1, v0
	s_and_saveexec_b64 s[4:5], vcc
	s_cbranch_execz .LBB66_5
; %bb.4:
	v_mov_b32_e32 v3, 0
	v_lshlrev_b64 v[4:5], 3, v[2:3]
	v_mov_b32_e32 v1, s13
	v_add_co_u32_e64 v10, s[0:1], s12, v4
	v_addc_co_u32_e64 v11, s[0:1], v1, v5, s[0:1]
	v_mov_b32_e32 v1, s11
	v_add_co_u32_e64 v12, s[0:1], s10, v4
	v_addc_co_u32_e64 v13, s[0:1], v1, v5, s[0:1]
	global_load_dwordx2 v[4:5], v[12:13], off
	global_load_dwordx2 v[8:9], v[10:11], off
	v_or_b32_e32 v1, 0x100, v0
.LBB66_5:
	s_or_b64 exec, exec, s[4:5]
	v_cmp_gt_i32_e64 s[0:1], s6, v1
	v_pk_mov_b32 v[10:11], v[6:7], v[6:7] op_sel:[0,1]
	s_and_saveexec_b64 s[4:5], s[0:1]
	s_cbranch_execz .LBB66_7
; %bb.6:
	v_add_u32_e32 v6, s2, v1
	v_mov_b32_e32 v7, 0
	v_lshlrev_b64 v[6:7], 3, v[6:7]
	v_mov_b32_e32 v3, s13
	v_add_co_u32_e64 v12, s[0:1], s12, v6
	v_addc_co_u32_e64 v13, s[0:1], v3, v7, s[0:1]
	v_mov_b32_e32 v3, s11
	v_add_co_u32_e64 v14, s[0:1], s10, v6
	v_addc_co_u32_e64 v15, s[0:1], v3, v7, s[0:1]
	global_load_dwordx2 v[6:7], v[14:15], off
	global_load_dwordx2 v[10:11], v[12:13], off
	v_add_u32_e32 v1, 0x100, v1
.LBB66_7:
	s_or_b64 exec, exec, s[4:5]
	v_pk_mov_b32 v[12:13], 0, 0
	v_cmp_gt_i32_e64 s[0:1], s6, v1
	v_pk_mov_b32 v[14:15], v[12:13], v[12:13] op_sel:[0,1]
	v_pk_mov_b32 v[16:17], v[12:13], v[12:13] op_sel:[0,1]
	s_and_saveexec_b64 s[4:5], s[0:1]
	s_cbranch_execz .LBB66_9
; %bb.8:
	v_add_u32_e32 v14, s2, v1
	v_mov_b32_e32 v15, 0
	v_lshlrev_b64 v[14:15], 3, v[14:15]
	v_mov_b32_e32 v3, s13
	v_add_co_u32_e64 v18, s[0:1], s12, v14
	v_addc_co_u32_e64 v19, s[0:1], v3, v15, s[0:1]
	v_mov_b32_e32 v3, s11
	v_add_co_u32_e64 v20, s[0:1], s10, v14
	v_addc_co_u32_e64 v21, s[0:1], v3, v15, s[0:1]
	global_load_dwordx2 v[14:15], v[20:21], off
	global_load_dwordx2 v[16:17], v[18:19], off
	v_add_u32_e32 v1, 0x100, v1
.LBB66_9:
	s_or_b64 exec, exec, s[4:5]
	v_cmp_gt_i32_e64 s[0:1], s6, v1
	v_pk_mov_b32 v[18:19], v[12:13], v[12:13] op_sel:[0,1]
	s_and_saveexec_b64 s[4:5], s[0:1]
	s_cbranch_execz .LBB66_11
; %bb.10:
	v_add_u32_e32 v12, s2, v1
	v_mov_b32_e32 v13, 0
	v_lshlrev_b64 v[12:13], 3, v[12:13]
	v_mov_b32_e32 v1, s13
	v_add_co_u32_e64 v20, s[0:1], s12, v12
	v_addc_co_u32_e64 v21, s[0:1], v1, v13, s[0:1]
	v_mov_b32_e32 v1, s11
	v_add_co_u32_e64 v22, s[0:1], s10, v12
	v_addc_co_u32_e64 v23, s[0:1], v1, v13, s[0:1]
	global_load_dwordx2 v[12:13], v[22:23], off
	global_load_dwordx2 v[18:19], v[20:21], off
.LBB66_11:
	s_or_b64 exec, exec, s[4:5]
	s_brev_b32 s3, -2
	v_or_b32_e32 v1, 0x100, v0
	s_waitcnt vmcnt(0)
	v_bfi_b32 v5, s3, v5, v9
	v_bfi_b32 v3, s3, v7, v11
	v_cmp_gt_i32_e64 s[0:1], s6, v1
	v_cndmask_b32_e64 v11, v5, v3, s[0:1]
	v_or_b32_e32 v3, 0x200, v0
	v_cndmask_b32_e64 v10, v4, v6, s[0:1]
	v_bfi_b32 v6, s3, v15, v17
	v_cmp_gt_i32_e64 s[0:1], s6, v3
	v_or_b32_e32 v3, 0x300, v0
	v_cndmask_b32_e64 v9, v5, v6, s[0:1]
	v_cndmask_b32_e64 v8, v4, v14, s[0:1]
	v_bfi_b32 v6, s3, v13, v19
	v_cmp_gt_i32_e64 s[0:1], s6, v3
	v_cndmask_b32_e64 v7, v5, v6, s[0:1]
	v_cndmask_b32_e64 v6, v4, v12, s[0:1]
	s_and_saveexec_b64 s[0:1], vcc
	s_cbranch_execnz .LBB66_17
; %bb.12:
	s_or_b64 exec, exec, s[0:1]
	v_cmp_gt_i32_e32 vcc, s6, v0
	s_and_saveexec_b64 s[0:1], vcc
	s_cbranch_execnz .LBB66_18
.LBB66_13:
	s_or_b64 exec, exec, s[0:1]
	v_cmp_gt_i32_e32 vcc, s6, v0
	s_and_saveexec_b64 s[0:1], vcc
	s_cbranch_execnz .LBB66_19
.LBB66_14:
	s_or_b64 exec, exec, s[0:1]
	v_cmp_gt_i32_e32 vcc, s6, v0
	s_and_saveexec_b64 s[0:1], vcc
	s_cbranch_execz .LBB66_16
.LBB66_15:
	v_add_u32_e32 v0, s2, v0
	v_mov_b32_e32 v1, 0
	v_lshlrev_b64 v[0:1], 3, v[0:1]
	v_mov_b32_e32 v2, s9
	v_add_co_u32_e32 v0, vcc, s8, v0
	v_addc_co_u32_e32 v1, vcc, v2, v1, vcc
	global_store_dwordx2 v[0:1], v[6:7], off
.LBB66_16:
	s_endpgm
.LBB66_17:
	v_mov_b32_e32 v3, 0
	v_lshlrev_b64 v[2:3], 3, v[2:3]
	v_mov_b32_e32 v0, s9
	v_add_co_u32_e32 v2, vcc, s8, v2
	v_addc_co_u32_e32 v3, vcc, v0, v3, vcc
	v_mov_b32_e32 v0, v1
	global_store_dwordx2 v[2:3], v[4:5], off
	s_or_b64 exec, exec, s[0:1]
	v_cmp_gt_i32_e32 vcc, s6, v0
	s_and_saveexec_b64 s[0:1], vcc
	s_cbranch_execz .LBB66_13
.LBB66_18:
	v_add_u32_e32 v2, s2, v0
	v_mov_b32_e32 v3, 0
	v_lshlrev_b64 v[2:3], 3, v[2:3]
	v_mov_b32_e32 v1, s9
	v_add_co_u32_e32 v2, vcc, s8, v2
	v_addc_co_u32_e32 v3, vcc, v1, v3, vcc
	v_add_u32_e32 v0, 0x100, v0
	global_store_dwordx2 v[2:3], v[10:11], off
	s_or_b64 exec, exec, s[0:1]
	v_cmp_gt_i32_e32 vcc, s6, v0
	s_and_saveexec_b64 s[0:1], vcc
	s_cbranch_execz .LBB66_14
.LBB66_19:
	v_add_u32_e32 v2, s2, v0
	v_mov_b32_e32 v3, 0
	v_lshlrev_b64 v[2:3], 3, v[2:3]
	v_mov_b32_e32 v1, s9
	v_add_co_u32_e32 v2, vcc, s8, v2
	v_addc_co_u32_e32 v3, vcc, v1, v3, vcc
	v_add_u32_e32 v0, 0x100, v0
	global_store_dwordx2 v[2:3], v[8:9], off
	s_or_b64 exec, exec, s[0:1]
	v_cmp_gt_i32_e32 vcc, s6, v0
	s_and_saveexec_b64 s[0:1], vcc
	s_cbranch_execnz .LBB66_15
	s_branch .LBB66_16
	.section	.rodata,"a",@progbits
	.p2align	6, 0x0
	.amdhsa_kernel _ZN2at6native29vectorized_elementwise_kernelILi4ENS0_13BinaryFunctorIdddZZZNS0_20copysign_kernel_cudaERNS_18TensorIteratorBaseEENKUlvE_clEvENKUlvE_clEvEUlddE_EESt5arrayIPcLm3EEEEviT0_T1_
		.amdhsa_group_segment_fixed_size 0
		.amdhsa_private_segment_fixed_size 0
		.amdhsa_kernarg_size 32
		.amdhsa_user_sgpr_count 6
		.amdhsa_user_sgpr_private_segment_buffer 1
		.amdhsa_user_sgpr_dispatch_ptr 0
		.amdhsa_user_sgpr_queue_ptr 0
		.amdhsa_user_sgpr_kernarg_segment_ptr 1
		.amdhsa_user_sgpr_dispatch_id 0
		.amdhsa_user_sgpr_flat_scratch_init 0
		.amdhsa_user_sgpr_kernarg_preload_length 0
		.amdhsa_user_sgpr_kernarg_preload_offset 0
		.amdhsa_user_sgpr_private_segment_size 0
		.amdhsa_uses_dynamic_stack 0
		.amdhsa_system_sgpr_private_segment_wavefront_offset 0
		.amdhsa_system_sgpr_workgroup_id_x 1
		.amdhsa_system_sgpr_workgroup_id_y 0
		.amdhsa_system_sgpr_workgroup_id_z 0
		.amdhsa_system_sgpr_workgroup_info 0
		.amdhsa_system_vgpr_workitem_id 0
		.amdhsa_next_free_vgpr 24
		.amdhsa_next_free_sgpr 16
		.amdhsa_accum_offset 24
		.amdhsa_reserve_vcc 1
		.amdhsa_reserve_flat_scratch 0
		.amdhsa_float_round_mode_32 0
		.amdhsa_float_round_mode_16_64 0
		.amdhsa_float_denorm_mode_32 3
		.amdhsa_float_denorm_mode_16_64 3
		.amdhsa_dx10_clamp 1
		.amdhsa_ieee_mode 1
		.amdhsa_fp16_overflow 0
		.amdhsa_tg_split 0
		.amdhsa_exception_fp_ieee_invalid_op 0
		.amdhsa_exception_fp_denorm_src 0
		.amdhsa_exception_fp_ieee_div_zero 0
		.amdhsa_exception_fp_ieee_overflow 0
		.amdhsa_exception_fp_ieee_underflow 0
		.amdhsa_exception_fp_ieee_inexact 0
		.amdhsa_exception_int_div_zero 0
	.end_amdhsa_kernel
	.section	.text._ZN2at6native29vectorized_elementwise_kernelILi4ENS0_13BinaryFunctorIdddZZZNS0_20copysign_kernel_cudaERNS_18TensorIteratorBaseEENKUlvE_clEvENKUlvE_clEvEUlddE_EESt5arrayIPcLm3EEEEviT0_T1_,"axG",@progbits,_ZN2at6native29vectorized_elementwise_kernelILi4ENS0_13BinaryFunctorIdddZZZNS0_20copysign_kernel_cudaERNS_18TensorIteratorBaseEENKUlvE_clEvENKUlvE_clEvEUlddE_EESt5arrayIPcLm3EEEEviT0_T1_,comdat
.Lfunc_end66:
	.size	_ZN2at6native29vectorized_elementwise_kernelILi4ENS0_13BinaryFunctorIdddZZZNS0_20copysign_kernel_cudaERNS_18TensorIteratorBaseEENKUlvE_clEvENKUlvE_clEvEUlddE_EESt5arrayIPcLm3EEEEviT0_T1_, .Lfunc_end66-_ZN2at6native29vectorized_elementwise_kernelILi4ENS0_13BinaryFunctorIdddZZZNS0_20copysign_kernel_cudaERNS_18TensorIteratorBaseEENKUlvE_clEvENKUlvE_clEvEUlddE_EESt5arrayIPcLm3EEEEviT0_T1_
                                        ; -- End function
	.section	.AMDGPU.csdata,"",@progbits
; Kernel info:
; codeLenInByte = 1052
; NumSgprs: 20
; NumVgprs: 24
; NumAgprs: 0
; TotalNumVgprs: 24
; ScratchSize: 0
; MemoryBound: 0
; FloatMode: 240
; IeeeMode: 1
; LDSByteSize: 0 bytes/workgroup (compile time only)
; SGPRBlocks: 2
; VGPRBlocks: 2
; NumSGPRsForWavesPerEU: 20
; NumVGPRsForWavesPerEU: 24
; AccumOffset: 24
; Occupancy: 8
; WaveLimiterHint : 0
; COMPUTE_PGM_RSRC2:SCRATCH_EN: 0
; COMPUTE_PGM_RSRC2:USER_SGPR: 6
; COMPUTE_PGM_RSRC2:TRAP_HANDLER: 0
; COMPUTE_PGM_RSRC2:TGID_X_EN: 1
; COMPUTE_PGM_RSRC2:TGID_Y_EN: 0
; COMPUTE_PGM_RSRC2:TGID_Z_EN: 0
; COMPUTE_PGM_RSRC2:TIDIG_COMP_CNT: 0
; COMPUTE_PGM_RSRC3_GFX90A:ACCUM_OFFSET: 5
; COMPUTE_PGM_RSRC3_GFX90A:TG_SPLIT: 0
	.section	.text._ZN2at6native29vectorized_elementwise_kernelILi2ENS0_13BinaryFunctorIdddZZZNS0_20copysign_kernel_cudaERNS_18TensorIteratorBaseEENKUlvE_clEvENKUlvE_clEvEUlddE_EESt5arrayIPcLm3EEEEviT0_T1_,"axG",@progbits,_ZN2at6native29vectorized_elementwise_kernelILi2ENS0_13BinaryFunctorIdddZZZNS0_20copysign_kernel_cudaERNS_18TensorIteratorBaseEENKUlvE_clEvENKUlvE_clEvEUlddE_EESt5arrayIPcLm3EEEEviT0_T1_,comdat
	.globl	_ZN2at6native29vectorized_elementwise_kernelILi2ENS0_13BinaryFunctorIdddZZZNS0_20copysign_kernel_cudaERNS_18TensorIteratorBaseEENKUlvE_clEvENKUlvE_clEvEUlddE_EESt5arrayIPcLm3EEEEviT0_T1_ ; -- Begin function _ZN2at6native29vectorized_elementwise_kernelILi2ENS0_13BinaryFunctorIdddZZZNS0_20copysign_kernel_cudaERNS_18TensorIteratorBaseEENKUlvE_clEvENKUlvE_clEvEUlddE_EESt5arrayIPcLm3EEEEviT0_T1_
	.p2align	8
	.type	_ZN2at6native29vectorized_elementwise_kernelILi2ENS0_13BinaryFunctorIdddZZZNS0_20copysign_kernel_cudaERNS_18TensorIteratorBaseEENKUlvE_clEvENKUlvE_clEvEUlddE_EESt5arrayIPcLm3EEEEviT0_T1_,@function
_ZN2at6native29vectorized_elementwise_kernelILi2ENS0_13BinaryFunctorIdddZZZNS0_20copysign_kernel_cudaERNS_18TensorIteratorBaseEENKUlvE_clEvENKUlvE_clEvEUlddE_EESt5arrayIPcLm3EEEEviT0_T1_: ; @_ZN2at6native29vectorized_elementwise_kernelILi2ENS0_13BinaryFunctorIdddZZZNS0_20copysign_kernel_cudaERNS_18TensorIteratorBaseEENKUlvE_clEvENKUlvE_clEvEUlddE_EESt5arrayIPcLm3EEEEviT0_T1_
; %bb.0:
	s_load_dword s0, s[4:5], 0x0
	s_load_dwordx4 s[8:11], s[4:5], 0x8
	s_load_dwordx2 s[12:13], s[4:5], 0x18
	s_lshl_b32 s2, s6, 10
	s_waitcnt lgkmcnt(0)
	s_sub_i32 s6, s0, s2
	s_cmpk_gt_i32 s6, 0x3ff
	s_mov_b64 s[0:1], -1
	s_cbranch_scc0 .LBB67_2
; %bb.1:
	s_ashr_i32 s3, s2, 31
	s_lshl_b64 s[0:1], s[2:3], 3
	s_add_u32 s4, s10, s0
	s_addc_u32 s5, s11, s1
	v_lshlrev_b32_e32 v1, 4, v0
	v_mov_b32_e32 v2, s5
	v_add_co_u32_e32 v3, vcc, s4, v1
	v_addc_co_u32_e32 v4, vcc, 0, v2, vcc
	v_add_co_u32_e32 v2, vcc, 0x1000, v3
	s_add_u32 s14, s12, s0
	v_addc_co_u32_e32 v3, vcc, 0, v4, vcc
	s_addc_u32 s15, s13, s1
	v_mov_b32_e32 v6, s15
	v_add_co_u32_e32 v14, vcc, s14, v1
	s_movk_i32 s3, 0x1000
	v_addc_co_u32_e32 v15, vcc, 0, v6, vcc
	v_add_co_u32_e32 v14, vcc, s3, v14
	v_addc_co_u32_e32 v15, vcc, 0, v15, vcc
	global_load_dwordx4 v[2:5], v[2:3], off
	s_nop 0
	global_load_dwordx4 v[6:9], v1, s[4:5]
	global_load_dwordx4 v[10:13], v1, s[14:15]
	s_add_u32 s0, s8, s0
	global_load_dwordx4 v[14:17], v[14:15], off
	s_addc_u32 s1, s9, s1
	s_waitcnt vmcnt(1)
	v_mov_b32_e32 v10, s1
	v_add_co_u32_e32 v12, vcc, s0, v1
	v_addc_co_u32_e32 v10, vcc, 0, v10, vcc
	s_brev_b32 s3, -2
	v_add_co_u32_e32 v18, vcc, 0x1000, v12
	v_addc_co_u32_e32 v19, vcc, 0, v10, vcc
	v_bfi_b32 v7, s3, v7, v11
	v_bfi_b32 v9, s3, v9, v13
	s_waitcnt vmcnt(0)
	v_bfi_b32 v3, s3, v3, v15
	v_bfi_b32 v5, s3, v5, v17
	global_store_dwordx4 v1, v[6:9], s[0:1]
	global_store_dwordx4 v[18:19], v[2:5], off
	s_mov_b64 s[0:1], 0
.LBB67_2:
	s_andn2_b64 vcc, exec, s[0:1]
	s_cbranch_vccnz .LBB67_16
; %bb.3:
	v_pk_mov_b32 v[6:7], 0, 0
	v_cmp_gt_i32_e32 vcc, s6, v0
	v_or_b32_e32 v2, s2, v0
	v_pk_mov_b32 v[4:5], v[6:7], v[6:7] op_sel:[0,1]
	v_pk_mov_b32 v[8:9], v[6:7], v[6:7] op_sel:[0,1]
	v_mov_b32_e32 v1, v0
	s_and_saveexec_b64 s[4:5], vcc
	s_cbranch_execz .LBB67_5
; %bb.4:
	v_mov_b32_e32 v3, 0
	v_lshlrev_b64 v[4:5], 3, v[2:3]
	v_mov_b32_e32 v1, s13
	v_add_co_u32_e64 v10, s[0:1], s12, v4
	v_addc_co_u32_e64 v11, s[0:1], v1, v5, s[0:1]
	v_mov_b32_e32 v1, s11
	v_add_co_u32_e64 v12, s[0:1], s10, v4
	v_addc_co_u32_e64 v13, s[0:1], v1, v5, s[0:1]
	global_load_dwordx2 v[4:5], v[12:13], off
	global_load_dwordx2 v[8:9], v[10:11], off
	v_or_b32_e32 v1, 0x100, v0
.LBB67_5:
	s_or_b64 exec, exec, s[4:5]
	v_cmp_gt_i32_e64 s[0:1], s6, v1
	v_pk_mov_b32 v[10:11], v[6:7], v[6:7] op_sel:[0,1]
	s_and_saveexec_b64 s[4:5], s[0:1]
	s_cbranch_execz .LBB67_7
; %bb.6:
	v_add_u32_e32 v6, s2, v1
	v_mov_b32_e32 v7, 0
	v_lshlrev_b64 v[6:7], 3, v[6:7]
	v_mov_b32_e32 v3, s13
	v_add_co_u32_e64 v12, s[0:1], s12, v6
	v_addc_co_u32_e64 v13, s[0:1], v3, v7, s[0:1]
	v_mov_b32_e32 v3, s11
	v_add_co_u32_e64 v14, s[0:1], s10, v6
	v_addc_co_u32_e64 v15, s[0:1], v3, v7, s[0:1]
	global_load_dwordx2 v[6:7], v[14:15], off
	global_load_dwordx2 v[10:11], v[12:13], off
	v_add_u32_e32 v1, 0x100, v1
.LBB67_7:
	s_or_b64 exec, exec, s[4:5]
	v_pk_mov_b32 v[12:13], 0, 0
	v_cmp_gt_i32_e64 s[0:1], s6, v1
	v_pk_mov_b32 v[14:15], v[12:13], v[12:13] op_sel:[0,1]
	v_pk_mov_b32 v[16:17], v[12:13], v[12:13] op_sel:[0,1]
	s_and_saveexec_b64 s[4:5], s[0:1]
	s_cbranch_execz .LBB67_9
; %bb.8:
	v_add_u32_e32 v14, s2, v1
	v_mov_b32_e32 v15, 0
	v_lshlrev_b64 v[14:15], 3, v[14:15]
	v_mov_b32_e32 v3, s13
	v_add_co_u32_e64 v18, s[0:1], s12, v14
	v_addc_co_u32_e64 v19, s[0:1], v3, v15, s[0:1]
	v_mov_b32_e32 v3, s11
	v_add_co_u32_e64 v20, s[0:1], s10, v14
	v_addc_co_u32_e64 v21, s[0:1], v3, v15, s[0:1]
	global_load_dwordx2 v[14:15], v[20:21], off
	global_load_dwordx2 v[16:17], v[18:19], off
	v_add_u32_e32 v1, 0x100, v1
.LBB67_9:
	s_or_b64 exec, exec, s[4:5]
	v_cmp_gt_i32_e64 s[0:1], s6, v1
	v_pk_mov_b32 v[18:19], v[12:13], v[12:13] op_sel:[0,1]
	s_and_saveexec_b64 s[4:5], s[0:1]
	s_cbranch_execz .LBB67_11
; %bb.10:
	v_add_u32_e32 v12, s2, v1
	v_mov_b32_e32 v13, 0
	v_lshlrev_b64 v[12:13], 3, v[12:13]
	v_mov_b32_e32 v1, s13
	v_add_co_u32_e64 v20, s[0:1], s12, v12
	v_addc_co_u32_e64 v21, s[0:1], v1, v13, s[0:1]
	v_mov_b32_e32 v1, s11
	v_add_co_u32_e64 v22, s[0:1], s10, v12
	v_addc_co_u32_e64 v23, s[0:1], v1, v13, s[0:1]
	global_load_dwordx2 v[12:13], v[22:23], off
	global_load_dwordx2 v[18:19], v[20:21], off
.LBB67_11:
	s_or_b64 exec, exec, s[4:5]
	s_brev_b32 s3, -2
	v_or_b32_e32 v1, 0x100, v0
	s_waitcnt vmcnt(0)
	v_bfi_b32 v5, s3, v5, v9
	v_bfi_b32 v3, s3, v7, v11
	v_cmp_gt_i32_e64 s[0:1], s6, v1
	v_cndmask_b32_e64 v11, v5, v3, s[0:1]
	v_or_b32_e32 v3, 0x200, v0
	v_cndmask_b32_e64 v10, v4, v6, s[0:1]
	v_bfi_b32 v6, s3, v15, v17
	v_cmp_gt_i32_e64 s[0:1], s6, v3
	v_or_b32_e32 v3, 0x300, v0
	v_cndmask_b32_e64 v9, v5, v6, s[0:1]
	v_cndmask_b32_e64 v8, v4, v14, s[0:1]
	v_bfi_b32 v6, s3, v13, v19
	v_cmp_gt_i32_e64 s[0:1], s6, v3
	v_cndmask_b32_e64 v7, v5, v6, s[0:1]
	v_cndmask_b32_e64 v6, v4, v12, s[0:1]
	s_and_saveexec_b64 s[0:1], vcc
	s_cbranch_execnz .LBB67_17
; %bb.12:
	s_or_b64 exec, exec, s[0:1]
	v_cmp_gt_i32_e32 vcc, s6, v0
	s_and_saveexec_b64 s[0:1], vcc
	s_cbranch_execnz .LBB67_18
.LBB67_13:
	s_or_b64 exec, exec, s[0:1]
	v_cmp_gt_i32_e32 vcc, s6, v0
	s_and_saveexec_b64 s[0:1], vcc
	s_cbranch_execnz .LBB67_19
.LBB67_14:
	s_or_b64 exec, exec, s[0:1]
	v_cmp_gt_i32_e32 vcc, s6, v0
	s_and_saveexec_b64 s[0:1], vcc
	s_cbranch_execz .LBB67_16
.LBB67_15:
	v_add_u32_e32 v0, s2, v0
	v_mov_b32_e32 v1, 0
	v_lshlrev_b64 v[0:1], 3, v[0:1]
	v_mov_b32_e32 v2, s9
	v_add_co_u32_e32 v0, vcc, s8, v0
	v_addc_co_u32_e32 v1, vcc, v2, v1, vcc
	global_store_dwordx2 v[0:1], v[6:7], off
.LBB67_16:
	s_endpgm
.LBB67_17:
	v_mov_b32_e32 v3, 0
	v_lshlrev_b64 v[2:3], 3, v[2:3]
	v_mov_b32_e32 v0, s9
	v_add_co_u32_e32 v2, vcc, s8, v2
	v_addc_co_u32_e32 v3, vcc, v0, v3, vcc
	v_mov_b32_e32 v0, v1
	global_store_dwordx2 v[2:3], v[4:5], off
	s_or_b64 exec, exec, s[0:1]
	v_cmp_gt_i32_e32 vcc, s6, v0
	s_and_saveexec_b64 s[0:1], vcc
	s_cbranch_execz .LBB67_13
.LBB67_18:
	v_add_u32_e32 v2, s2, v0
	v_mov_b32_e32 v3, 0
	v_lshlrev_b64 v[2:3], 3, v[2:3]
	v_mov_b32_e32 v1, s9
	v_add_co_u32_e32 v2, vcc, s8, v2
	v_addc_co_u32_e32 v3, vcc, v1, v3, vcc
	v_add_u32_e32 v0, 0x100, v0
	global_store_dwordx2 v[2:3], v[10:11], off
	s_or_b64 exec, exec, s[0:1]
	v_cmp_gt_i32_e32 vcc, s6, v0
	s_and_saveexec_b64 s[0:1], vcc
	s_cbranch_execz .LBB67_14
.LBB67_19:
	v_add_u32_e32 v2, s2, v0
	v_mov_b32_e32 v3, 0
	v_lshlrev_b64 v[2:3], 3, v[2:3]
	v_mov_b32_e32 v1, s9
	v_add_co_u32_e32 v2, vcc, s8, v2
	v_addc_co_u32_e32 v3, vcc, v1, v3, vcc
	v_add_u32_e32 v0, 0x100, v0
	global_store_dwordx2 v[2:3], v[8:9], off
	s_or_b64 exec, exec, s[0:1]
	v_cmp_gt_i32_e32 vcc, s6, v0
	s_and_saveexec_b64 s[0:1], vcc
	s_cbranch_execnz .LBB67_15
	s_branch .LBB67_16
	.section	.rodata,"a",@progbits
	.p2align	6, 0x0
	.amdhsa_kernel _ZN2at6native29vectorized_elementwise_kernelILi2ENS0_13BinaryFunctorIdddZZZNS0_20copysign_kernel_cudaERNS_18TensorIteratorBaseEENKUlvE_clEvENKUlvE_clEvEUlddE_EESt5arrayIPcLm3EEEEviT0_T1_
		.amdhsa_group_segment_fixed_size 0
		.amdhsa_private_segment_fixed_size 0
		.amdhsa_kernarg_size 32
		.amdhsa_user_sgpr_count 6
		.amdhsa_user_sgpr_private_segment_buffer 1
		.amdhsa_user_sgpr_dispatch_ptr 0
		.amdhsa_user_sgpr_queue_ptr 0
		.amdhsa_user_sgpr_kernarg_segment_ptr 1
		.amdhsa_user_sgpr_dispatch_id 0
		.amdhsa_user_sgpr_flat_scratch_init 0
		.amdhsa_user_sgpr_kernarg_preload_length 0
		.amdhsa_user_sgpr_kernarg_preload_offset 0
		.amdhsa_user_sgpr_private_segment_size 0
		.amdhsa_uses_dynamic_stack 0
		.amdhsa_system_sgpr_private_segment_wavefront_offset 0
		.amdhsa_system_sgpr_workgroup_id_x 1
		.amdhsa_system_sgpr_workgroup_id_y 0
		.amdhsa_system_sgpr_workgroup_id_z 0
		.amdhsa_system_sgpr_workgroup_info 0
		.amdhsa_system_vgpr_workitem_id 0
		.amdhsa_next_free_vgpr 24
		.amdhsa_next_free_sgpr 16
		.amdhsa_accum_offset 24
		.amdhsa_reserve_vcc 1
		.amdhsa_reserve_flat_scratch 0
		.amdhsa_float_round_mode_32 0
		.amdhsa_float_round_mode_16_64 0
		.amdhsa_float_denorm_mode_32 3
		.amdhsa_float_denorm_mode_16_64 3
		.amdhsa_dx10_clamp 1
		.amdhsa_ieee_mode 1
		.amdhsa_fp16_overflow 0
		.amdhsa_tg_split 0
		.amdhsa_exception_fp_ieee_invalid_op 0
		.amdhsa_exception_fp_denorm_src 0
		.amdhsa_exception_fp_ieee_div_zero 0
		.amdhsa_exception_fp_ieee_overflow 0
		.amdhsa_exception_fp_ieee_underflow 0
		.amdhsa_exception_fp_ieee_inexact 0
		.amdhsa_exception_int_div_zero 0
	.end_amdhsa_kernel
	.section	.text._ZN2at6native29vectorized_elementwise_kernelILi2ENS0_13BinaryFunctorIdddZZZNS0_20copysign_kernel_cudaERNS_18TensorIteratorBaseEENKUlvE_clEvENKUlvE_clEvEUlddE_EESt5arrayIPcLm3EEEEviT0_T1_,"axG",@progbits,_ZN2at6native29vectorized_elementwise_kernelILi2ENS0_13BinaryFunctorIdddZZZNS0_20copysign_kernel_cudaERNS_18TensorIteratorBaseEENKUlvE_clEvENKUlvE_clEvEUlddE_EESt5arrayIPcLm3EEEEviT0_T1_,comdat
.Lfunc_end67:
	.size	_ZN2at6native29vectorized_elementwise_kernelILi2ENS0_13BinaryFunctorIdddZZZNS0_20copysign_kernel_cudaERNS_18TensorIteratorBaseEENKUlvE_clEvENKUlvE_clEvEUlddE_EESt5arrayIPcLm3EEEEviT0_T1_, .Lfunc_end67-_ZN2at6native29vectorized_elementwise_kernelILi2ENS0_13BinaryFunctorIdddZZZNS0_20copysign_kernel_cudaERNS_18TensorIteratorBaseEENKUlvE_clEvENKUlvE_clEvEUlddE_EESt5arrayIPcLm3EEEEviT0_T1_
                                        ; -- End function
	.section	.AMDGPU.csdata,"",@progbits
; Kernel info:
; codeLenInByte = 1128
; NumSgprs: 20
; NumVgprs: 24
; NumAgprs: 0
; TotalNumVgprs: 24
; ScratchSize: 0
; MemoryBound: 0
; FloatMode: 240
; IeeeMode: 1
; LDSByteSize: 0 bytes/workgroup (compile time only)
; SGPRBlocks: 2
; VGPRBlocks: 2
; NumSGPRsForWavesPerEU: 20
; NumVGPRsForWavesPerEU: 24
; AccumOffset: 24
; Occupancy: 8
; WaveLimiterHint : 1
; COMPUTE_PGM_RSRC2:SCRATCH_EN: 0
; COMPUTE_PGM_RSRC2:USER_SGPR: 6
; COMPUTE_PGM_RSRC2:TRAP_HANDLER: 0
; COMPUTE_PGM_RSRC2:TGID_X_EN: 1
; COMPUTE_PGM_RSRC2:TGID_Y_EN: 0
; COMPUTE_PGM_RSRC2:TGID_Z_EN: 0
; COMPUTE_PGM_RSRC2:TIDIG_COMP_CNT: 0
; COMPUTE_PGM_RSRC3_GFX90A:ACCUM_OFFSET: 5
; COMPUTE_PGM_RSRC3_GFX90A:TG_SPLIT: 0
	.section	.text._ZN2at6native27unrolled_elementwise_kernelINS0_13BinaryFunctorIdddZZZNS0_20copysign_kernel_cudaERNS_18TensorIteratorBaseEENKUlvE_clEvENKUlvE_clEvEUlddE_EESt5arrayIPcLm3EELi4E23TrivialOffsetCalculatorILi2EjESC_ILi1EjENS0_6memory15LoadWithoutCastENSF_16StoreWithoutCastEEEviT_T0_T2_T3_T4_T5_,"axG",@progbits,_ZN2at6native27unrolled_elementwise_kernelINS0_13BinaryFunctorIdddZZZNS0_20copysign_kernel_cudaERNS_18TensorIteratorBaseEENKUlvE_clEvENKUlvE_clEvEUlddE_EESt5arrayIPcLm3EELi4E23TrivialOffsetCalculatorILi2EjESC_ILi1EjENS0_6memory15LoadWithoutCastENSF_16StoreWithoutCastEEEviT_T0_T2_T3_T4_T5_,comdat
	.globl	_ZN2at6native27unrolled_elementwise_kernelINS0_13BinaryFunctorIdddZZZNS0_20copysign_kernel_cudaERNS_18TensorIteratorBaseEENKUlvE_clEvENKUlvE_clEvEUlddE_EESt5arrayIPcLm3EELi4E23TrivialOffsetCalculatorILi2EjESC_ILi1EjENS0_6memory15LoadWithoutCastENSF_16StoreWithoutCastEEEviT_T0_T2_T3_T4_T5_ ; -- Begin function _ZN2at6native27unrolled_elementwise_kernelINS0_13BinaryFunctorIdddZZZNS0_20copysign_kernel_cudaERNS_18TensorIteratorBaseEENKUlvE_clEvENKUlvE_clEvEUlddE_EESt5arrayIPcLm3EELi4E23TrivialOffsetCalculatorILi2EjESC_ILi1EjENS0_6memory15LoadWithoutCastENSF_16StoreWithoutCastEEEviT_T0_T2_T3_T4_T5_
	.p2align	8
	.type	_ZN2at6native27unrolled_elementwise_kernelINS0_13BinaryFunctorIdddZZZNS0_20copysign_kernel_cudaERNS_18TensorIteratorBaseEENKUlvE_clEvENKUlvE_clEvEUlddE_EESt5arrayIPcLm3EELi4E23TrivialOffsetCalculatorILi2EjESC_ILi1EjENS0_6memory15LoadWithoutCastENSF_16StoreWithoutCastEEEviT_T0_T2_T3_T4_T5_,@function
_ZN2at6native27unrolled_elementwise_kernelINS0_13BinaryFunctorIdddZZZNS0_20copysign_kernel_cudaERNS_18TensorIteratorBaseEENKUlvE_clEvENKUlvE_clEvEUlddE_EESt5arrayIPcLm3EELi4E23TrivialOffsetCalculatorILi2EjESC_ILi1EjENS0_6memory15LoadWithoutCastENSF_16StoreWithoutCastEEEviT_T0_T2_T3_T4_T5_: ; @_ZN2at6native27unrolled_elementwise_kernelINS0_13BinaryFunctorIdddZZZNS0_20copysign_kernel_cudaERNS_18TensorIteratorBaseEENKUlvE_clEvENKUlvE_clEvEUlddE_EESt5arrayIPcLm3EELi4E23TrivialOffsetCalculatorILi2EjESC_ILi1EjENS0_6memory15LoadWithoutCastENSF_16StoreWithoutCastEEEviT_T0_T2_T3_T4_T5_
; %bb.0:
	s_load_dword s0, s[4:5], 0x0
	s_load_dwordx4 s[8:11], s[4:5], 0x8
	s_load_dwordx2 s[2:3], s[4:5], 0x18
	s_lshl_b32 s6, s6, 10
	v_pk_mov_b32 v[6:7], 0, 0
	s_waitcnt lgkmcnt(0)
	s_sub_i32 s7, s0, s6
	v_cmp_gt_i32_e32 vcc, s7, v0
	v_or_b32_e32 v2, s6, v0
	v_pk_mov_b32 v[4:5], v[6:7], v[6:7] op_sel:[0,1]
	v_pk_mov_b32 v[8:9], v[6:7], v[6:7] op_sel:[0,1]
	v_mov_b32_e32 v1, v0
	s_and_saveexec_b64 s[4:5], vcc
	s_cbranch_execz .LBB68_2
; %bb.1:
	v_mov_b32_e32 v3, 0
	v_lshlrev_b64 v[4:5], 3, v[2:3]
	v_mov_b32_e32 v1, s11
	v_add_co_u32_e64 v10, s[0:1], s10, v4
	v_addc_co_u32_e64 v11, s[0:1], v1, v5, s[0:1]
	v_mov_b32_e32 v1, s3
	v_add_co_u32_e64 v12, s[0:1], s2, v4
	v_addc_co_u32_e64 v13, s[0:1], v1, v5, s[0:1]
	global_load_dwordx2 v[4:5], v[10:11], off
	global_load_dwordx2 v[8:9], v[12:13], off
	v_or_b32_e32 v1, 0x100, v0
.LBB68_2:
	s_or_b64 exec, exec, s[4:5]
	v_cmp_gt_i32_e64 s[0:1], s7, v1
	v_pk_mov_b32 v[10:11], v[6:7], v[6:7] op_sel:[0,1]
	s_and_saveexec_b64 s[4:5], s[0:1]
	s_cbranch_execz .LBB68_4
; %bb.3:
	v_add_u32_e32 v6, s6, v1
	v_mov_b32_e32 v7, 0
	v_lshlrev_b64 v[6:7], 3, v[6:7]
	v_mov_b32_e32 v3, s11
	v_add_co_u32_e64 v12, s[0:1], s10, v6
	v_addc_co_u32_e64 v13, s[0:1], v3, v7, s[0:1]
	v_mov_b32_e32 v3, s3
	v_add_co_u32_e64 v14, s[0:1], s2, v6
	v_addc_co_u32_e64 v15, s[0:1], v3, v7, s[0:1]
	global_load_dwordx2 v[6:7], v[12:13], off
	global_load_dwordx2 v[10:11], v[14:15], off
	v_add_u32_e32 v1, 0x100, v1
.LBB68_4:
	s_or_b64 exec, exec, s[4:5]
	v_pk_mov_b32 v[12:13], 0, 0
	v_cmp_gt_i32_e64 s[0:1], s7, v1
	v_pk_mov_b32 v[14:15], v[12:13], v[12:13] op_sel:[0,1]
	v_pk_mov_b32 v[16:17], v[12:13], v[12:13] op_sel:[0,1]
	s_and_saveexec_b64 s[4:5], s[0:1]
	s_cbranch_execz .LBB68_6
; %bb.5:
	v_add_u32_e32 v14, s6, v1
	v_mov_b32_e32 v15, 0
	v_lshlrev_b64 v[14:15], 3, v[14:15]
	v_mov_b32_e32 v3, s11
	v_add_co_u32_e64 v18, s[0:1], s10, v14
	v_addc_co_u32_e64 v19, s[0:1], v3, v15, s[0:1]
	v_mov_b32_e32 v3, s3
	v_add_co_u32_e64 v20, s[0:1], s2, v14
	v_addc_co_u32_e64 v21, s[0:1], v3, v15, s[0:1]
	global_load_dwordx2 v[14:15], v[18:19], off
	global_load_dwordx2 v[16:17], v[20:21], off
	v_add_u32_e32 v1, 0x100, v1
.LBB68_6:
	s_or_b64 exec, exec, s[4:5]
	v_cmp_gt_i32_e64 s[0:1], s7, v1
	v_pk_mov_b32 v[18:19], v[12:13], v[12:13] op_sel:[0,1]
	s_and_saveexec_b64 s[4:5], s[0:1]
	s_cbranch_execz .LBB68_8
; %bb.7:
	v_add_u32_e32 v12, s6, v1
	v_mov_b32_e32 v13, 0
	v_lshlrev_b64 v[12:13], 3, v[12:13]
	v_mov_b32_e32 v1, s11
	v_add_co_u32_e64 v20, s[0:1], s10, v12
	v_addc_co_u32_e64 v21, s[0:1], v1, v13, s[0:1]
	v_mov_b32_e32 v1, s3
	v_add_co_u32_e64 v22, s[0:1], s2, v12
	v_addc_co_u32_e64 v23, s[0:1], v1, v13, s[0:1]
	global_load_dwordx2 v[12:13], v[20:21], off
	global_load_dwordx2 v[18:19], v[22:23], off
.LBB68_8:
	s_or_b64 exec, exec, s[4:5]
	s_brev_b32 s2, -2
	v_or_b32_e32 v1, 0x100, v0
	s_waitcnt vmcnt(0)
	v_bfi_b32 v5, s2, v5, v9
	v_bfi_b32 v3, s2, v7, v11
	v_cmp_gt_i32_e64 s[0:1], s7, v1
	v_cndmask_b32_e64 v11, v5, v3, s[0:1]
	v_or_b32_e32 v3, 0x200, v0
	v_cndmask_b32_e64 v10, v4, v6, s[0:1]
	v_bfi_b32 v6, s2, v15, v17
	v_cmp_gt_i32_e64 s[0:1], s7, v3
	v_or_b32_e32 v3, 0x300, v0
	v_cndmask_b32_e64 v9, v5, v6, s[0:1]
	v_cndmask_b32_e64 v8, v4, v14, s[0:1]
	v_bfi_b32 v6, s2, v13, v19
	v_cmp_gt_i32_e64 s[0:1], s7, v3
	v_cndmask_b32_e64 v7, v5, v6, s[0:1]
	v_cndmask_b32_e64 v6, v4, v12, s[0:1]
	s_and_saveexec_b64 s[0:1], vcc
	s_cbranch_execnz .LBB68_13
; %bb.9:
	s_or_b64 exec, exec, s[0:1]
	v_cmp_gt_i32_e32 vcc, s7, v0
	s_and_saveexec_b64 s[0:1], vcc
	s_cbranch_execnz .LBB68_14
.LBB68_10:
	s_or_b64 exec, exec, s[0:1]
	v_cmp_gt_i32_e32 vcc, s7, v0
	s_and_saveexec_b64 s[0:1], vcc
	s_cbranch_execnz .LBB68_15
.LBB68_11:
	s_or_b64 exec, exec, s[0:1]
	v_cmp_gt_i32_e32 vcc, s7, v0
	s_and_saveexec_b64 s[0:1], vcc
	s_cbranch_execnz .LBB68_16
.LBB68_12:
	s_endpgm
.LBB68_13:
	v_mov_b32_e32 v3, 0
	v_lshlrev_b64 v[2:3], 3, v[2:3]
	v_mov_b32_e32 v0, s9
	v_add_co_u32_e32 v2, vcc, s8, v2
	v_addc_co_u32_e32 v3, vcc, v0, v3, vcc
	v_mov_b32_e32 v0, v1
	global_store_dwordx2 v[2:3], v[4:5], off
	s_or_b64 exec, exec, s[0:1]
	v_cmp_gt_i32_e32 vcc, s7, v0
	s_and_saveexec_b64 s[0:1], vcc
	s_cbranch_execz .LBB68_10
.LBB68_14:
	v_add_u32_e32 v2, 0x100, v0
	v_add_u32_e32 v0, s6, v0
	v_mov_b32_e32 v1, 0
	v_lshlrev_b64 v[0:1], 3, v[0:1]
	v_mov_b32_e32 v3, s9
	v_add_co_u32_e32 v0, vcc, s8, v0
	v_addc_co_u32_e32 v1, vcc, v3, v1, vcc
	global_store_dwordx2 v[0:1], v[10:11], off
	v_mov_b32_e32 v0, v2
	s_or_b64 exec, exec, s[0:1]
	v_cmp_gt_i32_e32 vcc, s7, v0
	s_and_saveexec_b64 s[0:1], vcc
	s_cbranch_execz .LBB68_11
.LBB68_15:
	v_add_u32_e32 v2, 0x100, v0
	v_add_u32_e32 v0, s6, v0
	v_mov_b32_e32 v1, 0
	v_lshlrev_b64 v[0:1], 3, v[0:1]
	v_mov_b32_e32 v3, s9
	v_add_co_u32_e32 v0, vcc, s8, v0
	v_addc_co_u32_e32 v1, vcc, v3, v1, vcc
	global_store_dwordx2 v[0:1], v[8:9], off
	v_mov_b32_e32 v0, v2
	s_or_b64 exec, exec, s[0:1]
	v_cmp_gt_i32_e32 vcc, s7, v0
	s_and_saveexec_b64 s[0:1], vcc
	s_cbranch_execz .LBB68_12
.LBB68_16:
	v_add_u32_e32 v0, s6, v0
	v_mov_b32_e32 v1, 0
	v_lshlrev_b64 v[0:1], 3, v[0:1]
	v_mov_b32_e32 v2, s9
	v_add_co_u32_e32 v0, vcc, s8, v0
	v_addc_co_u32_e32 v1, vcc, v2, v1, vcc
	global_store_dwordx2 v[0:1], v[6:7], off
	s_endpgm
	.section	.rodata,"a",@progbits
	.p2align	6, 0x0
	.amdhsa_kernel _ZN2at6native27unrolled_elementwise_kernelINS0_13BinaryFunctorIdddZZZNS0_20copysign_kernel_cudaERNS_18TensorIteratorBaseEENKUlvE_clEvENKUlvE_clEvEUlddE_EESt5arrayIPcLm3EELi4E23TrivialOffsetCalculatorILi2EjESC_ILi1EjENS0_6memory15LoadWithoutCastENSF_16StoreWithoutCastEEEviT_T0_T2_T3_T4_T5_
		.amdhsa_group_segment_fixed_size 0
		.amdhsa_private_segment_fixed_size 0
		.amdhsa_kernarg_size 36
		.amdhsa_user_sgpr_count 6
		.amdhsa_user_sgpr_private_segment_buffer 1
		.amdhsa_user_sgpr_dispatch_ptr 0
		.amdhsa_user_sgpr_queue_ptr 0
		.amdhsa_user_sgpr_kernarg_segment_ptr 1
		.amdhsa_user_sgpr_dispatch_id 0
		.amdhsa_user_sgpr_flat_scratch_init 0
		.amdhsa_user_sgpr_kernarg_preload_length 0
		.amdhsa_user_sgpr_kernarg_preload_offset 0
		.amdhsa_user_sgpr_private_segment_size 0
		.amdhsa_uses_dynamic_stack 0
		.amdhsa_system_sgpr_private_segment_wavefront_offset 0
		.amdhsa_system_sgpr_workgroup_id_x 1
		.amdhsa_system_sgpr_workgroup_id_y 0
		.amdhsa_system_sgpr_workgroup_id_z 0
		.amdhsa_system_sgpr_workgroup_info 0
		.amdhsa_system_vgpr_workitem_id 0
		.amdhsa_next_free_vgpr 24
		.amdhsa_next_free_sgpr 12
		.amdhsa_accum_offset 24
		.amdhsa_reserve_vcc 1
		.amdhsa_reserve_flat_scratch 0
		.amdhsa_float_round_mode_32 0
		.amdhsa_float_round_mode_16_64 0
		.amdhsa_float_denorm_mode_32 3
		.amdhsa_float_denorm_mode_16_64 3
		.amdhsa_dx10_clamp 1
		.amdhsa_ieee_mode 1
		.amdhsa_fp16_overflow 0
		.amdhsa_tg_split 0
		.amdhsa_exception_fp_ieee_invalid_op 0
		.amdhsa_exception_fp_denorm_src 0
		.amdhsa_exception_fp_ieee_div_zero 0
		.amdhsa_exception_fp_ieee_overflow 0
		.amdhsa_exception_fp_ieee_underflow 0
		.amdhsa_exception_fp_ieee_inexact 0
		.amdhsa_exception_int_div_zero 0
	.end_amdhsa_kernel
	.section	.text._ZN2at6native27unrolled_elementwise_kernelINS0_13BinaryFunctorIdddZZZNS0_20copysign_kernel_cudaERNS_18TensorIteratorBaseEENKUlvE_clEvENKUlvE_clEvEUlddE_EESt5arrayIPcLm3EELi4E23TrivialOffsetCalculatorILi2EjESC_ILi1EjENS0_6memory15LoadWithoutCastENSF_16StoreWithoutCastEEEviT_T0_T2_T3_T4_T5_,"axG",@progbits,_ZN2at6native27unrolled_elementwise_kernelINS0_13BinaryFunctorIdddZZZNS0_20copysign_kernel_cudaERNS_18TensorIteratorBaseEENKUlvE_clEvENKUlvE_clEvEUlddE_EESt5arrayIPcLm3EELi4E23TrivialOffsetCalculatorILi2EjESC_ILi1EjENS0_6memory15LoadWithoutCastENSF_16StoreWithoutCastEEEviT_T0_T2_T3_T4_T5_,comdat
.Lfunc_end68:
	.size	_ZN2at6native27unrolled_elementwise_kernelINS0_13BinaryFunctorIdddZZZNS0_20copysign_kernel_cudaERNS_18TensorIteratorBaseEENKUlvE_clEvENKUlvE_clEvEUlddE_EESt5arrayIPcLm3EELi4E23TrivialOffsetCalculatorILi2EjESC_ILi1EjENS0_6memory15LoadWithoutCastENSF_16StoreWithoutCastEEEviT_T0_T2_T3_T4_T5_, .Lfunc_end68-_ZN2at6native27unrolled_elementwise_kernelINS0_13BinaryFunctorIdddZZZNS0_20copysign_kernel_cudaERNS_18TensorIteratorBaseEENKUlvE_clEvENKUlvE_clEvEUlddE_EESt5arrayIPcLm3EELi4E23TrivialOffsetCalculatorILi2EjESC_ILi1EjENS0_6memory15LoadWithoutCastENSF_16StoreWithoutCastEEEviT_T0_T2_T3_T4_T5_
                                        ; -- End function
	.section	.AMDGPU.csdata,"",@progbits
; Kernel info:
; codeLenInByte = 908
; NumSgprs: 16
; NumVgprs: 24
; NumAgprs: 0
; TotalNumVgprs: 24
; ScratchSize: 0
; MemoryBound: 0
; FloatMode: 240
; IeeeMode: 1
; LDSByteSize: 0 bytes/workgroup (compile time only)
; SGPRBlocks: 1
; VGPRBlocks: 2
; NumSGPRsForWavesPerEU: 16
; NumVGPRsForWavesPerEU: 24
; AccumOffset: 24
; Occupancy: 8
; WaveLimiterHint : 0
; COMPUTE_PGM_RSRC2:SCRATCH_EN: 0
; COMPUTE_PGM_RSRC2:USER_SGPR: 6
; COMPUTE_PGM_RSRC2:TRAP_HANDLER: 0
; COMPUTE_PGM_RSRC2:TGID_X_EN: 1
; COMPUTE_PGM_RSRC2:TGID_Y_EN: 0
; COMPUTE_PGM_RSRC2:TGID_Z_EN: 0
; COMPUTE_PGM_RSRC2:TIDIG_COMP_CNT: 0
; COMPUTE_PGM_RSRC3_GFX90A:ACCUM_OFFSET: 5
; COMPUTE_PGM_RSRC3_GFX90A:TG_SPLIT: 0
	.section	.text._ZN2at6native32elementwise_kernel_manual_unrollILi128ELi4EZNS0_22gpu_kernel_impl_nocastINS0_13BinaryFunctorIdddZZZNS0_20copysign_kernel_cudaERNS_18TensorIteratorBaseEENKUlvE_clEvENKUlvE_clEvEUlddE_EEEEvS5_RKT_EUlibE_EEviT1_,"axG",@progbits,_ZN2at6native32elementwise_kernel_manual_unrollILi128ELi4EZNS0_22gpu_kernel_impl_nocastINS0_13BinaryFunctorIdddZZZNS0_20copysign_kernel_cudaERNS_18TensorIteratorBaseEENKUlvE_clEvENKUlvE_clEvEUlddE_EEEEvS5_RKT_EUlibE_EEviT1_,comdat
	.globl	_ZN2at6native32elementwise_kernel_manual_unrollILi128ELi4EZNS0_22gpu_kernel_impl_nocastINS0_13BinaryFunctorIdddZZZNS0_20copysign_kernel_cudaERNS_18TensorIteratorBaseEENKUlvE_clEvENKUlvE_clEvEUlddE_EEEEvS5_RKT_EUlibE_EEviT1_ ; -- Begin function _ZN2at6native32elementwise_kernel_manual_unrollILi128ELi4EZNS0_22gpu_kernel_impl_nocastINS0_13BinaryFunctorIdddZZZNS0_20copysign_kernel_cudaERNS_18TensorIteratorBaseEENKUlvE_clEvENKUlvE_clEvEUlddE_EEEEvS5_RKT_EUlibE_EEviT1_
	.p2align	8
	.type	_ZN2at6native32elementwise_kernel_manual_unrollILi128ELi4EZNS0_22gpu_kernel_impl_nocastINS0_13BinaryFunctorIdddZZZNS0_20copysign_kernel_cudaERNS_18TensorIteratorBaseEENKUlvE_clEvENKUlvE_clEvEUlddE_EEEEvS5_RKT_EUlibE_EEviT1_,@function
_ZN2at6native32elementwise_kernel_manual_unrollILi128ELi4EZNS0_22gpu_kernel_impl_nocastINS0_13BinaryFunctorIdddZZZNS0_20copysign_kernel_cudaERNS_18TensorIteratorBaseEENKUlvE_clEvENKUlvE_clEvEUlddE_EEEEvS5_RKT_EUlibE_EEviT1_: ; @_ZN2at6native32elementwise_kernel_manual_unrollILi128ELi4EZNS0_22gpu_kernel_impl_nocastINS0_13BinaryFunctorIdddZZZNS0_20copysign_kernel_cudaERNS_18TensorIteratorBaseEENKUlvE_clEvENKUlvE_clEvEUlddE_EEEEvS5_RKT_EUlibE_EEviT1_
; %bb.0:
	s_load_dword s36, s[4:5], 0x0
	s_load_dword s33, s[4:5], 0x8
	s_or_b32 s4, s4, 8
	v_lshl_or_b32 v12, s6, 9, v0
	v_or_b32_e32 v24, 0x180, v12
	s_waitcnt lgkmcnt(0)
	v_cmp_le_i32_e32 vcc, s36, v24
	s_add_i32 s34, s33, -1
	s_cmp_gt_u32 s34, 1
	s_cselect_b64 s[6:7], -1, 0
	s_and_saveexec_b64 s[0:1], vcc
	s_xor_b64 s[16:17], exec, s[0:1]
	s_cbranch_execz .LBB69_50
; %bb.1:
	s_load_dwordx4 s[12:15], s[4:5], 0x4
	s_load_dwordx2 s[22:23], s[4:5], 0x14
	s_load_dwordx4 s[8:11], s[4:5], 0xc4
	s_load_dwordx2 s[20:21], s[4:5], 0xd4
	s_load_dwordx2 s[18:19], s[4:5], 0x198
	s_load_dwordx4 s[0:3], s[4:5], 0x188
	s_cmp_lg_u32 s33, 0
	s_cselect_b64 s[26:27], -1, 0
	s_min_u32 s35, s34, 15
	s_cmp_gt_u32 s33, 1
	s_cselect_b64 s[24:25], -1, 0
	v_cmp_gt_i32_e32 vcc, s36, v12
	s_and_saveexec_b64 s[28:29], vcc
	s_cbranch_execnz .LBB69_5
; %bb.2:
	s_or_b64 exec, exec, s[28:29]
	v_cmp_gt_i32_e32 vcc, s36, v12
	s_and_saveexec_b64 s[28:29], vcc
	s_cbranch_execnz .LBB69_16
.LBB69_3:
	s_or_b64 exec, exec, s[28:29]
	v_cmp_gt_i32_e32 vcc, s36, v12
	s_and_saveexec_b64 s[28:29], vcc
	s_cbranch_execnz .LBB69_27
.LBB69_4:
	s_or_b64 exec, exec, s[28:29]
	v_cmp_gt_i32_e32 vcc, s36, v12
	s_and_saveexec_b64 s[28:29], vcc
	s_cbranch_execnz .LBB69_38
	s_branch .LBB69_49
.LBB69_5:
	s_andn2_b64 vcc, exec, s[6:7]
	s_cbranch_vccnz .LBB69_12
; %bb.6:
	s_andn2_b64 vcc, exec, s[26:27]
	v_mov_b32_e32 v2, 0
	v_mov_b32_e32 v4, 0
	;; [unrolled: 1-line block ×3, first 2 shown]
	s_cbranch_vccnz .LBB69_11
; %bb.7:
	s_add_i32 s30, s35, 1
	s_and_b32 s37, s30, 30
	s_add_u32 s30, s4, 0xffffffec
	s_addc_u32 s31, s5, -1
	v_mov_b32_e32 v0, 0
	v_mov_b32_e32 v1, v12
	;; [unrolled: 1-line block ×4, first 2 shown]
.LBB69_8:                               ; =>This Inner Loop Header: Depth=1
	s_mov_b64 s[38:39], s[30:31]
	s_load_dwordx4 s[40:43], s[38:39], 0x18
	s_load_dwordx2 s[48:49], s[38:39], 0x28
	s_load_dwordx2 s[50:51], s[38:39], 0xe8
	s_load_dwordx4 s[44:47], s[38:39], 0xd8
	s_add_u32 s30, s38, 24
	s_waitcnt lgkmcnt(0)
	v_mul_hi_u32 v3, s41, v1
	v_add_u32_e32 v3, v1, v3
	v_lshrrev_b32_e32 v3, s42, v3
	v_mul_lo_u32 v5, v3, s40
	v_mul_hi_u32 v6, s48, v3
	v_sub_u32_e32 v1, v1, v5
	v_add_u32_e32 v5, v3, v6
	v_mul_lo_u32 v6, v1, s44
	v_mul_lo_u32 v7, v1, s45
	;; [unrolled: 1-line block ×3, first 2 shown]
	v_lshrrev_b32_e32 v1, s49, v5
	v_mul_lo_u32 v5, v1, s43
	v_sub_u32_e32 v3, v3, v5
	s_addc_u32 s31, s39, 0
	s_add_i32 s37, s37, -2
	v_mul_lo_u32 v5, v3, s47
	v_mul_lo_u32 v9, v3, s50
	;; [unrolled: 1-line block ×3, first 2 shown]
	s_cmp_lg_u32 s37, 0
	v_add3_u32 v0, v6, v0, v5
	v_add3_u32 v2, v8, v2, v3
	v_add3_u32 v4, v7, v4, v9
	s_cbranch_scc1 .LBB69_8
; %bb.9:
	s_bitcmp1_b32 s35, 0
	s_cselect_b64 s[38:39], -1, 0
	s_and_b64 vcc, exec, s[38:39]
	s_cbranch_vccnz .LBB69_11
; %bb.10:
	s_load_dwordx2 s[38:39], s[30:31], 0x18
	s_load_dword s37, s[30:31], 0x20
	s_load_dword s42, s[30:31], 0xe0
	s_load_dwordx2 s[40:41], s[30:31], 0xd8
	s_waitcnt lgkmcnt(0)
	v_mul_hi_u32 v3, s39, v1
	v_add_u32_e32 v3, v1, v3
	v_lshrrev_b32_e32 v3, s37, v3
	v_mul_lo_u32 v3, v3, s38
	v_sub_u32_e32 v3, v1, v3
	v_mad_u64_u32 v[0:1], s[30:31], v3, s40, v[0:1]
	v_mad_u64_u32 v[4:5], s[30:31], v3, s41, v[4:5]
	;; [unrolled: 1-line block ×3, first 2 shown]
.LBB69_11:
	s_cbranch_execz .LBB69_13
	s_branch .LBB69_15
.LBB69_12:
                                        ; implicit-def: $vgpr2
                                        ; implicit-def: $vgpr4
                                        ; implicit-def: $vgpr0
.LBB69_13:
	s_waitcnt lgkmcnt(0)
	v_mul_hi_u32 v0, s13, v12
	v_add_u32_e32 v0, v12, v0
	v_lshrrev_b32_e32 v1, s14, v0
	v_mul_lo_u32 v0, v1, s12
	v_sub_u32_e32 v3, v12, v0
	v_mul_lo_u32 v0, v3, s8
	v_mul_lo_u32 v2, v3, s10
	s_andn2_b64 vcc, exec, s[24:25]
	v_mul_lo_u32 v4, v3, s9
	s_cbranch_vccnz .LBB69_15
; %bb.14:
	v_mul_hi_u32 v3, s22, v1
	v_add_u32_e32 v3, v1, v3
	v_lshrrev_b32_e32 v3, s23, v3
	v_mul_lo_u32 v3, v3, s15
	v_sub_u32_e32 v3, v1, v3
	v_mad_u64_u32 v[0:1], s[30:31], v3, s11, v[0:1]
	v_mad_u64_u32 v[4:5], s[30:31], v3, s20, v[4:5]
	;; [unrolled: 1-line block ×3, first 2 shown]
.LBB69_15:
	s_waitcnt lgkmcnt(0)
	global_load_dwordx2 v[6:7], v2, s[18:19]
	global_load_dwordx2 v[8:9], v4, s[2:3]
	s_brev_b32 s30, -2
	v_add_u32_e32 v12, 0x80, v12
	s_waitcnt vmcnt(0)
	v_bfi_b32 v9, s30, v9, v7
	global_store_dwordx2 v0, v[8:9], s[0:1]
	s_or_b64 exec, exec, s[28:29]
	v_cmp_gt_i32_e32 vcc, s36, v12
	s_and_saveexec_b64 s[28:29], vcc
	s_cbranch_execz .LBB69_3
.LBB69_16:
	s_andn2_b64 vcc, exec, s[6:7]
	s_cbranch_vccnz .LBB69_23
; %bb.17:
	s_andn2_b64 vcc, exec, s[26:27]
	v_mov_b32_e32 v2, 0
	v_mov_b32_e32 v4, 0
	;; [unrolled: 1-line block ×3, first 2 shown]
	s_cbranch_vccnz .LBB69_22
; %bb.18:
	s_add_i32 s30, s35, 1
	s_and_b32 s37, s30, 30
	s_add_u32 s30, s4, 0xffffffec
	s_addc_u32 s31, s5, -1
	v_mov_b32_e32 v0, 0
	v_mov_b32_e32 v1, v12
	;; [unrolled: 1-line block ×4, first 2 shown]
.LBB69_19:                              ; =>This Inner Loop Header: Depth=1
	s_mov_b64 s[38:39], s[30:31]
	s_load_dwordx4 s[40:43], s[38:39], 0x18
	s_load_dwordx2 s[48:49], s[38:39], 0x28
	s_load_dwordx2 s[50:51], s[38:39], 0xe8
	s_load_dwordx4 s[44:47], s[38:39], 0xd8
	s_add_u32 s30, s38, 24
	s_waitcnt lgkmcnt(0)
	v_mul_hi_u32 v3, s41, v1
	v_add_u32_e32 v3, v1, v3
	v_lshrrev_b32_e32 v3, s42, v3
	v_mul_lo_u32 v5, v3, s40
	v_mul_hi_u32 v6, s48, v3
	v_sub_u32_e32 v1, v1, v5
	v_add_u32_e32 v5, v3, v6
	v_mul_lo_u32 v6, v1, s44
	v_mul_lo_u32 v7, v1, s45
	v_mul_lo_u32 v8, v1, s46
	v_lshrrev_b32_e32 v1, s49, v5
	v_mul_lo_u32 v5, v1, s43
	v_sub_u32_e32 v3, v3, v5
	s_addc_u32 s31, s39, 0
	s_add_i32 s37, s37, -2
	v_mul_lo_u32 v5, v3, s47
	v_mul_lo_u32 v9, v3, s50
	;; [unrolled: 1-line block ×3, first 2 shown]
	s_cmp_eq_u32 s37, 0
	v_add3_u32 v0, v6, v0, v5
	v_add3_u32 v2, v8, v2, v3
	;; [unrolled: 1-line block ×3, first 2 shown]
	s_cbranch_scc0 .LBB69_19
; %bb.20:
	s_bitcmp1_b32 s35, 0
	s_cselect_b64 s[38:39], -1, 0
	s_and_b64 vcc, exec, s[38:39]
	s_cbranch_vccnz .LBB69_22
; %bb.21:
	s_load_dwordx2 s[38:39], s[30:31], 0x18
	s_load_dword s37, s[30:31], 0x20
	s_load_dword s42, s[30:31], 0xe0
	s_load_dwordx2 s[40:41], s[30:31], 0xd8
	s_waitcnt lgkmcnt(0)
	v_mul_hi_u32 v3, s39, v1
	v_add_u32_e32 v3, v1, v3
	v_lshrrev_b32_e32 v3, s37, v3
	v_mul_lo_u32 v3, v3, s38
	v_sub_u32_e32 v3, v1, v3
	v_mad_u64_u32 v[0:1], s[30:31], v3, s40, v[0:1]
	v_mad_u64_u32 v[4:5], s[30:31], v3, s41, v[4:5]
	;; [unrolled: 1-line block ×3, first 2 shown]
.LBB69_22:
	s_cbranch_execz .LBB69_24
	s_branch .LBB69_26
.LBB69_23:
                                        ; implicit-def: $vgpr2
                                        ; implicit-def: $vgpr4
                                        ; implicit-def: $vgpr0
.LBB69_24:
	s_waitcnt lgkmcnt(0)
	v_mul_hi_u32 v0, s13, v12
	v_add_u32_e32 v0, v12, v0
	v_lshrrev_b32_e32 v1, s14, v0
	v_mul_lo_u32 v0, v1, s12
	v_sub_u32_e32 v3, v12, v0
	v_mul_lo_u32 v0, v3, s8
	v_mul_lo_u32 v2, v3, s10
	s_andn2_b64 vcc, exec, s[24:25]
	v_mul_lo_u32 v4, v3, s9
	s_cbranch_vccnz .LBB69_26
; %bb.25:
	v_mul_hi_u32 v3, s22, v1
	v_add_u32_e32 v3, v1, v3
	v_lshrrev_b32_e32 v3, s23, v3
	v_mul_lo_u32 v3, v3, s15
	v_sub_u32_e32 v3, v1, v3
	v_mad_u64_u32 v[0:1], s[30:31], v3, s11, v[0:1]
	v_mad_u64_u32 v[4:5], s[30:31], v3, s20, v[4:5]
	;; [unrolled: 1-line block ×3, first 2 shown]
.LBB69_26:
	s_waitcnt lgkmcnt(0)
	global_load_dwordx2 v[6:7], v2, s[18:19]
	global_load_dwordx2 v[8:9], v4, s[2:3]
	s_brev_b32 s30, -2
	v_add_u32_e32 v12, 0x80, v12
	s_waitcnt vmcnt(0)
	v_bfi_b32 v9, s30, v9, v7
	global_store_dwordx2 v0, v[8:9], s[0:1]
	s_or_b64 exec, exec, s[28:29]
	v_cmp_gt_i32_e32 vcc, s36, v12
	s_and_saveexec_b64 s[28:29], vcc
	s_cbranch_execz .LBB69_4
.LBB69_27:
	s_andn2_b64 vcc, exec, s[6:7]
	s_cbranch_vccnz .LBB69_34
; %bb.28:
	s_andn2_b64 vcc, exec, s[26:27]
	v_mov_b32_e32 v2, 0
	v_mov_b32_e32 v4, 0
	;; [unrolled: 1-line block ×3, first 2 shown]
	s_cbranch_vccnz .LBB69_33
; %bb.29:
	s_add_i32 s30, s35, 1
	s_and_b32 s37, s30, 30
	s_add_u32 s30, s4, 0xffffffec
	s_addc_u32 s31, s5, -1
	v_mov_b32_e32 v0, 0
	v_mov_b32_e32 v1, v12
	;; [unrolled: 1-line block ×4, first 2 shown]
.LBB69_30:                              ; =>This Inner Loop Header: Depth=1
	s_mov_b64 s[38:39], s[30:31]
	s_load_dwordx4 s[40:43], s[38:39], 0x18
	s_load_dwordx2 s[48:49], s[38:39], 0x28
	s_load_dwordx2 s[50:51], s[38:39], 0xe8
	s_load_dwordx4 s[44:47], s[38:39], 0xd8
	s_add_u32 s30, s38, 24
	s_waitcnt lgkmcnt(0)
	v_mul_hi_u32 v3, s41, v1
	v_add_u32_e32 v3, v1, v3
	v_lshrrev_b32_e32 v3, s42, v3
	v_mul_lo_u32 v5, v3, s40
	v_mul_hi_u32 v6, s48, v3
	v_sub_u32_e32 v1, v1, v5
	v_add_u32_e32 v5, v3, v6
	v_mul_lo_u32 v6, v1, s44
	v_mul_lo_u32 v7, v1, s45
	;; [unrolled: 1-line block ×3, first 2 shown]
	v_lshrrev_b32_e32 v1, s49, v5
	v_mul_lo_u32 v5, v1, s43
	v_sub_u32_e32 v3, v3, v5
	s_addc_u32 s31, s39, 0
	s_add_i32 s37, s37, -2
	v_mul_lo_u32 v5, v3, s47
	v_mul_lo_u32 v9, v3, s50
	;; [unrolled: 1-line block ×3, first 2 shown]
	s_cmp_eq_u32 s37, 0
	v_add3_u32 v0, v6, v0, v5
	v_add3_u32 v2, v8, v2, v3
	;; [unrolled: 1-line block ×3, first 2 shown]
	s_cbranch_scc0 .LBB69_30
; %bb.31:
	s_bitcmp1_b32 s35, 0
	s_cselect_b64 s[38:39], -1, 0
	s_and_b64 vcc, exec, s[38:39]
	s_cbranch_vccnz .LBB69_33
; %bb.32:
	s_load_dwordx2 s[38:39], s[30:31], 0x18
	s_load_dword s37, s[30:31], 0x20
	s_load_dword s42, s[30:31], 0xe0
	s_load_dwordx2 s[40:41], s[30:31], 0xd8
	s_waitcnt lgkmcnt(0)
	v_mul_hi_u32 v3, s39, v1
	v_add_u32_e32 v3, v1, v3
	v_lshrrev_b32_e32 v3, s37, v3
	v_mul_lo_u32 v3, v3, s38
	v_sub_u32_e32 v3, v1, v3
	v_mad_u64_u32 v[0:1], s[30:31], v3, s40, v[0:1]
	v_mad_u64_u32 v[4:5], s[30:31], v3, s41, v[4:5]
	;; [unrolled: 1-line block ×3, first 2 shown]
.LBB69_33:
	s_cbranch_execz .LBB69_35
	s_branch .LBB69_37
.LBB69_34:
                                        ; implicit-def: $vgpr2
                                        ; implicit-def: $vgpr4
                                        ; implicit-def: $vgpr0
.LBB69_35:
	s_waitcnt lgkmcnt(0)
	v_mul_hi_u32 v0, s13, v12
	v_add_u32_e32 v0, v12, v0
	v_lshrrev_b32_e32 v1, s14, v0
	v_mul_lo_u32 v0, v1, s12
	v_sub_u32_e32 v3, v12, v0
	v_mul_lo_u32 v0, v3, s8
	v_mul_lo_u32 v2, v3, s10
	s_andn2_b64 vcc, exec, s[24:25]
	v_mul_lo_u32 v4, v3, s9
	s_cbranch_vccnz .LBB69_37
; %bb.36:
	v_mul_hi_u32 v3, s22, v1
	v_add_u32_e32 v3, v1, v3
	v_lshrrev_b32_e32 v3, s23, v3
	v_mul_lo_u32 v3, v3, s15
	v_sub_u32_e32 v3, v1, v3
	v_mad_u64_u32 v[0:1], s[30:31], v3, s11, v[0:1]
	v_mad_u64_u32 v[4:5], s[30:31], v3, s20, v[4:5]
	;; [unrolled: 1-line block ×3, first 2 shown]
.LBB69_37:
	s_waitcnt lgkmcnt(0)
	global_load_dwordx2 v[6:7], v2, s[18:19]
	global_load_dwordx2 v[8:9], v4, s[2:3]
	s_brev_b32 s30, -2
	v_add_u32_e32 v12, 0x80, v12
	s_waitcnt vmcnt(0)
	v_bfi_b32 v9, s30, v9, v7
	global_store_dwordx2 v0, v[8:9], s[0:1]
	s_or_b64 exec, exec, s[28:29]
	v_cmp_gt_i32_e32 vcc, s36, v12
	s_and_saveexec_b64 s[28:29], vcc
	s_cbranch_execz .LBB69_49
.LBB69_38:
	s_andn2_b64 vcc, exec, s[6:7]
	s_cbranch_vccnz .LBB69_45
; %bb.39:
	s_andn2_b64 vcc, exec, s[26:27]
	v_mov_b32_e32 v2, 0
	v_mov_b32_e32 v4, 0
	;; [unrolled: 1-line block ×3, first 2 shown]
	s_cbranch_vccnz .LBB69_44
; %bb.40:
	s_add_i32 s26, s35, 1
	s_and_b32 s30, s26, 30
	s_add_u32 s26, s4, 0xffffffec
	s_addc_u32 s27, s5, -1
	v_mov_b32_e32 v0, 0
	v_mov_b32_e32 v1, v12
	;; [unrolled: 1-line block ×4, first 2 shown]
.LBB69_41:                              ; =>This Inner Loop Header: Depth=1
	s_mov_b64 s[44:45], s[26:27]
	s_load_dwordx4 s[36:39], s[44:45], 0x18
	s_load_dwordx2 s[46:47], s[44:45], 0x28
	s_load_dwordx2 s[48:49], s[44:45], 0xe8
	s_load_dwordx4 s[40:43], s[44:45], 0xd8
	s_add_u32 s26, s44, 24
	s_waitcnt lgkmcnt(0)
	v_mul_hi_u32 v3, s37, v1
	v_add_u32_e32 v3, v1, v3
	v_lshrrev_b32_e32 v3, s38, v3
	v_mul_lo_u32 v5, v3, s36
	v_mul_hi_u32 v6, s46, v3
	v_sub_u32_e32 v1, v1, v5
	v_add_u32_e32 v5, v3, v6
	v_mul_lo_u32 v6, v1, s40
	v_mul_lo_u32 v7, v1, s41
	;; [unrolled: 1-line block ×3, first 2 shown]
	v_lshrrev_b32_e32 v1, s47, v5
	v_mul_lo_u32 v5, v1, s39
	v_sub_u32_e32 v3, v3, v5
	s_addc_u32 s27, s45, 0
	s_add_i32 s30, s30, -2
	v_mul_lo_u32 v5, v3, s43
	v_mul_lo_u32 v9, v3, s48
	;; [unrolled: 1-line block ×3, first 2 shown]
	s_cmp_eq_u32 s30, 0
	v_add3_u32 v0, v6, v0, v5
	v_add3_u32 v2, v8, v2, v3
	;; [unrolled: 1-line block ×3, first 2 shown]
	s_cbranch_scc0 .LBB69_41
; %bb.42:
	s_bitcmp1_b32 s35, 0
	s_cselect_b64 s[30:31], -1, 0
	s_and_b64 vcc, exec, s[30:31]
	s_cbranch_vccnz .LBB69_44
; %bb.43:
	s_load_dwordx2 s[30:31], s[26:27], 0x18
	s_load_dword s35, s[26:27], 0x20
	s_load_dword s38, s[26:27], 0xe0
	s_load_dwordx2 s[36:37], s[26:27], 0xd8
	s_waitcnt lgkmcnt(0)
	v_mul_hi_u32 v3, s31, v1
	v_add_u32_e32 v3, v1, v3
	v_lshrrev_b32_e32 v3, s35, v3
	v_mul_lo_u32 v3, v3, s30
	v_sub_u32_e32 v3, v1, v3
	v_mad_u64_u32 v[0:1], s[26:27], v3, s36, v[0:1]
	v_mad_u64_u32 v[4:5], s[26:27], v3, s37, v[4:5]
	;; [unrolled: 1-line block ×3, first 2 shown]
.LBB69_44:
	s_cbranch_execz .LBB69_46
	s_branch .LBB69_48
.LBB69_45:
                                        ; implicit-def: $vgpr2
                                        ; implicit-def: $vgpr4
                                        ; implicit-def: $vgpr0
.LBB69_46:
	s_waitcnt lgkmcnt(0)
	v_mul_hi_u32 v0, s13, v12
	v_add_u32_e32 v0, v12, v0
	v_lshrrev_b32_e32 v1, s14, v0
	v_mul_lo_u32 v0, v1, s12
	v_sub_u32_e32 v3, v12, v0
	v_mul_lo_u32 v0, v3, s8
	v_mul_lo_u32 v2, v3, s10
	s_andn2_b64 vcc, exec, s[24:25]
	v_mul_lo_u32 v4, v3, s9
	s_cbranch_vccnz .LBB69_48
; %bb.47:
	v_mul_hi_u32 v3, s22, v1
	v_add_u32_e32 v3, v1, v3
	v_lshrrev_b32_e32 v3, s23, v3
	v_mul_lo_u32 v3, v3, s15
	v_sub_u32_e32 v3, v1, v3
	v_mad_u64_u32 v[0:1], s[8:9], v3, s11, v[0:1]
	v_mad_u64_u32 v[4:5], s[8:9], v3, s20, v[4:5]
	;; [unrolled: 1-line block ×3, first 2 shown]
.LBB69_48:
	s_waitcnt lgkmcnt(0)
	global_load_dwordx2 v[6:7], v2, s[18:19]
	global_load_dwordx2 v[8:9], v4, s[2:3]
	s_brev_b32 s2, -2
	s_waitcnt vmcnt(0)
	v_bfi_b32 v9, s2, v9, v7
	global_store_dwordx2 v0, v[8:9], s[0:1]
.LBB69_49:
	s_or_b64 exec, exec, s[28:29]
                                        ; implicit-def: $vgpr24
                                        ; implicit-def: $vgpr12
.LBB69_50:
	s_waitcnt lgkmcnt(0)
	s_andn2_saveexec_b64 s[0:1], s[16:17]
	s_cbranch_execz .LBB69_57
; %bb.51:
	v_cndmask_b32_e64 v0, 0, 1, s[6:7]
	v_cmp_ne_u32_e64 s[0:1], 1, v0
	s_andn2_b64 vcc, exec, s[6:7]
	s_cbranch_vccnz .LBB69_58
; %bb.52:
	s_cmp_lg_u32 s33, 0
	v_mov_b32_e32 v2, 0
	v_mov_b32_e32 v4, 0
	;; [unrolled: 1-line block ×3, first 2 shown]
	s_cbranch_scc0 .LBB69_59
; %bb.53:
	s_min_u32 s6, s34, 15
	s_add_i32 s2, s6, 1
	s_and_b32 s7, s2, 30
	s_add_u32 s2, s4, 0xffffffec
	s_addc_u32 s3, s5, -1
	v_mov_b32_e32 v0, 0
	v_mov_b32_e32 v1, v12
	;; [unrolled: 1-line block ×4, first 2 shown]
.LBB69_54:                              ; =>This Inner Loop Header: Depth=1
	s_mov_b64 s[16:17], s[2:3]
	s_load_dwordx4 s[8:11], s[16:17], 0x18
	s_load_dwordx2 s[18:19], s[16:17], 0x28
	s_load_dwordx2 s[20:21], s[16:17], 0xe8
	s_load_dwordx4 s[12:15], s[16:17], 0xd8
	s_add_u32 s2, s16, 24
	s_waitcnt lgkmcnt(0)
	v_mul_hi_u32 v3, s9, v1
	v_add_u32_e32 v3, v1, v3
	v_lshrrev_b32_e32 v3, s10, v3
	v_mul_lo_u32 v5, v3, s8
	v_mul_hi_u32 v6, s18, v3
	v_sub_u32_e32 v1, v1, v5
	v_add_u32_e32 v5, v3, v6
	v_mul_lo_u32 v6, v1, s12
	v_mul_lo_u32 v7, v1, s13
	;; [unrolled: 1-line block ×3, first 2 shown]
	v_lshrrev_b32_e32 v1, s19, v5
	v_mul_lo_u32 v5, v1, s11
	v_sub_u32_e32 v3, v3, v5
	s_addc_u32 s3, s17, 0
	s_add_i32 s7, s7, -2
	v_mul_lo_u32 v5, v3, s15
	v_mul_lo_u32 v9, v3, s20
	;; [unrolled: 1-line block ×3, first 2 shown]
	s_cmp_lg_u32 s7, 0
	v_add3_u32 v0, v6, v0, v5
	v_add3_u32 v2, v8, v2, v3
	;; [unrolled: 1-line block ×3, first 2 shown]
	s_cbranch_scc1 .LBB69_54
; %bb.55:
	s_bitcmp1_b32 s6, 0
	s_cselect_b64 s[6:7], -1, 0
	s_and_b64 vcc, exec, s[6:7]
	s_cbranch_vccnz .LBB69_59
; %bb.56:
	s_load_dwordx2 s[6:7], s[2:3], 0x18
	s_load_dword s10, s[2:3], 0x20
	s_load_dword s11, s[2:3], 0xe0
	s_load_dwordx2 s[8:9], s[2:3], 0xd8
	s_waitcnt lgkmcnt(0)
	v_mul_hi_u32 v3, s7, v1
	v_add_u32_e32 v3, v1, v3
	v_lshrrev_b32_e32 v3, s10, v3
	v_mul_lo_u32 v3, v3, s6
	v_sub_u32_e32 v3, v1, v3
	v_mad_u64_u32 v[0:1], s[2:3], v3, s8, v[0:1]
	v_mad_u64_u32 v[4:5], s[2:3], v3, s9, v[4:5]
	;; [unrolled: 1-line block ×3, first 2 shown]
	s_cbranch_execz .LBB69_60
	s_branch .LBB69_62
.LBB69_57:
	s_endpgm
.LBB69_58:
                                        ; implicit-def: $vgpr2
                                        ; implicit-def: $vgpr4
                                        ; implicit-def: $vgpr0
	s_branch .LBB69_60
.LBB69_59:
	s_cbranch_execnz .LBB69_62
.LBB69_60:
	s_load_dwordx4 s[8:11], s[4:5], 0x4
	s_load_dwordx4 s[12:15], s[4:5], 0xc4
	s_cmp_lt_u32 s33, 2
	s_waitcnt lgkmcnt(0)
	v_mul_hi_u32 v0, s9, v12
	v_add_u32_e32 v0, v12, v0
	v_lshrrev_b32_e32 v1, s10, v0
	v_mul_lo_u32 v0, v1, s8
	v_sub_u32_e32 v3, v12, v0
	v_mul_lo_u32 v0, v3, s12
	v_mul_lo_u32 v2, v3, s14
	;; [unrolled: 1-line block ×3, first 2 shown]
	s_cbranch_scc1 .LBB69_62
; %bb.61:
	s_load_dwordx4 s[8:11], s[4:5], 0x10
	s_load_dwordx4 s[12:15], s[4:5], 0xd0
	s_waitcnt lgkmcnt(0)
	v_mul_hi_u32 v3, s9, v1
	v_add_u32_e32 v3, v1, v3
	v_lshrrev_b32_e32 v3, s10, v3
	v_mul_lo_u32 v3, v3, s8
	v_sub_u32_e32 v3, v1, v3
	v_mad_u64_u32 v[0:1], s[2:3], v3, s12, v[0:1]
	v_mad_u64_u32 v[4:5], s[2:3], v3, s13, v[4:5]
	v_mad_u64_u32 v[2:3], s[2:3], v3, s14, v[2:3]
.LBB69_62:
	s_and_b64 vcc, exec, s[0:1]
	v_add_u32_e32 v1, 0x80, v12
	s_cbranch_vccnz .LBB69_68
; %bb.63:
	s_cmp_lg_u32 s33, 0
	v_mov_b32_e32 v8, 0
	v_mov_b32_e32 v10, 0
	;; [unrolled: 1-line block ×3, first 2 shown]
	s_cbranch_scc0 .LBB69_69
; %bb.64:
	s_min_u32 s6, s34, 15
	s_add_i32 s2, s6, 1
	s_and_b32 s7, s2, 30
	s_add_u32 s2, s4, 0xffffffec
	s_addc_u32 s3, s5, -1
	v_mov_b32_e32 v6, 0
	v_mov_b32_e32 v3, v1
	;; [unrolled: 1-line block ×4, first 2 shown]
.LBB69_65:                              ; =>This Inner Loop Header: Depth=1
	s_mov_b64 s[16:17], s[2:3]
	s_load_dwordx4 s[8:11], s[16:17], 0x18
	s_load_dwordx2 s[18:19], s[16:17], 0x28
	s_load_dwordx2 s[20:21], s[16:17], 0xe8
	s_load_dwordx4 s[12:15], s[16:17], 0xd8
	s_add_u32 s2, s16, 24
	s_waitcnt lgkmcnt(0)
	v_mul_hi_u32 v5, s9, v3
	v_add_u32_e32 v5, v3, v5
	v_lshrrev_b32_e32 v5, s10, v5
	v_mul_lo_u32 v7, v5, s8
	v_mul_hi_u32 v9, s18, v5
	v_sub_u32_e32 v3, v3, v7
	v_add_u32_e32 v7, v5, v9
	v_mul_lo_u32 v9, v3, s12
	v_mul_lo_u32 v11, v3, s13
	;; [unrolled: 1-line block ×3, first 2 shown]
	v_lshrrev_b32_e32 v3, s19, v7
	v_mul_lo_u32 v7, v3, s11
	v_sub_u32_e32 v5, v5, v7
	s_addc_u32 s3, s17, 0
	s_add_i32 s7, s7, -2
	v_mul_lo_u32 v7, v5, s15
	v_mul_lo_u32 v14, v5, s20
	;; [unrolled: 1-line block ×3, first 2 shown]
	s_cmp_lg_u32 s7, 0
	v_add3_u32 v6, v9, v6, v7
	v_add3_u32 v8, v13, v8, v5
	;; [unrolled: 1-line block ×3, first 2 shown]
	s_cbranch_scc1 .LBB69_65
; %bb.66:
	s_bitcmp1_b32 s6, 0
	s_cselect_b64 s[6:7], -1, 0
	s_and_b64 vcc, exec, s[6:7]
	s_cbranch_vccnz .LBB69_69
; %bb.67:
	s_load_dwordx2 s[6:7], s[2:3], 0x18
	s_load_dword s10, s[2:3], 0x20
	s_load_dword s11, s[2:3], 0xe0
	s_load_dwordx2 s[8:9], s[2:3], 0xd8
	s_waitcnt lgkmcnt(0)
	v_mul_hi_u32 v5, s7, v3
	v_add_u32_e32 v5, v3, v5
	v_lshrrev_b32_e32 v5, s10, v5
	v_mul_lo_u32 v5, v5, s6
	v_sub_u32_e32 v3, v3, v5
	v_mad_u64_u32 v[6:7], s[2:3], v3, s8, v[6:7]
	v_mad_u64_u32 v[10:11], s[2:3], v3, s9, v[10:11]
	;; [unrolled: 1-line block ×3, first 2 shown]
	s_cbranch_execz .LBB69_70
	s_branch .LBB69_72
.LBB69_68:
                                        ; implicit-def: $vgpr8
                                        ; implicit-def: $vgpr10
                                        ; implicit-def: $vgpr6
	s_branch .LBB69_70
.LBB69_69:
	s_cbranch_execnz .LBB69_72
.LBB69_70:
	s_load_dwordx4 s[8:11], s[4:5], 0x4
	s_load_dwordx4 s[12:15], s[4:5], 0xc4
	s_cmp_lt_u32 s33, 2
	s_waitcnt lgkmcnt(0)
	v_mul_hi_u32 v3, s9, v1
	v_add_u32_e32 v3, v1, v3
	v_lshrrev_b32_e32 v3, s10, v3
	v_mul_lo_u32 v5, v3, s8
	v_sub_u32_e32 v1, v1, v5
	v_mul_lo_u32 v6, v1, s12
	v_mul_lo_u32 v8, v1, s14
	;; [unrolled: 1-line block ×3, first 2 shown]
	s_cbranch_scc1 .LBB69_72
; %bb.71:
	s_load_dwordx4 s[8:11], s[4:5], 0x10
	s_load_dwordx4 s[12:15], s[4:5], 0xd0
	s_waitcnt lgkmcnt(0)
	v_mul_hi_u32 v1, s9, v3
	v_add_u32_e32 v1, v3, v1
	v_lshrrev_b32_e32 v1, s10, v1
	v_mul_lo_u32 v1, v1, s8
	v_sub_u32_e32 v1, v3, v1
	v_mad_u64_u32 v[6:7], s[2:3], v1, s12, v[6:7]
	v_mad_u64_u32 v[10:11], s[2:3], v1, s13, v[10:11]
	;; [unrolled: 1-line block ×3, first 2 shown]
.LBB69_72:
	s_and_b64 vcc, exec, s[0:1]
	v_add_u32_e32 v1, 0x100, v12
	s_cbranch_vccnz .LBB69_78
; %bb.73:
	s_cmp_lg_u32 s33, 0
	v_mov_b32_e32 v16, 0
	v_mov_b32_e32 v14, 0
	v_mov_b32_e32 v12, 0
	s_cbranch_scc0 .LBB69_79
; %bb.74:
	s_min_u32 s6, s34, 15
	s_add_i32 s2, s6, 1
	s_and_b32 s7, s2, 30
	s_add_u32 s2, s4, 0xffffffec
	s_addc_u32 s3, s5, -1
	v_mov_b32_e32 v12, 0
	v_mov_b32_e32 v3, v1
	;; [unrolled: 1-line block ×4, first 2 shown]
.LBB69_75:                              ; =>This Inner Loop Header: Depth=1
	s_mov_b64 s[16:17], s[2:3]
	s_load_dwordx4 s[8:11], s[16:17], 0x18
	s_load_dwordx2 s[18:19], s[16:17], 0x28
	s_load_dwordx2 s[20:21], s[16:17], 0xe8
	s_load_dwordx4 s[12:15], s[16:17], 0xd8
	s_add_u32 s2, s16, 24
	s_waitcnt lgkmcnt(0)
	v_mul_hi_u32 v5, s9, v3
	v_add_u32_e32 v5, v3, v5
	v_lshrrev_b32_e32 v5, s10, v5
	v_mul_lo_u32 v7, v5, s8
	v_mul_hi_u32 v9, s18, v5
	v_sub_u32_e32 v3, v3, v7
	v_add_u32_e32 v7, v5, v9
	v_mul_lo_u32 v9, v3, s12
	v_mul_lo_u32 v11, v3, s13
	;; [unrolled: 1-line block ×3, first 2 shown]
	v_lshrrev_b32_e32 v3, s19, v7
	v_mul_lo_u32 v7, v3, s11
	v_sub_u32_e32 v5, v5, v7
	s_addc_u32 s3, s17, 0
	s_add_i32 s7, s7, -2
	v_mul_lo_u32 v7, v5, s15
	v_mul_lo_u32 v15, v5, s20
	v_mul_lo_u32 v5, v5, s21
	s_cmp_lg_u32 s7, 0
	v_add3_u32 v12, v9, v12, v7
	v_add3_u32 v16, v13, v16, v5
	v_add3_u32 v14, v11, v14, v15
	s_cbranch_scc1 .LBB69_75
; %bb.76:
	s_bitcmp1_b32 s6, 0
	s_cselect_b64 s[6:7], -1, 0
	s_and_b64 vcc, exec, s[6:7]
	s_cbranch_vccnz .LBB69_79
; %bb.77:
	s_load_dwordx2 s[6:7], s[2:3], 0x18
	s_load_dword s10, s[2:3], 0x20
	s_load_dword s11, s[2:3], 0xe0
	s_load_dwordx2 s[8:9], s[2:3], 0xd8
	s_waitcnt lgkmcnt(0)
	v_mul_hi_u32 v5, s7, v3
	v_add_u32_e32 v5, v3, v5
	v_lshrrev_b32_e32 v5, s10, v5
	v_mul_lo_u32 v5, v5, s6
	v_sub_u32_e32 v3, v3, v5
	v_mad_u64_u32 v[12:13], s[2:3], v3, s8, v[12:13]
	v_mad_u64_u32 v[14:15], s[2:3], v3, s9, v[14:15]
	;; [unrolled: 1-line block ×3, first 2 shown]
	s_cbranch_execz .LBB69_80
	s_branch .LBB69_82
.LBB69_78:
                                        ; implicit-def: $vgpr16
                                        ; implicit-def: $vgpr14
                                        ; implicit-def: $vgpr12
	s_branch .LBB69_80
.LBB69_79:
	s_cbranch_execnz .LBB69_82
.LBB69_80:
	s_load_dwordx4 s[8:11], s[4:5], 0x4
	s_load_dwordx4 s[12:15], s[4:5], 0xc4
	s_cmp_lt_u32 s33, 2
	s_waitcnt lgkmcnt(0)
	v_mul_hi_u32 v3, s9, v1
	v_add_u32_e32 v3, v1, v3
	v_lshrrev_b32_e32 v3, s10, v3
	v_mul_lo_u32 v5, v3, s8
	v_sub_u32_e32 v1, v1, v5
	v_mul_lo_u32 v12, v1, s12
	v_mul_lo_u32 v16, v1, s14
	;; [unrolled: 1-line block ×3, first 2 shown]
	s_cbranch_scc1 .LBB69_82
; %bb.81:
	s_load_dwordx4 s[8:11], s[4:5], 0x10
	s_load_dwordx4 s[12:15], s[4:5], 0xd0
	s_waitcnt lgkmcnt(0)
	v_mul_hi_u32 v1, s9, v3
	v_add_u32_e32 v1, v3, v1
	v_lshrrev_b32_e32 v1, s10, v1
	v_mul_lo_u32 v1, v1, s8
	v_sub_u32_e32 v1, v3, v1
	v_mad_u64_u32 v[12:13], s[2:3], v1, s12, v[12:13]
	v_mad_u64_u32 v[14:15], s[2:3], v1, s13, v[14:15]
	;; [unrolled: 1-line block ×3, first 2 shown]
.LBB69_82:
	s_and_b64 vcc, exec, s[0:1]
	s_cbranch_vccnz .LBB69_88
; %bb.83:
	s_cmp_lg_u32 s33, 0
	v_mov_b32_e32 v20, 0
	v_mov_b32_e32 v22, 0
	;; [unrolled: 1-line block ×3, first 2 shown]
	s_cbranch_scc0 .LBB69_89
; %bb.84:
	s_min_u32 s2, s34, 15
	s_add_i32 s0, s2, 1
	s_and_b32 s3, s0, 30
	s_add_u32 s0, s4, 0xffffffec
	s_addc_u32 s1, s5, -1
	v_mov_b32_e32 v18, 0
	v_mov_b32_e32 v1, v24
	v_mov_b32_e32 v22, 0
	v_mov_b32_e32 v20, 0
.LBB69_85:                              ; =>This Inner Loop Header: Depth=1
	s_mov_b64 s[6:7], s[0:1]
	s_load_dwordx4 s[8:11], s[6:7], 0x18
	s_load_dwordx2 s[16:17], s[6:7], 0x28
	s_load_dwordx2 s[18:19], s[6:7], 0xe8
	s_load_dwordx4 s[12:15], s[6:7], 0xd8
	s_add_u32 s0, s6, 24
	s_waitcnt lgkmcnt(0)
	v_mul_hi_u32 v3, s9, v1
	v_add_u32_e32 v3, v1, v3
	v_lshrrev_b32_e32 v3, s10, v3
	v_mul_lo_u32 v5, v3, s8
	v_mul_hi_u32 v7, s16, v3
	v_sub_u32_e32 v1, v1, v5
	v_add_u32_e32 v5, v3, v7
	v_mul_lo_u32 v7, v1, s12
	v_mul_lo_u32 v9, v1, s13
	;; [unrolled: 1-line block ×3, first 2 shown]
	v_lshrrev_b32_e32 v1, s17, v5
	v_mul_lo_u32 v5, v1, s11
	v_sub_u32_e32 v3, v3, v5
	s_addc_u32 s1, s7, 0
	s_add_i32 s3, s3, -2
	v_mul_lo_u32 v5, v3, s15
	v_mul_lo_u32 v13, v3, s18
	;; [unrolled: 1-line block ×3, first 2 shown]
	s_cmp_lg_u32 s3, 0
	v_add3_u32 v18, v7, v18, v5
	v_add3_u32 v20, v11, v20, v3
	;; [unrolled: 1-line block ×3, first 2 shown]
	s_cbranch_scc1 .LBB69_85
; %bb.86:
	s_bitcmp1_b32 s2, 0
	s_cselect_b64 s[2:3], -1, 0
	s_and_b64 vcc, exec, s[2:3]
	s_cbranch_vccnz .LBB69_89
; %bb.87:
	s_load_dwordx2 s[2:3], s[0:1], 0x18
	s_load_dword s8, s[0:1], 0x20
	s_load_dword s9, s[0:1], 0xe0
	s_load_dwordx2 s[6:7], s[0:1], 0xd8
	s_waitcnt lgkmcnt(0)
	v_mul_hi_u32 v3, s3, v1
	v_add_u32_e32 v3, v1, v3
	v_lshrrev_b32_e32 v3, s8, v3
	v_mul_lo_u32 v3, v3, s2
	v_sub_u32_e32 v1, v1, v3
	v_mad_u64_u32 v[18:19], s[0:1], v1, s6, v[18:19]
	v_mad_u64_u32 v[22:23], s[0:1], v1, s7, v[22:23]
	;; [unrolled: 1-line block ×3, first 2 shown]
	s_cbranch_execz .LBB69_90
	s_branch .LBB69_92
.LBB69_88:
                                        ; implicit-def: $vgpr20
                                        ; implicit-def: $vgpr22
                                        ; implicit-def: $vgpr18
	s_branch .LBB69_90
.LBB69_89:
	s_cbranch_execnz .LBB69_92
.LBB69_90:
	s_load_dwordx4 s[0:3], s[4:5], 0x4
	s_load_dwordx4 s[8:11], s[4:5], 0xc4
	s_cmp_lt_u32 s33, 2
	s_waitcnt lgkmcnt(0)
	v_mul_hi_u32 v1, s1, v24
	v_add_u32_e32 v1, v24, v1
	v_lshrrev_b32_e32 v1, s2, v1
	v_mul_lo_u32 v3, v1, s0
	v_sub_u32_e32 v3, v24, v3
	v_mul_lo_u32 v18, v3, s8
	v_mul_lo_u32 v20, v3, s10
	;; [unrolled: 1-line block ×3, first 2 shown]
	s_cbranch_scc1 .LBB69_92
; %bb.91:
	s_load_dwordx4 s[0:3], s[4:5], 0x10
	s_load_dwordx4 s[8:11], s[4:5], 0xd0
	s_waitcnt lgkmcnt(0)
	v_mul_hi_u32 v3, s1, v1
	v_add_u32_e32 v3, v1, v3
	v_lshrrev_b32_e32 v3, s2, v3
	v_mul_lo_u32 v3, v3, s0
	v_sub_u32_e32 v1, v1, v3
	v_mad_u64_u32 v[18:19], s[0:1], v1, s8, v[18:19]
	v_mad_u64_u32 v[22:23], s[0:1], v1, s9, v[22:23]
	;; [unrolled: 1-line block ×3, first 2 shown]
.LBB69_92:
	s_load_dwordx2 s[6:7], s[4:5], 0x198
	s_load_dwordx4 s[0:3], s[4:5], 0x188
	s_waitcnt lgkmcnt(0)
	global_load_dwordx2 v[24:25], v2, s[6:7]
	global_load_dwordx2 v[26:27], v4, s[2:3]
	;; [unrolled: 1-line block ×8, first 2 shown]
	s_brev_b32 s2, -2
	s_waitcnt vmcnt(6)
	v_bfi_b32 v27, s2, v27, v25
	s_waitcnt vmcnt(4)
	v_bfi_b32 v31, s2, v31, v29
	;; [unrolled: 2-line block ×4, first 2 shown]
	global_store_dwordx2 v0, v[26:27], s[0:1]
	global_store_dwordx2 v6, v[30:31], s[0:1]
	;; [unrolled: 1-line block ×4, first 2 shown]
	s_endpgm
	.section	.rodata,"a",@progbits
	.p2align	6, 0x0
	.amdhsa_kernel _ZN2at6native32elementwise_kernel_manual_unrollILi128ELi4EZNS0_22gpu_kernel_impl_nocastINS0_13BinaryFunctorIdddZZZNS0_20copysign_kernel_cudaERNS_18TensorIteratorBaseEENKUlvE_clEvENKUlvE_clEvEUlddE_EEEEvS5_RKT_EUlibE_EEviT1_
		.amdhsa_group_segment_fixed_size 0
		.amdhsa_private_segment_fixed_size 0
		.amdhsa_kernarg_size 432
		.amdhsa_user_sgpr_count 6
		.amdhsa_user_sgpr_private_segment_buffer 1
		.amdhsa_user_sgpr_dispatch_ptr 0
		.amdhsa_user_sgpr_queue_ptr 0
		.amdhsa_user_sgpr_kernarg_segment_ptr 1
		.amdhsa_user_sgpr_dispatch_id 0
		.amdhsa_user_sgpr_flat_scratch_init 0
		.amdhsa_user_sgpr_kernarg_preload_length 0
		.amdhsa_user_sgpr_kernarg_preload_offset 0
		.amdhsa_user_sgpr_private_segment_size 0
		.amdhsa_uses_dynamic_stack 0
		.amdhsa_system_sgpr_private_segment_wavefront_offset 0
		.amdhsa_system_sgpr_workgroup_id_x 1
		.amdhsa_system_sgpr_workgroup_id_y 0
		.amdhsa_system_sgpr_workgroup_id_z 0
		.amdhsa_system_sgpr_workgroup_info 0
		.amdhsa_system_vgpr_workitem_id 0
		.amdhsa_next_free_vgpr 40
		.amdhsa_next_free_sgpr 52
		.amdhsa_accum_offset 40
		.amdhsa_reserve_vcc 1
		.amdhsa_reserve_flat_scratch 0
		.amdhsa_float_round_mode_32 0
		.amdhsa_float_round_mode_16_64 0
		.amdhsa_float_denorm_mode_32 3
		.amdhsa_float_denorm_mode_16_64 3
		.amdhsa_dx10_clamp 1
		.amdhsa_ieee_mode 1
		.amdhsa_fp16_overflow 0
		.amdhsa_tg_split 0
		.amdhsa_exception_fp_ieee_invalid_op 0
		.amdhsa_exception_fp_denorm_src 0
		.amdhsa_exception_fp_ieee_div_zero 0
		.amdhsa_exception_fp_ieee_overflow 0
		.amdhsa_exception_fp_ieee_underflow 0
		.amdhsa_exception_fp_ieee_inexact 0
		.amdhsa_exception_int_div_zero 0
	.end_amdhsa_kernel
	.section	.text._ZN2at6native32elementwise_kernel_manual_unrollILi128ELi4EZNS0_22gpu_kernel_impl_nocastINS0_13BinaryFunctorIdddZZZNS0_20copysign_kernel_cudaERNS_18TensorIteratorBaseEENKUlvE_clEvENKUlvE_clEvEUlddE_EEEEvS5_RKT_EUlibE_EEviT1_,"axG",@progbits,_ZN2at6native32elementwise_kernel_manual_unrollILi128ELi4EZNS0_22gpu_kernel_impl_nocastINS0_13BinaryFunctorIdddZZZNS0_20copysign_kernel_cudaERNS_18TensorIteratorBaseEENKUlvE_clEvENKUlvE_clEvEUlddE_EEEEvS5_RKT_EUlibE_EEviT1_,comdat
.Lfunc_end69:
	.size	_ZN2at6native32elementwise_kernel_manual_unrollILi128ELi4EZNS0_22gpu_kernel_impl_nocastINS0_13BinaryFunctorIdddZZZNS0_20copysign_kernel_cudaERNS_18TensorIteratorBaseEENKUlvE_clEvENKUlvE_clEvEUlddE_EEEEvS5_RKT_EUlibE_EEviT1_, .Lfunc_end69-_ZN2at6native32elementwise_kernel_manual_unrollILi128ELi4EZNS0_22gpu_kernel_impl_nocastINS0_13BinaryFunctorIdddZZZNS0_20copysign_kernel_cudaERNS_18TensorIteratorBaseEENKUlvE_clEvENKUlvE_clEvEUlddE_EEEEvS5_RKT_EUlibE_EEviT1_
                                        ; -- End function
	.section	.AMDGPU.csdata,"",@progbits
; Kernel info:
; codeLenInByte = 4704
; NumSgprs: 56
; NumVgprs: 40
; NumAgprs: 0
; TotalNumVgprs: 40
; ScratchSize: 0
; MemoryBound: 0
; FloatMode: 240
; IeeeMode: 1
; LDSByteSize: 0 bytes/workgroup (compile time only)
; SGPRBlocks: 6
; VGPRBlocks: 4
; NumSGPRsForWavesPerEU: 56
; NumVGPRsForWavesPerEU: 40
; AccumOffset: 40
; Occupancy: 8
; WaveLimiterHint : 1
; COMPUTE_PGM_RSRC2:SCRATCH_EN: 0
; COMPUTE_PGM_RSRC2:USER_SGPR: 6
; COMPUTE_PGM_RSRC2:TRAP_HANDLER: 0
; COMPUTE_PGM_RSRC2:TGID_X_EN: 1
; COMPUTE_PGM_RSRC2:TGID_Y_EN: 0
; COMPUTE_PGM_RSRC2:TGID_Z_EN: 0
; COMPUTE_PGM_RSRC2:TIDIG_COMP_CNT: 0
; COMPUTE_PGM_RSRC3_GFX90A:ACCUM_OFFSET: 9
; COMPUTE_PGM_RSRC3_GFX90A:TG_SPLIT: 0
	.section	.text._ZN2at6native32elementwise_kernel_manual_unrollILi128ELi4EZNS0_15gpu_kernel_implINS0_13BinaryFunctorIdddZZZNS0_20copysign_kernel_cudaERNS_18TensorIteratorBaseEENKUlvE_clEvENKUlvE_clEvEUlddE_EEEEvS5_RKT_EUlibE_EEviT1_,"axG",@progbits,_ZN2at6native32elementwise_kernel_manual_unrollILi128ELi4EZNS0_15gpu_kernel_implINS0_13BinaryFunctorIdddZZZNS0_20copysign_kernel_cudaERNS_18TensorIteratorBaseEENKUlvE_clEvENKUlvE_clEvEUlddE_EEEEvS5_RKT_EUlibE_EEviT1_,comdat
	.globl	_ZN2at6native32elementwise_kernel_manual_unrollILi128ELi4EZNS0_15gpu_kernel_implINS0_13BinaryFunctorIdddZZZNS0_20copysign_kernel_cudaERNS_18TensorIteratorBaseEENKUlvE_clEvENKUlvE_clEvEUlddE_EEEEvS5_RKT_EUlibE_EEviT1_ ; -- Begin function _ZN2at6native32elementwise_kernel_manual_unrollILi128ELi4EZNS0_15gpu_kernel_implINS0_13BinaryFunctorIdddZZZNS0_20copysign_kernel_cudaERNS_18TensorIteratorBaseEENKUlvE_clEvENKUlvE_clEvEUlddE_EEEEvS5_RKT_EUlibE_EEviT1_
	.p2align	8
	.type	_ZN2at6native32elementwise_kernel_manual_unrollILi128ELi4EZNS0_15gpu_kernel_implINS0_13BinaryFunctorIdddZZZNS0_20copysign_kernel_cudaERNS_18TensorIteratorBaseEENKUlvE_clEvENKUlvE_clEvEUlddE_EEEEvS5_RKT_EUlibE_EEviT1_,@function
_ZN2at6native32elementwise_kernel_manual_unrollILi128ELi4EZNS0_15gpu_kernel_implINS0_13BinaryFunctorIdddZZZNS0_20copysign_kernel_cudaERNS_18TensorIteratorBaseEENKUlvE_clEvENKUlvE_clEvEUlddE_EEEEvS5_RKT_EUlibE_EEviT1_: ; @_ZN2at6native32elementwise_kernel_manual_unrollILi128ELi4EZNS0_15gpu_kernel_implINS0_13BinaryFunctorIdddZZZNS0_20copysign_kernel_cudaERNS_18TensorIteratorBaseEENKUlvE_clEvENKUlvE_clEvEUlddE_EEEEvS5_RKT_EUlibE_EEviT1_
; %bb.0:
	v_mov_b32_e32 v1, 0
	global_load_ushort v18, v1, s[4:5] offset:45
	global_load_sbyte v20, v1, s[4:5] offset:47
	s_load_dword s33, s[4:5], 0x0
	s_load_dwordx4 s[8:11], s[4:5], 0x8
	s_load_dwordx2 s[2:3], s[4:5], 0x18
	s_load_dwordx4 s[12:15], s[4:5], 0x20
	v_lshl_or_b32 v19, s6, 9, v0
	v_or_b32_e32 v0, 0x180, v19
	s_mov_b64 s[16:17], 0
	s_waitcnt lgkmcnt(0)
	v_cmp_le_i32_e32 vcc, s33, v0
	s_mov_b64 s[6:7], 0
	s_waitcnt vmcnt(1)
	v_lshrrev_b32_e32 v16, 8, v18
	s_and_saveexec_b64 s[0:1], vcc
	s_xor_b64 s[4:5], exec, s[0:1]
	s_cbranch_execz .LBB70_1544
; %bb.1:
	v_cmp_gt_i32_e32 vcc, s33, v19
	s_mov_b64 s[0:1], -1
	s_mov_b64 s[26:27], 0
	s_mov_b64 s[20:21], 0
	;; [unrolled: 1-line block ×3, first 2 shown]
	s_and_saveexec_b64 s[22:23], vcc
	s_cbranch_execz .LBB70_383
; %bb.2:
	v_mul_lo_u32 v0, v19, s13
	v_ashrrev_i32_e32 v1, 31, v0
	v_mov_b32_e32 v3, s11
	v_add_co_u32_e32 v2, vcc, s10, v0
	v_mov_b32_e32 v0, 11
	v_addc_co_u32_e32 v3, vcc, v3, v1, vcc
	v_cmp_lt_i16_sdwa s[0:1], v16, v0 src0_sel:BYTE_0 src1_sel:DWORD
	s_and_b64 vcc, exec, s[0:1]
	s_cbranch_vccnz .LBB70_9
; %bb.3:
	v_mov_b32_e32 v0, 25
	v_cmp_gt_i16_sdwa s[0:1], v16, v0 src0_sel:BYTE_0 src1_sel:DWORD
	s_and_b64 vcc, exec, s[0:1]
	s_cbranch_vccz .LBB70_18
; %bb.4:
	v_mov_b32_e32 v0, 28
	v_cmp_gt_i16_sdwa s[0:1], v16, v0 src0_sel:BYTE_0 src1_sel:DWORD
	s_and_b64 vcc, exec, s[0:1]
	s_cbranch_vccz .LBB70_28
	;; [unrolled: 5-line block ×4, first 2 shown]
; %bb.7:
	v_mov_b32_e32 v0, 46
	v_cmp_eq_u16_sdwa s[0:1], v16, v0 src0_sel:BYTE_0 src1_sel:DWORD
	s_and_b64 vcc, exec, s[0:1]
	s_cbranch_vccz .LBB70_37
; %bb.8:
	global_load_dword v0, v[2:3], off
	s_mov_b64 s[0:1], -1
	s_waitcnt vmcnt(0)
	v_lshlrev_b32_e32 v0, 16, v0
	v_cvt_f64_f32_e32 v[0:1], v0
	s_branch .LBB70_39
.LBB70_9:
                                        ; implicit-def: $vgpr0_vgpr1
	s_mov_b64 s[0:1], 0
	s_cbranch_execnz .LBB70_105
.LBB70_10:
	s_andn2_b64 vcc, exec, s[0:1]
	s_cbranch_vccnz .LBB70_152
.LBB70_11:
	v_mul_lo_u32 v2, v19, s14
	v_ashrrev_i32_e32 v3, 31, v2
	v_mov_b32_e32 v4, s3
	v_add_co_u32_e32 v2, vcc, s2, v2
	v_addc_co_u32_e32 v3, vcc, v4, v3, vcc
	v_mov_b32_e32 v4, 11
	s_waitcnt vmcnt(0)
	v_cmp_lt_i16_sdwa s[0:1], v20, v4 src0_sel:BYTE_0 src1_sel:DWORD
	s_and_b64 vcc, exec, s[0:1]
	s_cbranch_vccnz .LBB70_19
; %bb.12:
	v_mov_b32_e32 v4, 25
	v_cmp_gt_i16_sdwa s[0:1], v20, v4 src0_sel:BYTE_0 src1_sel:DWORD
	s_and_b64 vcc, exec, s[0:1]
	s_cbranch_vccz .LBB70_29
; %bb.13:
	v_mov_b32_e32 v4, 28
	v_cmp_gt_i16_sdwa s[0:1], v20, v4 src0_sel:BYTE_0 src1_sel:DWORD
	s_and_b64 vcc, exec, s[0:1]
	s_cbranch_vccz .LBB70_32
	;; [unrolled: 5-line block ×4, first 2 shown]
; %bb.16:
	v_mov_b32_e32 v4, 46
	v_cmp_eq_u16_sdwa s[0:1], v20, v4 src0_sel:BYTE_0 src1_sel:DWORD
	s_mov_b64 s[6:7], 0
	s_and_b64 vcc, exec, s[0:1]
	s_cbranch_vccz .LBB70_153
; %bb.17:
	global_load_dword v4, v[2:3], off
	s_mov_b64 s[0:1], -1
	s_mov_b64 s[18:19], 0
	s_waitcnt vmcnt(0)
	v_lshlrev_b32_e32 v4, 16, v4
	v_cvt_f64_f32_e32 v[4:5], v4
	s_branch .LBB70_155
.LBB70_18:
	s_mov_b64 s[0:1], 0
                                        ; implicit-def: $vgpr0_vgpr1
	s_cbranch_execnz .LBB70_70
	s_branch .LBB70_104
.LBB70_19:
	s_mov_b64 s[18:19], 0
                                        ; implicit-def: $vgpr4_vgpr5
	s_mov_b64 s[0:1], 0
	s_cbranch_execnz .LBB70_332
.LBB70_20:
	s_andn2_b64 vcc, exec, s[0:1]
	s_cbranch_vccnz .LBB70_380
.LBB70_21:
	s_brev_b32 s0, -2
	v_mul_lo_u32 v2, v19, s12
	s_waitcnt vmcnt(0)
	v_bfi_b32 v1, s0, v1, v5
	v_ashrrev_i32_e32 v3, 31, v2
	v_mov_b32_e32 v5, s9
	v_add_co_u32_e32 v4, vcc, s8, v2
	v_mov_b32_e32 v2, 11
	v_addc_co_u32_e32 v5, vcc, v5, v3, vcc
	v_cmp_lt_i16_sdwa s[0:1], v18, v2 src0_sel:BYTE_0 src1_sel:DWORD
	s_and_b64 vcc, exec, s[0:1]
	s_cbranch_vccnz .LBB70_30
; %bb.22:
	v_mov_b32_e32 v2, 25
	v_cmp_gt_i16_sdwa s[0:1], v18, v2 src0_sel:BYTE_0 src1_sel:DWORD
	s_and_b64 vcc, exec, s[0:1]
	s_cbranch_vccz .LBB70_33
; %bb.23:
	v_mov_b32_e32 v2, 28
	v_cmp_gt_i16_sdwa s[0:1], v18, v2 src0_sel:BYTE_0 src1_sel:DWORD
	s_and_b64 vcc, exec, s[0:1]
	s_cbranch_vccz .LBB70_36
	;; [unrolled: 5-line block ×4, first 2 shown]
; %bb.26:
	v_mov_b32_e32 v2, 46
	v_cmp_eq_u16_sdwa s[6:7], v18, v2 src0_sel:BYTE_0 src1_sel:DWORD
	s_mov_b64 s[24:25], 0
	s_mov_b64 s[0:1], -1
	s_and_b64 vcc, exec, s[6:7]
	s_mov_b64 s[6:7], 0
	s_cbranch_vccz .LBB70_159
; %bb.27:
	v_cvt_f32_f64_e32 v2, v[0:1]
	v_bfe_u32 v3, v2, 16, 1
	s_movk_i32 s0, 0x7fff
	v_add3_u32 v3, v2, v3, s0
	v_lshrrev_b32_e32 v3, 16, v3
	v_mov_b32_e32 v6, 0x7fc0
	v_cmp_o_f32_e32 vcc, v2, v2
	v_cndmask_b32_e32 v2, v6, v3, vcc
	global_store_dword v[4:5], v2, off
	s_mov_b64 s[6:7], -1
	s_mov_b64 s[0:1], 0
	s_branch .LBB70_159
.LBB70_28:
	s_mov_b64 s[6:7], -1
	s_mov_b64 s[0:1], 0
                                        ; implicit-def: $vgpr0_vgpr1
	s_branch .LBB70_51
.LBB70_29:
	s_mov_b64 s[6:7], -1
	s_mov_b64 s[18:19], 0
	s_mov_b64 s[0:1], 0
                                        ; implicit-def: $vgpr4_vgpr5
	s_branch .LBB70_296
.LBB70_30:
	s_mov_b64 s[24:25], -1
	s_mov_b64 s[0:1], 0
	s_mov_b64 s[6:7], 0
	s_branch .LBB70_228
.LBB70_31:
	s_mov_b64 s[6:7], -1
	s_mov_b64 s[0:1], 0
                                        ; implicit-def: $vgpr0_vgpr1
	s_branch .LBB70_46
.LBB70_32:
	s_mov_b64 s[6:7], -1
	s_mov_b64 s[18:19], 0
	s_mov_b64 s[0:1], 0
                                        ; implicit-def: $vgpr4_vgpr5
	s_branch .LBB70_277
.LBB70_33:
	s_mov_b64 s[24:25], -1
	s_mov_b64 s[0:1], 0
	s_mov_b64 s[6:7], 0
	s_branch .LBB70_186
.LBB70_34:
	s_mov_b64 s[6:7], -1
	s_branch .LBB70_38
.LBB70_35:
	s_mov_b64 s[6:7], -1
	s_mov_b64 s[18:19], 0
	s_mov_b64 s[0:1], 0
                                        ; implicit-def: $vgpr4_vgpr5
	s_branch .LBB70_272
.LBB70_36:
	s_mov_b64 s[24:25], -1
	s_mov_b64 s[0:1], 0
	s_mov_b64 s[6:7], 0
	s_branch .LBB70_169
.LBB70_37:
	s_mov_b64 s[20:21], -1
.LBB70_38:
	s_mov_b64 s[0:1], 0
                                        ; implicit-def: $vgpr0_vgpr1
.LBB70_39:
	s_and_b64 vcc, exec, s[6:7]
	s_cbranch_vccz .LBB70_45
; %bb.40:
	v_mov_b32_e32 v0, 44
	v_cmp_eq_u16_sdwa s[6:7], v16, v0 src0_sel:BYTE_0 src1_sel:DWORD
	s_and_b64 vcc, exec, s[6:7]
	s_cbranch_vccz .LBB70_44
; %bb.41:
	global_load_ubyte v4, v[2:3], off
	s_movk_i32 s6, 0xff
	v_bfrev_b32_e32 v5, 4
	v_mov_b32_e32 v6, 0x7ff80000
	v_bfrev_b32_e32 v7, 28
	s_mov_b64 s[0:1], -1
	s_mov_b64 s[20:21], 0
	s_waitcnt vmcnt(0)
	v_lshlrev_b32_e32 v0, 23, v4
	v_cvt_f64_f32_e32 v[0:1], v0
	v_cmp_ne_u32_e32 vcc, s6, v4
	v_cndmask_b32_e32 v0, v5, v0, vcc
	v_cndmask_b32_e32 v1, v6, v1, vcc
	v_cmp_ne_u32_e32 vcc, 0, v4
	v_cndmask_b32_e32 v1, v7, v1, vcc
	v_cndmask_b32_e32 v0, 0, v0, vcc
	s_branch .LBB70_45
.LBB70_42:
	s_mov_b64 s[6:7], -1
	s_mov_b64 s[18:19], 0
	s_branch .LBB70_154
.LBB70_43:
	s_mov_b64 s[24:25], -1
	s_mov_b64 s[0:1], 0
	s_mov_b64 s[6:7], 0
	s_branch .LBB70_165
.LBB70_44:
	s_mov_b64 s[20:21], -1
                                        ; implicit-def: $vgpr0_vgpr1
.LBB70_45:
	s_mov_b64 s[6:7], 0
.LBB70_46:
	s_and_b64 vcc, exec, s[6:7]
	s_cbranch_vccz .LBB70_50
; %bb.47:
	v_mov_b32_e32 v0, 29
	v_cmp_eq_u16_sdwa s[6:7], v16, v0 src0_sel:BYTE_0 src1_sel:DWORD
	s_and_b64 vcc, exec, s[6:7]
	s_cbranch_vccz .LBB70_49
; %bb.48:
	global_load_dwordx2 v[0:1], v[2:3], off
	s_mov_b64 s[0:1], -1
	s_mov_b64 s[20:21], 0
	s_mov_b64 s[6:7], 0
	s_waitcnt vmcnt(0)
	v_cvt_f64_u32_e32 v[4:5], v1
	v_cvt_f64_u32_e32 v[0:1], v0
	v_ldexp_f64 v[4:5], v[4:5], 32
	v_add_f64 v[0:1], v[4:5], v[0:1]
	s_branch .LBB70_51
.LBB70_49:
	s_mov_b64 s[20:21], -1
                                        ; implicit-def: $vgpr0_vgpr1
.LBB70_50:
	s_mov_b64 s[6:7], 0
.LBB70_51:
	s_and_b64 vcc, exec, s[6:7]
	s_cbranch_vccz .LBB70_69
; %bb.52:
	v_mov_b32_e32 v0, 27
	v_cmp_lt_i16_sdwa s[0:1], v16, v0 src0_sel:BYTE_0 src1_sel:DWORD
	s_and_b64 vcc, exec, s[0:1]
	s_cbranch_vccnz .LBB70_55
; %bb.53:
	v_cmp_gt_i16_sdwa s[0:1], v16, v0 src0_sel:BYTE_0 src1_sel:DWORD
	s_and_b64 vcc, exec, s[0:1]
	s_cbranch_vccz .LBB70_56
; %bb.54:
	global_load_dword v0, v[2:3], off
	s_mov_b64 s[0:1], 0
	s_waitcnt vmcnt(0)
	v_cvt_f64_u32_e32 v[0:1], v0
	s_branch .LBB70_57
.LBB70_55:
	s_mov_b64 s[0:1], -1
                                        ; implicit-def: $vgpr0_vgpr1
	s_branch .LBB70_60
.LBB70_56:
	s_mov_b64 s[0:1], -1
                                        ; implicit-def: $vgpr0_vgpr1
.LBB70_57:
	s_andn2_b64 vcc, exec, s[0:1]
	s_cbranch_vccnz .LBB70_59
; %bb.58:
	global_load_ushort v0, v[2:3], off
	s_waitcnt vmcnt(0)
	v_cvt_f64_u32_e32 v[0:1], v0
.LBB70_59:
	s_mov_b64 s[0:1], 0
.LBB70_60:
	s_andn2_b64 vcc, exec, s[0:1]
	s_cbranch_vccnz .LBB70_68
; %bb.61:
	global_load_ubyte v4, v[2:3], off
	s_movk_i32 s0, 0x7f
                                        ; implicit-def: $sgpr6_sgpr7
	s_waitcnt vmcnt(0)
	v_cmp_lt_i16_e32 vcc, s0, v4
	s_mov_b64 s[0:1], 0
	s_and_saveexec_b64 s[18:19], vcc
	s_xor_b64 s[18:19], exec, s[18:19]
	s_cbranch_execz .LBB70_81
; %bb.62:
	s_movk_i32 s0, 0x80
	v_cmp_eq_u16_e32 vcc, s0, v4
	s_mov_b64 s[24:25], -1
                                        ; implicit-def: $sgpr6_sgpr7
	s_and_saveexec_b64 s[0:1], vcc
; %bb.63:
	s_mov_b32 s7, 0x7ff80000
	s_brev_b32 s6, 4
	s_xor_b64 s[24:25], exec, -1
; %bb.64:
	s_or_b64 exec, exec, s[0:1]
	s_and_b64 s[0:1], s[24:25], exec
	s_or_saveexec_b64 s[18:19], s[18:19]
	v_pk_mov_b32 v[0:1], s[6:7], s[6:7] op_sel:[0,1]
	s_xor_b64 exec, exec, s[18:19]
	s_cbranch_execnz .LBB70_82
.LBB70_65:
	s_or_b64 exec, exec, s[18:19]
	s_and_saveexec_b64 s[6:7], s[0:1]
	s_cbranch_execz .LBB70_67
.LBB70_66:
	v_and_b32_e32 v1, 0xffff, v4
	v_lshlrev_b32_e32 v0, 24, v4
	v_and_b32_e32 v4, 7, v1
	v_ffbh_u32_e32 v6, v4
	v_min_u32_e32 v6, 32, v6
	v_subrev_u32_e32 v7, 28, v6
	v_bfe_u32 v5, v1, 3, 4
	v_lshlrev_b32_e32 v1, v7, v1
	v_sub_u32_e32 v6, 29, v6
	v_and_b32_e32 v1, 7, v1
	v_cmp_eq_u32_e32 vcc, 0, v5
	v_cndmask_b32_e32 v5, v5, v6, vcc
	v_cndmask_b32_e32 v1, v4, v1, vcc
	v_mov_b32_e32 v4, 0x3b800000
	v_lshlrev_b32_e32 v1, 20, v1
	v_and_b32_e32 v0, 0x80000000, v0
	v_lshl_add_u32 v4, v5, 23, v4
	v_or3_b32 v0, v0, v4, v1
	v_cvt_f64_f32_e32 v[0:1], v0
.LBB70_67:
	s_or_b64 exec, exec, s[6:7]
.LBB70_68:
	s_mov_b64 s[0:1], -1
.LBB70_69:
	s_branch .LBB70_104
.LBB70_70:
	v_mov_b32_e32 v0, 22
	v_cmp_gt_i16_sdwa s[6:7], v16, v0 src0_sel:BYTE_0 src1_sel:DWORD
	s_and_b64 vcc, exec, s[6:7]
	s_cbranch_vccz .LBB70_80
; %bb.71:
	v_mov_b32_e32 v0, 24
	v_cmp_lt_i16_sdwa s[0:1], v16, v0 src0_sel:BYTE_0 src1_sel:DWORD
	s_and_b64 vcc, exec, s[0:1]
	s_cbranch_vccnz .LBB70_83
; %bb.72:
	v_cmp_gt_i16_sdwa s[0:1], v16, v0 src0_sel:BYTE_0 src1_sel:DWORD
	s_and_b64 vcc, exec, s[0:1]
	s_cbranch_vccz .LBB70_84
; %bb.73:
	global_load_ubyte v4, v[2:3], off
	s_movk_i32 s0, 0x7f
                                        ; implicit-def: $sgpr6_sgpr7
	s_waitcnt vmcnt(0)
	v_cmp_lt_i16_e32 vcc, s0, v4
	s_mov_b64 s[0:1], 0
	s_and_saveexec_b64 s[18:19], vcc
	s_xor_b64 s[18:19], exec, s[18:19]
	s_cbranch_execz .LBB70_96
; %bb.74:
	s_movk_i32 s0, 0x80
	v_cmp_eq_u16_e32 vcc, s0, v4
	s_mov_b64 s[24:25], -1
                                        ; implicit-def: $sgpr6_sgpr7
	s_and_saveexec_b64 s[0:1], vcc
; %bb.75:
	s_mov_b32 s7, 0x7ff80000
	s_brev_b32 s6, 4
	s_xor_b64 s[24:25], exec, -1
; %bb.76:
	s_or_b64 exec, exec, s[0:1]
	s_and_b64 s[0:1], s[24:25], exec
	s_or_saveexec_b64 s[18:19], s[18:19]
	v_pk_mov_b32 v[0:1], s[6:7], s[6:7] op_sel:[0,1]
	s_xor_b64 exec, exec, s[18:19]
	s_cbranch_execnz .LBB70_97
.LBB70_77:
	s_or_b64 exec, exec, s[18:19]
	s_and_saveexec_b64 s[6:7], s[0:1]
	s_cbranch_execz .LBB70_79
.LBB70_78:
	v_and_b32_e32 v1, 0xffff, v4
	v_lshlrev_b32_e32 v0, 24, v4
	v_and_b32_e32 v4, 3, v1
	v_ffbh_u32_e32 v6, v4
	v_min_u32_e32 v6, 32, v6
	v_subrev_u32_e32 v7, 29, v6
	v_bfe_u32 v5, v1, 2, 5
	v_lshlrev_b32_e32 v1, v7, v1
	v_sub_u32_e32 v6, 30, v6
	v_and_b32_e32 v1, 3, v1
	v_cmp_eq_u32_e32 vcc, 0, v5
	v_cndmask_b32_e32 v5, v5, v6, vcc
	v_cndmask_b32_e32 v1, v4, v1, vcc
	v_mov_b32_e32 v4, 0x37800000
	v_lshlrev_b32_e32 v1, 21, v1
	v_and_b32_e32 v0, 0x80000000, v0
	v_lshl_add_u32 v4, v5, 23, v4
	v_or3_b32 v0, v0, v4, v1
	v_cvt_f64_f32_e32 v[0:1], v0
.LBB70_79:
	s_or_b64 exec, exec, s[6:7]
	s_mov_b64 s[0:1], 0
	s_branch .LBB70_85
.LBB70_80:
	s_mov_b64 s[6:7], -1
                                        ; implicit-def: $vgpr0_vgpr1
	s_branch .LBB70_91
.LBB70_81:
	s_or_saveexec_b64 s[18:19], s[18:19]
	v_pk_mov_b32 v[0:1], s[6:7], s[6:7] op_sel:[0,1]
	s_xor_b64 exec, exec, s[18:19]
	s_cbranch_execz .LBB70_65
.LBB70_82:
	v_cmp_ne_u16_e32 vcc, 0, v4
	s_andn2_b64 s[0:1], s[0:1], exec
	s_and_b64 s[6:7], vcc, exec
	v_pk_mov_b32 v[0:1], 0, 0
	s_or_b64 s[0:1], s[0:1], s[6:7]
	s_or_b64 exec, exec, s[18:19]
	s_and_saveexec_b64 s[6:7], s[0:1]
	s_cbranch_execnz .LBB70_66
	s_branch .LBB70_67
.LBB70_83:
	s_mov_b64 s[0:1], -1
                                        ; implicit-def: $vgpr0_vgpr1
	s_branch .LBB70_88
.LBB70_84:
	s_mov_b64 s[0:1], -1
                                        ; implicit-def: $vgpr0_vgpr1
.LBB70_85:
	s_and_b64 vcc, exec, s[0:1]
	s_cbranch_vccz .LBB70_87
; %bb.86:
	global_load_ubyte v0, v[2:3], off
	s_mov_b32 s0, 0x7f800000
	s_waitcnt vmcnt(0)
	v_lshlrev_b32_e32 v0, 24, v0
	v_and_b32_e32 v1, 0x7f000000, v0
	v_ffbh_u32_e32 v4, v1
	v_min_u32_e32 v4, 32, v4
	v_sub_u32_e64 v4, v4, 4 clamp
	v_lshlrev_b32_e32 v6, v4, v1
	v_lshlrev_b32_e32 v4, 23, v4
	v_lshrrev_b32_e32 v6, 4, v6
	v_add_u32_e32 v5, 0x1000000, v1
	v_sub_u32_e32 v4, v6, v4
	v_ashrrev_i32_e32 v5, 8, v5
	v_add_u32_e32 v4, 0x3c000000, v4
	v_and_or_b32 v4, v5, s0, v4
	v_cmp_ne_u32_e32 vcc, 0, v1
	v_cndmask_b32_e32 v1, 0, v4, vcc
	s_brev_b32 s0, 1
	v_and_or_b32 v0, v0, s0, v1
	v_cvt_f64_f32_e32 v[0:1], v0
.LBB70_87:
	s_mov_b64 s[0:1], 0
.LBB70_88:
	s_andn2_b64 vcc, exec, s[0:1]
	s_cbranch_vccnz .LBB70_90
; %bb.89:
	global_load_ubyte v0, v[2:3], off
	s_movk_i32 s0, 0x7f00
	s_brev_b32 s1, 16
	s_waitcnt vmcnt(0)
	v_lshlrev_b16_e32 v1, 8, v0
	v_lshlrev_b32_e32 v0, 25, v0
	v_lshrrev_b32_e32 v4, 4, v0
	v_and_or_b32 v5, v1, s0, 0.5
	v_or_b32_e32 v4, 0x70000000, v4
	v_add_f32_e32 v5, -0.5, v5
	v_mul_f32_e32 v4, 0x7800000, v4
	v_cmp_gt_u32_e32 vcc, s1, v0
	v_bfe_i32 v1, v1, 0, 16
	v_cndmask_b32_e32 v0, v4, v5, vcc
	s_brev_b32 s0, 1
	v_and_or_b32 v0, v1, s0, v0
	v_cvt_f64_f32_e32 v[0:1], v0
.LBB70_90:
	s_mov_b64 s[6:7], 0
	s_mov_b64 s[0:1], -1
.LBB70_91:
	s_andn2_b64 vcc, exec, s[6:7]
	s_cbranch_vccnz .LBB70_104
; %bb.92:
	v_mov_b32_e32 v0, 14
	v_cmp_gt_i16_sdwa s[6:7], v16, v0 src0_sel:BYTE_0 src1_sel:DWORD
	s_and_b64 vcc, exec, s[6:7]
	s_cbranch_vccz .LBB70_95
; %bb.93:
	v_mov_b32_e32 v0, 15
	v_cmp_eq_u16_sdwa s[6:7], v16, v0 src0_sel:BYTE_0 src1_sel:DWORD
	s_and_b64 vcc, exec, s[6:7]
	s_cbranch_vccz .LBB70_98
; %bb.94:
	global_load_ushort v0, v[2:3], off
	s_mov_b64 s[0:1], -1
	s_mov_b64 s[20:21], 0
	s_waitcnt vmcnt(0)
	v_lshlrev_b32_e32 v0, 16, v0
	v_cvt_f64_f32_e32 v[0:1], v0
	s_branch .LBB70_99
.LBB70_95:
	s_mov_b64 s[6:7], -1
                                        ; implicit-def: $vgpr0_vgpr1
	s_branch .LBB70_100
.LBB70_96:
	s_or_saveexec_b64 s[18:19], s[18:19]
	v_pk_mov_b32 v[0:1], s[6:7], s[6:7] op_sel:[0,1]
	s_xor_b64 exec, exec, s[18:19]
	s_cbranch_execz .LBB70_77
.LBB70_97:
	v_cmp_ne_u16_e32 vcc, 0, v4
	s_andn2_b64 s[0:1], s[0:1], exec
	s_and_b64 s[6:7], vcc, exec
	v_pk_mov_b32 v[0:1], 0, 0
	s_or_b64 s[0:1], s[0:1], s[6:7]
	s_or_b64 exec, exec, s[18:19]
	s_and_saveexec_b64 s[6:7], s[0:1]
	s_cbranch_execnz .LBB70_78
	s_branch .LBB70_79
.LBB70_98:
	s_mov_b64 s[20:21], -1
                                        ; implicit-def: $vgpr0_vgpr1
.LBB70_99:
	s_mov_b64 s[6:7], 0
.LBB70_100:
	s_and_b64 vcc, exec, s[6:7]
	s_cbranch_vccz .LBB70_104
; %bb.101:
	v_mov_b32_e32 v0, 11
	v_cmp_eq_u16_sdwa s[6:7], v16, v0 src0_sel:BYTE_0 src1_sel:DWORD
	s_and_b64 vcc, exec, s[6:7]
	s_cbranch_vccz .LBB70_103
; %bb.102:
	global_load_ubyte v1, v[2:3], off
	v_mov_b32_e32 v4, 0x3ff00000
	v_mov_b32_e32 v0, 0
	s_mov_b64 s[0:1], -1
	s_mov_b64 s[20:21], 0
	s_waitcnt vmcnt(0)
	v_cmp_ne_u16_e32 vcc, 0, v1
	v_cndmask_b32_e32 v1, 0, v4, vcc
	s_branch .LBB70_104
.LBB70_103:
	s_mov_b64 s[20:21], -1
                                        ; implicit-def: $vgpr0_vgpr1
.LBB70_104:
	s_branch .LBB70_10
.LBB70_105:
	v_mov_b32_e32 v0, 5
	v_cmp_lt_i16_sdwa s[0:1], v16, v0 src0_sel:BYTE_0 src1_sel:DWORD
	s_and_b64 vcc, exec, s[0:1]
	s_cbranch_vccnz .LBB70_110
; %bb.106:
	v_mov_b32_e32 v0, 8
	v_cmp_lt_i16_sdwa s[0:1], v16, v0 src0_sel:BYTE_0 src1_sel:DWORD
	s_and_b64 vcc, exec, s[0:1]
	s_cbranch_vccnz .LBB70_111
; %bb.107:
	;; [unrolled: 5-line block ×3, first 2 shown]
	v_cmp_gt_i16_sdwa s[0:1], v16, v0 src0_sel:BYTE_0 src1_sel:DWORD
	s_and_b64 vcc, exec, s[0:1]
	s_cbranch_vccz .LBB70_113
; %bb.109:
	global_load_dwordx2 v[0:1], v[2:3], off
	s_mov_b64 s[0:1], 0
	s_branch .LBB70_114
.LBB70_110:
                                        ; implicit-def: $vgpr0_vgpr1
	s_branch .LBB70_132
.LBB70_111:
	s_mov_b64 s[0:1], -1
                                        ; implicit-def: $vgpr0_vgpr1
	s_branch .LBB70_120
.LBB70_112:
	s_mov_b64 s[0:1], -1
                                        ; implicit-def: $vgpr0_vgpr1
	s_branch .LBB70_117
.LBB70_113:
	s_mov_b64 s[0:1], -1
                                        ; implicit-def: $vgpr0_vgpr1
.LBB70_114:
	s_andn2_b64 vcc, exec, s[0:1]
	s_cbranch_vccnz .LBB70_116
; %bb.115:
	global_load_dword v0, v[2:3], off
	s_waitcnt vmcnt(0)
	v_cvt_f64_f32_e32 v[0:1], v0
.LBB70_116:
	s_mov_b64 s[0:1], 0
.LBB70_117:
	s_andn2_b64 vcc, exec, s[0:1]
	s_cbranch_vccnz .LBB70_119
; %bb.118:
	global_load_dword v0, v[2:3], off
	s_waitcnt vmcnt(0)
	v_cvt_f32_f16_e32 v0, v0
	v_cvt_f64_f32_e32 v[0:1], v0
.LBB70_119:
	s_mov_b64 s[0:1], 0
.LBB70_120:
	s_andn2_b64 vcc, exec, s[0:1]
	s_cbranch_vccnz .LBB70_131
; %bb.121:
	s_waitcnt vmcnt(0)
	v_mov_b32_e32 v0, 6
	v_cmp_lt_i16_sdwa s[0:1], v16, v0 src0_sel:BYTE_0 src1_sel:DWORD
	s_and_b64 vcc, exec, s[0:1]
	s_cbranch_vccnz .LBB70_124
; %bb.122:
	v_cmp_gt_i16_sdwa s[0:1], v16, v0 src0_sel:BYTE_0 src1_sel:DWORD
	s_and_b64 vcc, exec, s[0:1]
	s_cbranch_vccz .LBB70_125
; %bb.123:
	global_load_dwordx2 v[0:1], v[2:3], off
	s_mov_b64 s[0:1], 0
	s_branch .LBB70_126
.LBB70_124:
	s_mov_b64 s[0:1], -1
                                        ; implicit-def: $vgpr0_vgpr1
	s_branch .LBB70_129
.LBB70_125:
	s_mov_b64 s[0:1], -1
                                        ; implicit-def: $vgpr0_vgpr1
.LBB70_126:
	s_andn2_b64 vcc, exec, s[0:1]
	s_cbranch_vccnz .LBB70_128
; %bb.127:
	global_load_dword v0, v[2:3], off
	s_waitcnt vmcnt(0)
	v_cvt_f64_f32_e32 v[0:1], v0
.LBB70_128:
	s_mov_b64 s[0:1], 0
.LBB70_129:
	s_andn2_b64 vcc, exec, s[0:1]
	s_cbranch_vccnz .LBB70_131
; %bb.130:
	global_load_ushort v0, v[2:3], off
	s_waitcnt vmcnt(0)
	v_cvt_f32_f16_e32 v0, v0
	v_cvt_f64_f32_e32 v[0:1], v0
.LBB70_131:
	s_cbranch_execnz .LBB70_151
.LBB70_132:
	s_waitcnt vmcnt(0)
	v_mov_b32_e32 v0, 2
	v_cmp_lt_i16_sdwa s[0:1], v16, v0 src0_sel:BYTE_0 src1_sel:DWORD
	s_and_b64 vcc, exec, s[0:1]
	s_cbranch_vccnz .LBB70_136
; %bb.133:
	v_mov_b32_e32 v0, 3
	v_cmp_lt_i16_sdwa s[0:1], v16, v0 src0_sel:BYTE_0 src1_sel:DWORD
	s_and_b64 vcc, exec, s[0:1]
	s_cbranch_vccnz .LBB70_137
; %bb.134:
	v_cmp_gt_i16_sdwa s[0:1], v16, v0 src0_sel:BYTE_0 src1_sel:DWORD
	s_and_b64 vcc, exec, s[0:1]
	s_cbranch_vccz .LBB70_138
; %bb.135:
	global_load_dwordx2 v[0:1], v[2:3], off
	s_mov_b64 s[0:1], 0
	s_waitcnt vmcnt(0)
	v_cvt_f64_i32_e32 v[4:5], v1
	v_cvt_f64_u32_e32 v[0:1], v0
	v_ldexp_f64 v[4:5], v[4:5], 32
	v_add_f64 v[0:1], v[4:5], v[0:1]
	s_branch .LBB70_139
.LBB70_136:
	s_mov_b64 s[0:1], -1
                                        ; implicit-def: $vgpr0_vgpr1
	s_branch .LBB70_145
.LBB70_137:
	s_mov_b64 s[0:1], -1
                                        ; implicit-def: $vgpr0_vgpr1
	s_branch .LBB70_142
.LBB70_138:
	s_mov_b64 s[0:1], -1
                                        ; implicit-def: $vgpr0_vgpr1
.LBB70_139:
	s_andn2_b64 vcc, exec, s[0:1]
	s_cbranch_vccnz .LBB70_141
; %bb.140:
	global_load_dword v0, v[2:3], off
	s_waitcnt vmcnt(0)
	v_cvt_f64_i32_e32 v[0:1], v0
.LBB70_141:
	s_mov_b64 s[0:1], 0
.LBB70_142:
	s_andn2_b64 vcc, exec, s[0:1]
	s_cbranch_vccnz .LBB70_144
; %bb.143:
	global_load_sshort v0, v[2:3], off
	s_waitcnt vmcnt(0)
	v_cvt_f64_i32_e32 v[0:1], v0
.LBB70_144:
	s_mov_b64 s[0:1], 0
.LBB70_145:
	s_andn2_b64 vcc, exec, s[0:1]
	s_cbranch_vccnz .LBB70_151
; %bb.146:
	v_mov_b32_e32 v0, 0
	v_cmp_gt_i16_sdwa s[0:1], v16, v0 src0_sel:BYTE_0 src1_sel:DWORD
	s_and_b64 vcc, exec, s[0:1]
	s_cbranch_vccz .LBB70_148
; %bb.147:
	global_load_sbyte v0, v[2:3], off
	s_mov_b64 s[0:1], 0
	s_waitcnt vmcnt(0)
	v_cvt_f64_i32_e32 v[0:1], v0
	s_branch .LBB70_149
.LBB70_148:
	s_mov_b64 s[0:1], -1
                                        ; implicit-def: $vgpr0_vgpr1
.LBB70_149:
	s_andn2_b64 vcc, exec, s[0:1]
	s_cbranch_vccnz .LBB70_151
; %bb.150:
	global_load_ubyte v0, v[2:3], off
	s_waitcnt vmcnt(0)
	v_cvt_f64_u32_e32 v[0:1], v0
.LBB70_151:
	s_branch .LBB70_11
.LBB70_152:
	s_mov_b64 s[0:1], 0
	s_mov_b64 s[18:19], 0
	s_branch .LBB70_381
.LBB70_153:
	s_mov_b64 s[18:19], -1
.LBB70_154:
	s_mov_b64 s[0:1], 0
                                        ; implicit-def: $vgpr4_vgpr5
.LBB70_155:
	s_and_b64 vcc, exec, s[6:7]
	s_cbranch_vccz .LBB70_271
; %bb.156:
	v_mov_b32_e32 v4, 44
	v_cmp_eq_u16_sdwa s[6:7], v20, v4 src0_sel:BYTE_0 src1_sel:DWORD
	s_and_b64 vcc, exec, s[6:7]
	s_cbranch_vccz .LBB70_270
; %bb.157:
	global_load_ubyte v6, v[2:3], off
	s_movk_i32 s6, 0xff
	v_mov_b32_e32 v7, 0x7ff80000
	v_bfrev_b32_e32 v8, 28
	s_mov_b64 s[0:1], -1
	s_mov_b64 s[18:19], 0
	s_waitcnt vmcnt(0)
	v_lshlrev_b32_e32 v4, 23, v6
	v_cvt_f64_f32_e32 v[4:5], v4
	v_cmp_ne_u32_e32 vcc, s6, v6
	v_cndmask_b32_e32 v4, v7, v5, vcc
	v_cmp_ne_u32_e32 vcc, 0, v6
	v_cndmask_b32_e32 v5, v8, v4, vcc
	s_branch .LBB70_271
.LBB70_158:
	s_mov_b64 s[24:25], -1
	s_mov_b64 s[0:1], 0
	s_mov_b64 s[6:7], 0
.LBB70_159:
	s_and_b64 vcc, exec, s[24:25]
	s_cbranch_vccz .LBB70_164
; %bb.160:
	v_mov_b32_e32 v2, 44
	v_cmp_eq_u16_sdwa s[24:25], v18, v2 src0_sel:BYTE_0 src1_sel:DWORD
	s_mov_b64 s[0:1], -1
	s_and_b64 vcc, exec, s[24:25]
	s_cbranch_vccz .LBB70_164
; %bb.161:
	v_cvt_f32_f64_e32 v2, v[0:1]
	v_bfe_u32 v3, v2, 23, 8
	s_movk_i32 s0, 0xff
	v_cmp_ne_u32_e32 vcc, s0, v3
	v_mov_b32_e32 v6, 0xff
	s_and_saveexec_b64 s[6:7], vcc
; %bb.162:
	s_mov_b32 s0, 0x3fffff
	v_lshrrev_b32_e32 v6, 23, v2
	v_and_b32_e32 v7, 0x400000, v2
	v_and_or_b32 v2, v2, s0, v3
	v_cmp_ne_u32_e32 vcc, 0, v7
	v_cmp_ne_u32_e64 s[0:1], 0, v2
	s_and_b64 s[0:1], vcc, s[0:1]
	v_cndmask_b32_e64 v2, 0, 1, s[0:1]
	v_add_u32_e32 v6, v6, v2
; %bb.163:
	s_or_b64 exec, exec, s[6:7]
	s_mov_b64 s[6:7], -1
	s_mov_b64 s[0:1], 0
	global_store_byte v[4:5], v6, off
.LBB70_164:
	s_mov_b64 s[24:25], 0
.LBB70_165:
	s_and_b64 vcc, exec, s[24:25]
	s_cbranch_vccz .LBB70_168
; %bb.166:
	v_mov_b32_e32 v2, 29
	v_cmp_eq_u16_sdwa s[24:25], v18, v2 src0_sel:BYTE_0 src1_sel:DWORD
	s_mov_b64 s[0:1], -1
	s_and_b64 vcc, exec, s[24:25]
	s_cbranch_vccz .LBB70_168
; %bb.167:
	v_trunc_f64_e32 v[2:3], v[0:1]
	s_movk_i32 s0, 0xffe0
	v_ldexp_f64 v[6:7], v[2:3], s0
	v_floor_f64_e32 v[6:7], v[6:7]
	v_fmac_f64_e32 v[2:3], 0xc1f00000, v[6:7]
	v_cvt_u32_f64_e32 v9, v[6:7]
	v_cvt_u32_f64_e32 v8, v[2:3]
	global_store_dwordx2 v[4:5], v[8:9], off
	s_mov_b64 s[6:7], -1
	s_mov_b64 s[0:1], 0
.LBB70_168:
	s_mov_b64 s[24:25], 0
.LBB70_169:
	s_and_b64 vcc, exec, s[24:25]
	s_cbranch_vccz .LBB70_185
; %bb.170:
	v_mov_b32_e32 v2, 27
	v_cmp_lt_i16_sdwa s[24:25], v18, v2 src0_sel:BYTE_0 src1_sel:DWORD
	s_mov_b64 s[6:7], -1
	s_and_b64 vcc, exec, s[24:25]
	s_cbranch_vccnz .LBB70_176
; %bb.171:
	v_cmp_gt_i16_sdwa s[24:25], v18, v2 src0_sel:BYTE_0 src1_sel:DWORD
	s_and_b64 vcc, exec, s[24:25]
	v_cvt_u32_f64_e32 v2, v[0:1]
	s_cbranch_vccz .LBB70_173
; %bb.172:
	s_mov_b64 s[6:7], 0
	global_store_dword v[4:5], v2, off
.LBB70_173:
	s_andn2_b64 vcc, exec, s[6:7]
	s_cbranch_vccnz .LBB70_175
; %bb.174:
	global_store_short v[4:5], v2, off
.LBB70_175:
	s_mov_b64 s[6:7], 0
.LBB70_176:
	s_andn2_b64 vcc, exec, s[6:7]
	s_cbranch_vccnz .LBB70_184
; %bb.177:
	v_cvt_f32_f64_e32 v2, v[0:1]
	v_and_b32_e32 v3, 0x7fffffff, v2
	s_mov_b32 s6, 0x43800000
	v_cmp_gt_u32_e32 vcc, s6, v3
	v_mov_b32_e32 v6, 0x80
	s_and_saveexec_b64 s[6:7], vcc
	s_cbranch_execz .LBB70_183
; %bb.178:
	s_mov_b32 s15, 0x3bffffff
	v_cmp_lt_u32_e32 vcc, s15, v3
	s_mov_b64 s[24:25], 0
                                        ; implicit-def: $vgpr3
	s_and_saveexec_b64 s[28:29], vcc
	s_xor_b64 s[28:29], exec, s[28:29]
	s_cbranch_execz .LBB70_412
; %bb.179:
	v_bfe_u32 v3, v2, 20, 1
	s_mov_b32 s15, 0x487ffff
	v_add3_u32 v3, v2, v3, s15
	s_mov_b64 s[24:25], exec
	v_lshrrev_b32_e32 v3, 20, v3
	s_or_saveexec_b64 s[28:29], s[28:29]
                                        ; implicit-def: $sgpr15
	s_xor_b64 exec, exec, s[28:29]
	s_cbranch_execnz .LBB70_413
.LBB70_180:
	s_or_b64 exec, exec, s[28:29]
	v_mov_b32_e32 v6, s15
	s_and_saveexec_b64 s[28:29], s[24:25]
.LBB70_181:
	v_lshrrev_b32_e32 v2, 24, v2
	s_movk_i32 s15, 0x80
	v_and_or_b32 v6, v2, s15, v3
.LBB70_182:
	s_or_b64 exec, exec, s[28:29]
.LBB70_183:
	s_or_b64 exec, exec, s[6:7]
	global_store_byte v[4:5], v6, off
.LBB70_184:
	s_mov_b64 s[6:7], -1
.LBB70_185:
	s_mov_b64 s[24:25], 0
.LBB70_186:
	s_and_b64 vcc, exec, s[24:25]
	s_cbranch_vccz .LBB70_227
; %bb.187:
	v_mov_b32_e32 v2, 22
	v_cmp_gt_i16_sdwa s[28:29], v18, v2 src0_sel:BYTE_0 src1_sel:DWORD
	s_mov_b64 s[24:25], -1
	s_and_b64 vcc, exec, s[28:29]
	s_cbranch_vccz .LBB70_219
; %bb.188:
	v_mov_b32_e32 v2, 24
	v_cmp_lt_i16_sdwa s[24:25], v18, v2 src0_sel:BYTE_0 src1_sel:DWORD
	s_mov_b64 s[6:7], -1
	s_and_b64 vcc, exec, s[24:25]
	s_cbranch_vccnz .LBB70_208
; %bb.189:
	v_cmp_gt_i16_sdwa s[24:25], v18, v2 src0_sel:BYTE_0 src1_sel:DWORD
	s_and_b64 vcc, exec, s[24:25]
	s_cbranch_vccz .LBB70_197
; %bb.190:
	v_cvt_f32_f64_e32 v2, v[0:1]
	v_and_b32_e32 v3, 0x7fffffff, v2
	s_mov_b32 s6, 0x47800000
	v_cmp_gt_u32_e32 vcc, s6, v3
	v_mov_b32_e32 v6, 0x80
	s_and_saveexec_b64 s[6:7], vcc
	s_cbranch_execz .LBB70_196
; %bb.191:
	s_mov_b32 s15, 0x37ffffff
	v_cmp_lt_u32_e32 vcc, s15, v3
	s_mov_b64 s[24:25], 0
                                        ; implicit-def: $vgpr3
	s_and_saveexec_b64 s[28:29], vcc
	s_xor_b64 s[28:29], exec, s[28:29]
	s_cbranch_execz .LBB70_531
; %bb.192:
	v_bfe_u32 v3, v2, 21, 1
	s_mov_b32 s15, 0x88fffff
	v_add3_u32 v3, v2, v3, s15
	s_mov_b64 s[24:25], exec
	v_lshrrev_b32_e32 v3, 21, v3
	s_or_saveexec_b64 s[28:29], s[28:29]
                                        ; implicit-def: $sgpr15
	s_xor_b64 exec, exec, s[28:29]
	s_cbranch_execnz .LBB70_532
.LBB70_193:
	s_or_b64 exec, exec, s[28:29]
	v_mov_b32_e32 v6, s15
	s_and_saveexec_b64 s[28:29], s[24:25]
.LBB70_194:
	v_lshrrev_b32_e32 v2, 24, v2
	s_movk_i32 s15, 0x80
	v_and_or_b32 v6, v2, s15, v3
.LBB70_195:
	s_or_b64 exec, exec, s[28:29]
.LBB70_196:
	s_or_b64 exec, exec, s[6:7]
	s_mov_b64 s[6:7], 0
	global_store_byte v[4:5], v6, off
.LBB70_197:
	s_and_b64 vcc, exec, s[6:7]
	s_cbranch_vccz .LBB70_207
; %bb.198:
	v_cvt_f32_f64_e32 v2, v[0:1]
	v_and_b32_e32 v6, 0x7fffffff, v2
	s_mov_b32 s6, 0x43f00000
	v_cmp_gt_u32_e32 vcc, s6, v6
                                        ; implicit-def: $vgpr3
	s_and_saveexec_b64 s[6:7], vcc
	s_xor_b64 s[6:7], exec, s[6:7]
	s_cbranch_execz .LBB70_204
; %bb.199:
	s_mov_b32 s15, 0x3c7fffff
	v_cmp_lt_u32_e32 vcc, s15, v6
                                        ; implicit-def: $vgpr3
	s_and_saveexec_b64 s[24:25], vcc
	s_xor_b64 s[24:25], exec, s[24:25]
; %bb.200:
	v_bfe_u32 v3, v2, 20, 1
	s_mov_b32 s15, 0x407ffff
	v_add3_u32 v3, v2, v3, s15
	v_lshrrev_b32_e32 v6, 20, v3
	v_and_b32_e32 v3, 0xff00000, v3
	s_mov_b32 s15, 0x7f00000
	v_mov_b32_e32 v7, 0x7e
	v_cmp_ne_u32_e32 vcc, s15, v3
	v_cndmask_b32_e32 v3, v7, v6, vcc
; %bb.201:
	s_andn2_saveexec_b64 s[24:25], s[24:25]
; %bb.202:
	s_mov_b32 s15, 0x46800000
	v_add_f32_e64 v3, |v2|, s15
; %bb.203:
	s_or_b64 exec, exec, s[24:25]
                                        ; implicit-def: $vgpr6
.LBB70_204:
	s_andn2_saveexec_b64 s[6:7], s[6:7]
; %bb.205:
	s_mov_b32 s15, 0x7f800000
	v_mov_b32_e32 v3, 0x7e
	v_mov_b32_e32 v7, 0x7f
	v_cmp_lt_u32_e32 vcc, s15, v6
	v_cndmask_b32_e32 v3, v3, v7, vcc
; %bb.206:
	s_or_b64 exec, exec, s[6:7]
	v_lshrrev_b32_e32 v2, 24, v2
	s_movk_i32 s6, 0x80
	v_and_or_b32 v2, v2, s6, v3
	global_store_byte v[4:5], v2, off
.LBB70_207:
	s_mov_b64 s[6:7], 0
.LBB70_208:
	s_andn2_b64 vcc, exec, s[6:7]
	s_cbranch_vccnz .LBB70_218
; %bb.209:
	v_cvt_f32_f64_e32 v2, v[0:1]
	v_and_b32_e32 v6, 0x7fffffff, v2
	s_mov_b32 s6, 0x47800000
	v_cmp_gt_u32_e32 vcc, s6, v6
                                        ; implicit-def: $vgpr3
	s_and_saveexec_b64 s[6:7], vcc
	s_xor_b64 s[6:7], exec, s[6:7]
	s_cbranch_execz .LBB70_215
; %bb.210:
	s_mov_b32 s15, 0x387fffff
	v_cmp_lt_u32_e32 vcc, s15, v6
                                        ; implicit-def: $vgpr3
	s_and_saveexec_b64 s[24:25], vcc
	s_xor_b64 s[24:25], exec, s[24:25]
; %bb.211:
	v_bfe_u32 v3, v2, 21, 1
	s_mov_b32 s15, 0x80fffff
	v_add3_u32 v3, v2, v3, s15
	v_lshrrev_b32_e32 v3, 21, v3
; %bb.212:
	s_andn2_saveexec_b64 s[24:25], s[24:25]
; %bb.213:
	s_mov_b32 s15, 0x43000000
	v_add_f32_e64 v3, |v2|, s15
; %bb.214:
	s_or_b64 exec, exec, s[24:25]
                                        ; implicit-def: $vgpr6
.LBB70_215:
	s_andn2_saveexec_b64 s[6:7], s[6:7]
; %bb.216:
	s_mov_b32 s15, 0x7f800000
	v_mov_b32_e32 v3, 0x7c
	v_mov_b32_e32 v7, 0x7f
	v_cmp_lt_u32_e32 vcc, s15, v6
	v_cndmask_b32_e32 v3, v3, v7, vcc
; %bb.217:
	s_or_b64 exec, exec, s[6:7]
	v_lshrrev_b32_e32 v2, 24, v2
	s_movk_i32 s6, 0x80
	v_and_or_b32 v2, v2, s6, v3
	global_store_byte v[4:5], v2, off
.LBB70_218:
	s_mov_b64 s[24:25], 0
	s_mov_b64 s[6:7], -1
.LBB70_219:
	s_andn2_b64 vcc, exec, s[24:25]
	s_cbranch_vccnz .LBB70_227
; %bb.220:
	v_mov_b32_e32 v2, 14
	v_cmp_gt_i16_sdwa s[28:29], v18, v2 src0_sel:BYTE_0 src1_sel:DWORD
	s_mov_b64 s[24:25], -1
	s_and_b64 vcc, exec, s[28:29]
	s_cbranch_vccz .LBB70_224
; %bb.221:
	v_mov_b32_e32 v2, 15
	v_cmp_eq_u16_sdwa s[24:25], v18, v2 src0_sel:BYTE_0 src1_sel:DWORD
	s_mov_b64 s[0:1], -1
	s_and_b64 vcc, exec, s[24:25]
	s_cbranch_vccz .LBB70_223
; %bb.222:
	v_cvt_f32_f64_e32 v2, v[0:1]
	v_bfe_u32 v3, v2, 16, 1
	s_movk_i32 s0, 0x7fff
	v_add3_u32 v3, v2, v3, s0
	v_lshrrev_b32_e32 v3, 16, v3
	v_mov_b32_e32 v6, 0x7fc0
	v_cmp_o_f32_e32 vcc, v2, v2
	v_cndmask_b32_e32 v2, v6, v3, vcc
	global_store_short v[4:5], v2, off
	s_mov_b64 s[6:7], -1
	s_mov_b64 s[0:1], 0
.LBB70_223:
	s_mov_b64 s[24:25], 0
.LBB70_224:
	s_and_b64 vcc, exec, s[24:25]
	s_cbranch_vccz .LBB70_227
; %bb.225:
	v_mov_b32_e32 v2, 11
	v_cmp_eq_u16_sdwa s[24:25], v18, v2 src0_sel:BYTE_0 src1_sel:DWORD
	s_mov_b64 s[0:1], -1
	s_and_b64 vcc, exec, s[24:25]
	s_cbranch_vccz .LBB70_227
; %bb.226:
	v_cmp_neq_f64_e32 vcc, 0, v[0:1]
	s_mov_b64 s[0:1], 0
	v_cndmask_b32_e64 v2, 0, 1, vcc
	s_mov_b64 s[6:7], -1
	global_store_byte v[4:5], v2, off
.LBB70_227:
	s_mov_b64 s[24:25], 0
.LBB70_228:
	s_and_b64 vcc, exec, s[24:25]
	s_cbranch_vccz .LBB70_267
; %bb.229:
	v_mov_b32_e32 v2, 5
	v_cmp_lt_i16_sdwa s[24:25], v18, v2 src0_sel:BYTE_0 src1_sel:DWORD
	s_mov_b64 s[6:7], -1
	s_and_b64 vcc, exec, s[24:25]
	s_cbranch_vccnz .LBB70_250
; %bb.230:
	v_mov_b32_e32 v2, 8
	v_cmp_lt_i16_sdwa s[24:25], v18, v2 src0_sel:BYTE_0 src1_sel:DWORD
	s_and_b64 vcc, exec, s[24:25]
	s_cbranch_vccnz .LBB70_240
; %bb.231:
	v_mov_b32_e32 v2, 9
	v_cmp_lt_i16_sdwa s[24:25], v18, v2 src0_sel:BYTE_0 src1_sel:DWORD
	s_and_b64 vcc, exec, s[24:25]
	s_cbranch_vccnz .LBB70_237
; %bb.232:
	v_cmp_gt_i16_sdwa s[24:25], v18, v2 src0_sel:BYTE_0 src1_sel:DWORD
	s_and_b64 vcc, exec, s[24:25]
	s_cbranch_vccz .LBB70_234
; %bb.233:
	v_mov_b32_e32 v2, 0
	v_mov_b32_e32 v3, v2
	global_store_dwordx4 v[4:5], v[0:3], off
	s_mov_b64 s[6:7], 0
.LBB70_234:
	s_andn2_b64 vcc, exec, s[6:7]
	s_cbranch_vccnz .LBB70_236
; %bb.235:
	v_cvt_f32_f64_e32 v2, v[0:1]
	v_mov_b32_e32 v3, 0
	global_store_dwordx2 v[4:5], v[2:3], off
.LBB70_236:
	s_mov_b64 s[6:7], 0
.LBB70_237:
	s_andn2_b64 vcc, exec, s[6:7]
	s_cbranch_vccnz .LBB70_239
; %bb.238:
	v_cvt_f32_f64_e32 v2, v[0:1]
	v_cvt_f16_f32_e32 v2, v2
	global_store_dword v[4:5], v2, off
.LBB70_239:
	s_mov_b64 s[6:7], 0
.LBB70_240:
	s_andn2_b64 vcc, exec, s[6:7]
	s_cbranch_vccnz .LBB70_249
; %bb.241:
	v_mov_b32_e32 v2, 6
	v_cmp_lt_i16_sdwa s[24:25], v18, v2 src0_sel:BYTE_0 src1_sel:DWORD
	s_mov_b64 s[6:7], -1
	s_and_b64 vcc, exec, s[24:25]
	s_cbranch_vccnz .LBB70_247
; %bb.242:
	v_cmp_gt_i16_sdwa s[24:25], v18, v2 src0_sel:BYTE_0 src1_sel:DWORD
	s_and_b64 vcc, exec, s[24:25]
	s_cbranch_vccz .LBB70_244
; %bb.243:
	global_store_dwordx2 v[4:5], v[0:1], off
	s_mov_b64 s[6:7], 0
.LBB70_244:
	s_andn2_b64 vcc, exec, s[6:7]
	s_cbranch_vccnz .LBB70_246
; %bb.245:
	v_cvt_f32_f64_e32 v2, v[0:1]
	global_store_dword v[4:5], v2, off
.LBB70_246:
	s_mov_b64 s[6:7], 0
.LBB70_247:
	s_andn2_b64 vcc, exec, s[6:7]
	s_cbranch_vccnz .LBB70_249
; %bb.248:
	v_cvt_f32_f64_e32 v2, v[0:1]
	v_cvt_f16_f32_e32 v2, v2
	global_store_short v[4:5], v2, off
.LBB70_249:
	s_mov_b64 s[6:7], 0
.LBB70_250:
	s_andn2_b64 vcc, exec, s[6:7]
	s_cbranch_vccnz .LBB70_266
; %bb.251:
	v_mov_b32_e32 v2, 2
	v_cmp_lt_i16_sdwa s[24:25], v18, v2 src0_sel:BYTE_0 src1_sel:DWORD
	s_mov_b64 s[6:7], -1
	s_and_b64 vcc, exec, s[24:25]
	s_cbranch_vccnz .LBB70_261
; %bb.252:
	v_mov_b32_e32 v2, 3
	v_cmp_lt_i16_sdwa s[24:25], v18, v2 src0_sel:BYTE_0 src1_sel:DWORD
	s_and_b64 vcc, exec, s[24:25]
	s_cbranch_vccnz .LBB70_258
; %bb.253:
	v_cmp_gt_i16_sdwa s[24:25], v18, v2 src0_sel:BYTE_0 src1_sel:DWORD
	s_and_b64 vcc, exec, s[24:25]
	s_cbranch_vccz .LBB70_255
; %bb.254:
	v_trunc_f64_e32 v[2:3], v[0:1]
	s_movk_i32 s6, 0xffe0
	v_ldexp_f64 v[6:7], v[2:3], s6
	v_floor_f64_e32 v[6:7], v[6:7]
	v_fmac_f64_e32 v[2:3], 0xc1f00000, v[6:7]
	v_cvt_i32_f64_e32 v9, v[6:7]
	v_cvt_u32_f64_e32 v8, v[2:3]
	global_store_dwordx2 v[4:5], v[8:9], off
	s_mov_b64 s[6:7], 0
.LBB70_255:
	s_andn2_b64 vcc, exec, s[6:7]
	s_cbranch_vccnz .LBB70_257
; %bb.256:
	v_cvt_i32_f64_e32 v2, v[0:1]
	global_store_dword v[4:5], v2, off
.LBB70_257:
	s_mov_b64 s[6:7], 0
.LBB70_258:
	s_andn2_b64 vcc, exec, s[6:7]
	s_cbranch_vccnz .LBB70_260
; %bb.259:
	v_cvt_i32_f64_e32 v2, v[0:1]
	global_store_short v[4:5], v2, off
.LBB70_260:
	s_mov_b64 s[6:7], 0
.LBB70_261:
	s_andn2_b64 vcc, exec, s[6:7]
	s_cbranch_vccnz .LBB70_266
; %bb.262:
	v_mov_b32_e32 v2, 0
	v_cmp_gt_i16_sdwa s[24:25], v18, v2 src0_sel:BYTE_0 src1_sel:DWORD
	s_mov_b64 s[6:7], -1
	s_and_b64 vcc, exec, s[24:25]
	s_cbranch_vccz .LBB70_264
; %bb.263:
	v_cvt_i32_f64_e32 v2, v[0:1]
	global_store_byte v[4:5], v2, off
	s_mov_b64 s[6:7], 0
.LBB70_264:
	s_andn2_b64 vcc, exec, s[6:7]
	s_cbranch_vccnz .LBB70_266
; %bb.265:
	v_trunc_f64_e32 v[0:1], v[0:1]
	s_movk_i32 s6, 0xffe0
	v_ldexp_f64 v[2:3], v[0:1], s6
	v_floor_f64_e32 v[2:3], v[2:3]
	v_fmac_f64_e32 v[0:1], 0xc1f00000, v[2:3]
	v_cvt_u32_f64_e32 v0, v[0:1]
	global_store_byte v[4:5], v0, off
.LBB70_266:
	s_mov_b64 s[6:7], -1
.LBB70_267:
	s_andn2_b64 vcc, exec, s[6:7]
	s_cbranch_vccnz .LBB70_269
; %bb.268:
	v_add_u32_e32 v19, 0x80, v19
	s_mov_b64 s[24:25], -1
	s_branch .LBB70_382
.LBB70_269:
	s_mov_b64 s[24:25], 0
                                        ; implicit-def: $vgpr19
	s_branch .LBB70_382
.LBB70_270:
	s_mov_b64 s[18:19], -1
                                        ; implicit-def: $vgpr4_vgpr5
.LBB70_271:
	s_mov_b64 s[6:7], 0
.LBB70_272:
	s_and_b64 vcc, exec, s[6:7]
	s_cbranch_vccz .LBB70_276
; %bb.273:
	v_mov_b32_e32 v4, 29
	v_cmp_eq_u16_sdwa s[6:7], v20, v4 src0_sel:BYTE_0 src1_sel:DWORD
	s_and_b64 vcc, exec, s[6:7]
	s_cbranch_vccz .LBB70_275
; %bb.274:
	global_load_dwordx2 v[4:5], v[2:3], off
	s_mov_b64 s[0:1], -1
	s_mov_b64 s[18:19], 0
	s_mov_b64 s[6:7], 0
	s_waitcnt vmcnt(0)
	v_cvt_f64_u32_e32 v[6:7], v5
	v_cvt_f64_u32_e32 v[4:5], v4
	v_ldexp_f64 v[6:7], v[6:7], 32
	v_add_f64 v[4:5], v[6:7], v[4:5]
	s_branch .LBB70_277
.LBB70_275:
	s_mov_b64 s[18:19], -1
                                        ; implicit-def: $vgpr4_vgpr5
.LBB70_276:
	s_mov_b64 s[6:7], 0
.LBB70_277:
	s_and_b64 vcc, exec, s[6:7]
	s_cbranch_vccz .LBB70_295
; %bb.278:
	v_mov_b32_e32 v4, 27
	v_cmp_lt_i16_sdwa s[0:1], v20, v4 src0_sel:BYTE_0 src1_sel:DWORD
	s_and_b64 vcc, exec, s[0:1]
	s_cbranch_vccnz .LBB70_281
; %bb.279:
	v_cmp_gt_i16_sdwa s[0:1], v20, v4 src0_sel:BYTE_0 src1_sel:DWORD
	s_and_b64 vcc, exec, s[0:1]
	s_cbranch_vccz .LBB70_282
; %bb.280:
	global_load_dword v4, v[2:3], off
	s_mov_b64 s[0:1], 0
	s_waitcnt vmcnt(0)
	v_cvt_f64_u32_e32 v[4:5], v4
	s_branch .LBB70_283
.LBB70_281:
	s_mov_b64 s[0:1], -1
                                        ; implicit-def: $vgpr4_vgpr5
	s_branch .LBB70_286
.LBB70_282:
	s_mov_b64 s[0:1], -1
                                        ; implicit-def: $vgpr4_vgpr5
.LBB70_283:
	s_andn2_b64 vcc, exec, s[0:1]
	s_cbranch_vccnz .LBB70_285
; %bb.284:
	global_load_ushort v4, v[2:3], off
	s_waitcnt vmcnt(0)
	v_cvt_f64_u32_e32 v[4:5], v4
.LBB70_285:
	s_mov_b64 s[0:1], 0
.LBB70_286:
	s_andn2_b64 vcc, exec, s[0:1]
	s_cbranch_vccnz .LBB70_294
; %bb.287:
	global_load_ubyte v6, v[2:3], off
	s_movk_i32 s0, 0x7f
                                        ; implicit-def: $sgpr6_sgpr7
	s_waitcnt vmcnt(0)
	v_cmp_lt_i16_e32 vcc, s0, v6
	s_mov_b64 s[0:1], 0
	s_and_saveexec_b64 s[24:25], vcc
	s_xor_b64 s[24:25], exec, s[24:25]
	s_cbranch_execz .LBB70_308
; %bb.288:
	s_movk_i32 s0, 0x80
	v_cmp_eq_u16_e32 vcc, s0, v6
	s_mov_b64 s[28:29], -1
                                        ; implicit-def: $sgpr6_sgpr7
	s_and_saveexec_b64 s[0:1], vcc
; %bb.289:
	s_mov_b32 s7, 0x7ff80000
	s_brev_b32 s6, 4
	s_xor_b64 s[28:29], exec, -1
; %bb.290:
	s_or_b64 exec, exec, s[0:1]
	s_and_b64 s[0:1], s[28:29], exec
	s_or_saveexec_b64 s[24:25], s[24:25]
	v_pk_mov_b32 v[4:5], s[6:7], s[6:7] op_sel:[0,1]
	s_xor_b64 exec, exec, s[24:25]
	s_cbranch_execnz .LBB70_309
.LBB70_291:
	s_or_b64 exec, exec, s[24:25]
	s_and_saveexec_b64 s[6:7], s[0:1]
	s_cbranch_execz .LBB70_293
.LBB70_292:
	v_and_b32_e32 v5, 0xffff, v6
	v_lshlrev_b32_e32 v4, 24, v6
	v_and_b32_e32 v6, 7, v5
	v_ffbh_u32_e32 v8, v6
	v_min_u32_e32 v8, 32, v8
	v_subrev_u32_e32 v9, 28, v8
	v_bfe_u32 v7, v5, 3, 4
	v_lshlrev_b32_e32 v5, v9, v5
	v_sub_u32_e32 v8, 29, v8
	v_and_b32_e32 v5, 7, v5
	v_cmp_eq_u32_e32 vcc, 0, v7
	v_cndmask_b32_e32 v7, v7, v8, vcc
	v_cndmask_b32_e32 v5, v6, v5, vcc
	v_mov_b32_e32 v6, 0x3b800000
	v_lshlrev_b32_e32 v5, 20, v5
	v_and_b32_e32 v4, 0x80000000, v4
	v_lshl_add_u32 v6, v7, 23, v6
	v_or3_b32 v4, v4, v6, v5
	v_cvt_f64_f32_e32 v[4:5], v4
.LBB70_293:
	s_or_b64 exec, exec, s[6:7]
.LBB70_294:
	s_mov_b64 s[0:1], -1
.LBB70_295:
	s_mov_b64 s[6:7], 0
.LBB70_296:
	s_and_b64 vcc, exec, s[6:7]
	s_cbranch_vccz .LBB70_331
; %bb.297:
	v_mov_b32_e32 v4, 22
	v_cmp_gt_i16_sdwa s[6:7], v20, v4 src0_sel:BYTE_0 src1_sel:DWORD
	s_and_b64 vcc, exec, s[6:7]
	s_cbranch_vccz .LBB70_307
; %bb.298:
	v_mov_b32_e32 v4, 24
	v_cmp_lt_i16_sdwa s[0:1], v20, v4 src0_sel:BYTE_0 src1_sel:DWORD
	s_and_b64 vcc, exec, s[0:1]
	s_cbranch_vccnz .LBB70_310
; %bb.299:
	v_cmp_gt_i16_sdwa s[0:1], v20, v4 src0_sel:BYTE_0 src1_sel:DWORD
	s_and_b64 vcc, exec, s[0:1]
	s_cbranch_vccz .LBB70_311
; %bb.300:
	global_load_ubyte v6, v[2:3], off
	s_movk_i32 s0, 0x7f
                                        ; implicit-def: $sgpr6_sgpr7
	s_waitcnt vmcnt(0)
	v_cmp_lt_i16_e32 vcc, s0, v6
	s_mov_b64 s[0:1], 0
	s_and_saveexec_b64 s[24:25], vcc
	s_xor_b64 s[24:25], exec, s[24:25]
	s_cbranch_execz .LBB70_323
; %bb.301:
	s_movk_i32 s0, 0x80
	v_cmp_eq_u16_e32 vcc, s0, v6
	s_mov_b64 s[28:29], -1
                                        ; implicit-def: $sgpr6_sgpr7
	s_and_saveexec_b64 s[0:1], vcc
; %bb.302:
	s_mov_b32 s7, 0x7ff80000
	s_brev_b32 s6, 4
	s_xor_b64 s[28:29], exec, -1
; %bb.303:
	s_or_b64 exec, exec, s[0:1]
	s_and_b64 s[0:1], s[28:29], exec
	s_or_saveexec_b64 s[24:25], s[24:25]
	v_pk_mov_b32 v[4:5], s[6:7], s[6:7] op_sel:[0,1]
	s_xor_b64 exec, exec, s[24:25]
	s_cbranch_execnz .LBB70_324
.LBB70_304:
	s_or_b64 exec, exec, s[24:25]
	s_and_saveexec_b64 s[6:7], s[0:1]
	s_cbranch_execz .LBB70_306
.LBB70_305:
	v_and_b32_e32 v5, 0xffff, v6
	v_lshlrev_b32_e32 v4, 24, v6
	v_and_b32_e32 v6, 3, v5
	v_ffbh_u32_e32 v8, v6
	v_min_u32_e32 v8, 32, v8
	v_subrev_u32_e32 v9, 29, v8
	v_bfe_u32 v7, v5, 2, 5
	v_lshlrev_b32_e32 v5, v9, v5
	v_sub_u32_e32 v8, 30, v8
	v_and_b32_e32 v5, 3, v5
	v_cmp_eq_u32_e32 vcc, 0, v7
	v_cndmask_b32_e32 v7, v7, v8, vcc
	v_cndmask_b32_e32 v5, v6, v5, vcc
	v_mov_b32_e32 v6, 0x37800000
	v_lshlrev_b32_e32 v5, 21, v5
	v_and_b32_e32 v4, 0x80000000, v4
	v_lshl_add_u32 v6, v7, 23, v6
	v_or3_b32 v4, v4, v6, v5
	v_cvt_f64_f32_e32 v[4:5], v4
.LBB70_306:
	s_or_b64 exec, exec, s[6:7]
	s_mov_b64 s[0:1], 0
	s_branch .LBB70_312
.LBB70_307:
	s_mov_b64 s[6:7], -1
                                        ; implicit-def: $vgpr4_vgpr5
	s_branch .LBB70_318
.LBB70_308:
	s_or_saveexec_b64 s[24:25], s[24:25]
	v_pk_mov_b32 v[4:5], s[6:7], s[6:7] op_sel:[0,1]
	s_xor_b64 exec, exec, s[24:25]
	s_cbranch_execz .LBB70_291
.LBB70_309:
	v_cmp_ne_u16_e32 vcc, 0, v6
	s_andn2_b64 s[0:1], s[0:1], exec
	s_and_b64 s[6:7], vcc, exec
	v_pk_mov_b32 v[4:5], 0, 0
	s_or_b64 s[0:1], s[0:1], s[6:7]
	s_or_b64 exec, exec, s[24:25]
	s_and_saveexec_b64 s[6:7], s[0:1]
	s_cbranch_execnz .LBB70_292
	s_branch .LBB70_293
.LBB70_310:
	s_mov_b64 s[0:1], -1
                                        ; implicit-def: $vgpr4_vgpr5
	s_branch .LBB70_315
.LBB70_311:
	s_mov_b64 s[0:1], -1
                                        ; implicit-def: $vgpr4_vgpr5
.LBB70_312:
	s_and_b64 vcc, exec, s[0:1]
	s_cbranch_vccz .LBB70_314
; %bb.313:
	global_load_ubyte v4, v[2:3], off
	s_mov_b32 s0, 0x7f800000
	s_waitcnt vmcnt(0)
	v_lshlrev_b32_e32 v4, 24, v4
	v_and_b32_e32 v5, 0x7f000000, v4
	v_ffbh_u32_e32 v6, v5
	v_min_u32_e32 v6, 32, v6
	v_sub_u32_e64 v6, v6, 4 clamp
	v_lshlrev_b32_e32 v8, v6, v5
	v_lshlrev_b32_e32 v6, 23, v6
	v_lshrrev_b32_e32 v8, 4, v8
	v_add_u32_e32 v7, 0x1000000, v5
	v_sub_u32_e32 v6, v8, v6
	v_ashrrev_i32_e32 v7, 8, v7
	v_add_u32_e32 v6, 0x3c000000, v6
	v_and_or_b32 v6, v7, s0, v6
	v_cmp_ne_u32_e32 vcc, 0, v5
	v_cndmask_b32_e32 v5, 0, v6, vcc
	s_brev_b32 s0, 1
	v_and_or_b32 v4, v4, s0, v5
	v_cvt_f64_f32_e32 v[4:5], v4
.LBB70_314:
	s_mov_b64 s[0:1], 0
.LBB70_315:
	s_andn2_b64 vcc, exec, s[0:1]
	s_cbranch_vccnz .LBB70_317
; %bb.316:
	global_load_ubyte v4, v[2:3], off
	s_movk_i32 s0, 0x7f00
	s_brev_b32 s1, 16
	s_waitcnt vmcnt(0)
	v_lshlrev_b16_e32 v5, 8, v4
	v_lshlrev_b32_e32 v4, 25, v4
	v_lshrrev_b32_e32 v6, 4, v4
	v_and_or_b32 v7, v5, s0, 0.5
	v_or_b32_e32 v6, 0x70000000, v6
	v_add_f32_e32 v7, -0.5, v7
	v_mul_f32_e32 v6, 0x7800000, v6
	v_cmp_gt_u32_e32 vcc, s1, v4
	v_bfe_i32 v5, v5, 0, 16
	v_cndmask_b32_e32 v4, v6, v7, vcc
	s_brev_b32 s0, 1
	v_and_or_b32 v4, v5, s0, v4
	v_cvt_f64_f32_e32 v[4:5], v4
.LBB70_317:
	s_mov_b64 s[6:7], 0
	s_mov_b64 s[0:1], -1
.LBB70_318:
	s_andn2_b64 vcc, exec, s[6:7]
	s_cbranch_vccnz .LBB70_331
; %bb.319:
	v_mov_b32_e32 v4, 14
	v_cmp_gt_i16_sdwa s[6:7], v20, v4 src0_sel:BYTE_0 src1_sel:DWORD
	s_and_b64 vcc, exec, s[6:7]
	s_cbranch_vccz .LBB70_322
; %bb.320:
	v_mov_b32_e32 v4, 15
	v_cmp_eq_u16_sdwa s[6:7], v20, v4 src0_sel:BYTE_0 src1_sel:DWORD
	s_and_b64 vcc, exec, s[6:7]
	s_cbranch_vccz .LBB70_325
; %bb.321:
	global_load_ushort v4, v[2:3], off
	s_mov_b64 s[0:1], -1
	s_mov_b64 s[18:19], 0
	s_waitcnt vmcnt(0)
	v_lshlrev_b32_e32 v4, 16, v4
	v_cvt_f64_f32_e32 v[4:5], v4
	s_branch .LBB70_326
.LBB70_322:
	s_mov_b64 s[6:7], -1
                                        ; implicit-def: $vgpr4_vgpr5
	s_branch .LBB70_327
.LBB70_323:
	s_or_saveexec_b64 s[24:25], s[24:25]
	v_pk_mov_b32 v[4:5], s[6:7], s[6:7] op_sel:[0,1]
	s_xor_b64 exec, exec, s[24:25]
	s_cbranch_execz .LBB70_304
.LBB70_324:
	v_cmp_ne_u16_e32 vcc, 0, v6
	s_andn2_b64 s[0:1], s[0:1], exec
	s_and_b64 s[6:7], vcc, exec
	v_pk_mov_b32 v[4:5], 0, 0
	s_or_b64 s[0:1], s[0:1], s[6:7]
	s_or_b64 exec, exec, s[24:25]
	s_and_saveexec_b64 s[6:7], s[0:1]
	s_cbranch_execnz .LBB70_305
	s_branch .LBB70_306
.LBB70_325:
	s_mov_b64 s[18:19], -1
                                        ; implicit-def: $vgpr4_vgpr5
.LBB70_326:
	s_mov_b64 s[6:7], 0
.LBB70_327:
	s_and_b64 vcc, exec, s[6:7]
	s_cbranch_vccz .LBB70_331
; %bb.328:
	v_mov_b32_e32 v4, 11
	v_cmp_eq_u16_sdwa s[6:7], v20, v4 src0_sel:BYTE_0 src1_sel:DWORD
	s_and_b64 vcc, exec, s[6:7]
	s_cbranch_vccz .LBB70_330
; %bb.329:
	global_load_ubyte v4, v[2:3], off
	v_mov_b32_e32 v5, 0x3ff00000
	s_mov_b64 s[0:1], -1
	s_mov_b64 s[18:19], 0
	s_waitcnt vmcnt(0)
	v_cmp_ne_u16_e32 vcc, 0, v4
	v_cndmask_b32_e32 v5, 0, v5, vcc
	s_branch .LBB70_331
.LBB70_330:
	s_mov_b64 s[18:19], -1
                                        ; implicit-def: $vgpr4_vgpr5
.LBB70_331:
	s_branch .LBB70_20
.LBB70_332:
	v_mov_b32_e32 v4, 5
	v_cmp_lt_i16_sdwa s[0:1], v20, v4 src0_sel:BYTE_0 src1_sel:DWORD
	s_and_b64 vcc, exec, s[0:1]
	s_cbranch_vccnz .LBB70_337
; %bb.333:
	v_mov_b32_e32 v4, 8
	v_cmp_lt_i16_sdwa s[0:1], v20, v4 src0_sel:BYTE_0 src1_sel:DWORD
	s_and_b64 vcc, exec, s[0:1]
	s_cbranch_vccnz .LBB70_338
; %bb.334:
	;; [unrolled: 5-line block ×3, first 2 shown]
	v_cmp_gt_i16_sdwa s[0:1], v20, v4 src0_sel:BYTE_0 src1_sel:DWORD
	s_and_b64 vcc, exec, s[0:1]
	s_cbranch_vccz .LBB70_340
; %bb.336:
	global_load_dwordx2 v[4:5], v[2:3], off
	s_mov_b64 s[0:1], 0
	s_branch .LBB70_341
.LBB70_337:
	s_mov_b64 s[0:1], -1
                                        ; implicit-def: $vgpr4_vgpr5
	s_branch .LBB70_359
.LBB70_338:
	s_mov_b64 s[0:1], -1
                                        ; implicit-def: $vgpr4_vgpr5
	s_branch .LBB70_347
.LBB70_339:
	s_mov_b64 s[0:1], -1
                                        ; implicit-def: $vgpr4_vgpr5
	s_branch .LBB70_344
.LBB70_340:
	s_mov_b64 s[0:1], -1
                                        ; implicit-def: $vgpr4_vgpr5
.LBB70_341:
	s_andn2_b64 vcc, exec, s[0:1]
	s_cbranch_vccnz .LBB70_343
; %bb.342:
	global_load_dword v4, v[2:3], off
	s_waitcnt vmcnt(0)
	v_cvt_f64_f32_e32 v[4:5], v4
.LBB70_343:
	s_mov_b64 s[0:1], 0
.LBB70_344:
	s_andn2_b64 vcc, exec, s[0:1]
	s_cbranch_vccnz .LBB70_346
; %bb.345:
	global_load_dword v4, v[2:3], off
	s_waitcnt vmcnt(0)
	v_cvt_f32_f16_e32 v4, v4
	v_cvt_f64_f32_e32 v[4:5], v4
.LBB70_346:
	s_mov_b64 s[0:1], 0
.LBB70_347:
	s_andn2_b64 vcc, exec, s[0:1]
	s_cbranch_vccnz .LBB70_358
; %bb.348:
	s_waitcnt vmcnt(0)
	v_mov_b32_e32 v4, 6
	v_cmp_lt_i16_sdwa s[0:1], v20, v4 src0_sel:BYTE_0 src1_sel:DWORD
	s_and_b64 vcc, exec, s[0:1]
	s_cbranch_vccnz .LBB70_351
; %bb.349:
	v_cmp_gt_i16_sdwa s[0:1], v20, v4 src0_sel:BYTE_0 src1_sel:DWORD
	s_and_b64 vcc, exec, s[0:1]
	s_cbranch_vccz .LBB70_352
; %bb.350:
	global_load_dwordx2 v[4:5], v[2:3], off
	s_mov_b64 s[0:1], 0
	s_branch .LBB70_353
.LBB70_351:
	s_mov_b64 s[0:1], -1
                                        ; implicit-def: $vgpr4_vgpr5
	s_branch .LBB70_356
.LBB70_352:
	s_mov_b64 s[0:1], -1
                                        ; implicit-def: $vgpr4_vgpr5
.LBB70_353:
	s_andn2_b64 vcc, exec, s[0:1]
	s_cbranch_vccnz .LBB70_355
; %bb.354:
	global_load_dword v4, v[2:3], off
	s_waitcnt vmcnt(0)
	v_cvt_f64_f32_e32 v[4:5], v4
.LBB70_355:
	s_mov_b64 s[0:1], 0
.LBB70_356:
	s_andn2_b64 vcc, exec, s[0:1]
	s_cbranch_vccnz .LBB70_358
; %bb.357:
	global_load_ushort v4, v[2:3], off
	s_waitcnt vmcnt(0)
	v_cvt_f32_f16_e32 v4, v4
	v_cvt_f64_f32_e32 v[4:5], v4
.LBB70_358:
	s_mov_b64 s[0:1], 0
.LBB70_359:
	s_andn2_b64 vcc, exec, s[0:1]
	s_cbranch_vccnz .LBB70_379
; %bb.360:
	s_waitcnt vmcnt(0)
	v_mov_b32_e32 v4, 2
	v_cmp_lt_i16_sdwa s[0:1], v20, v4 src0_sel:BYTE_0 src1_sel:DWORD
	s_and_b64 vcc, exec, s[0:1]
	s_cbranch_vccnz .LBB70_364
; %bb.361:
	v_mov_b32_e32 v4, 3
	v_cmp_lt_i16_sdwa s[0:1], v20, v4 src0_sel:BYTE_0 src1_sel:DWORD
	s_and_b64 vcc, exec, s[0:1]
	s_cbranch_vccnz .LBB70_365
; %bb.362:
	v_cmp_gt_i16_sdwa s[0:1], v20, v4 src0_sel:BYTE_0 src1_sel:DWORD
	s_and_b64 vcc, exec, s[0:1]
	s_cbranch_vccz .LBB70_366
; %bb.363:
	global_load_dwordx2 v[4:5], v[2:3], off
	s_mov_b64 s[0:1], 0
	s_waitcnt vmcnt(0)
	v_cvt_f64_i32_e32 v[6:7], v5
	v_cvt_f64_u32_e32 v[4:5], v4
	v_ldexp_f64 v[6:7], v[6:7], 32
	v_add_f64 v[4:5], v[6:7], v[4:5]
	s_branch .LBB70_367
.LBB70_364:
	s_mov_b64 s[0:1], -1
                                        ; implicit-def: $vgpr4_vgpr5
	s_branch .LBB70_373
.LBB70_365:
	s_mov_b64 s[0:1], -1
                                        ; implicit-def: $vgpr4_vgpr5
	s_branch .LBB70_370
.LBB70_366:
	s_mov_b64 s[0:1], -1
                                        ; implicit-def: $vgpr4_vgpr5
.LBB70_367:
	s_andn2_b64 vcc, exec, s[0:1]
	s_cbranch_vccnz .LBB70_369
; %bb.368:
	global_load_dword v4, v[2:3], off
	s_waitcnt vmcnt(0)
	v_cvt_f64_i32_e32 v[4:5], v4
.LBB70_369:
	s_mov_b64 s[0:1], 0
.LBB70_370:
	s_andn2_b64 vcc, exec, s[0:1]
	s_cbranch_vccnz .LBB70_372
; %bb.371:
	global_load_sshort v4, v[2:3], off
	s_waitcnt vmcnt(0)
	v_cvt_f64_i32_e32 v[4:5], v4
.LBB70_372:
	s_mov_b64 s[0:1], 0
.LBB70_373:
	s_andn2_b64 vcc, exec, s[0:1]
	s_cbranch_vccnz .LBB70_379
; %bb.374:
	v_mov_b32_e32 v4, 0
	v_cmp_gt_i16_sdwa s[0:1], v20, v4 src0_sel:BYTE_0 src1_sel:DWORD
	s_and_b64 vcc, exec, s[0:1]
	s_cbranch_vccz .LBB70_376
; %bb.375:
	global_load_sbyte v4, v[2:3], off
	s_mov_b64 s[0:1], 0
	s_waitcnt vmcnt(0)
	v_cvt_f64_i32_e32 v[4:5], v4
	s_branch .LBB70_377
.LBB70_376:
	s_mov_b64 s[0:1], -1
                                        ; implicit-def: $vgpr4_vgpr5
.LBB70_377:
	s_andn2_b64 vcc, exec, s[0:1]
	s_cbranch_vccnz .LBB70_379
; %bb.378:
	global_load_ubyte v2, v[2:3], off
	s_waitcnt vmcnt(0)
	v_cvt_f64_u32_e32 v[4:5], v2
.LBB70_379:
	s_branch .LBB70_21
.LBB70_380:
	s_mov_b64 s[0:1], 0
.LBB70_381:
                                        ; implicit-def: $vgpr19
	s_mov_b64 s[24:25], 0
.LBB70_382:
	s_and_b64 s[6:7], s[0:1], exec
	s_and_b64 s[18:19], s[18:19], exec
	;; [unrolled: 1-line block ×3, first 2 shown]
	s_orn2_b64 s[0:1], s[24:25], exec
.LBB70_383:
	s_or_b64 exec, exec, s[22:23]
	s_mov_b64 s[30:31], 0
	s_mov_b64 s[28:29], 0
                                        ; implicit-def: $vgpr4
                                        ; implicit-def: $vgpr2_vgpr3
                                        ; implicit-def: $vgpr0_vgpr1
	s_and_saveexec_b64 s[22:23], s[0:1]
	s_cbranch_execz .LBB70_392
; %bb.384:
	v_cmp_gt_i32_e32 vcc, s33, v19
	s_mov_b64 s[0:1], -1
	s_mov_b64 s[24:25], s[20:21]
	s_mov_b64 s[26:27], s[18:19]
	;; [unrolled: 1-line block ×3, first 2 shown]
	s_and_saveexec_b64 s[30:31], vcc
	s_cbranch_execz .LBB70_773
; %bb.385:
	s_waitcnt vmcnt(0)
	v_mul_lo_u32 v0, v19, s13
	v_ashrrev_i32_e32 v1, 31, v0
	v_mov_b32_e32 v3, s11
	v_add_co_u32_e32 v2, vcc, s10, v0
	v_mov_b32_e32 v0, 11
	v_addc_co_u32_e32 v3, vcc, v3, v1, vcc
	v_cmp_lt_i16_sdwa s[0:1], v16, v0 src0_sel:BYTE_0 src1_sel:DWORD
	s_and_b64 vcc, exec, s[0:1]
	s_cbranch_vccnz .LBB70_395
; %bb.386:
	v_mov_b32_e32 v0, 25
	v_cmp_gt_i16_sdwa s[0:1], v16, v0 src0_sel:BYTE_0 src1_sel:DWORD
	s_and_b64 vcc, exec, s[0:1]
	s_cbranch_vccz .LBB70_404
; %bb.387:
	v_mov_b32_e32 v0, 28
	v_cmp_gt_i16_sdwa s[0:1], v16, v0 src0_sel:BYTE_0 src1_sel:DWORD
	s_and_b64 vcc, exec, s[0:1]
	s_cbranch_vccz .LBB70_406
	;; [unrolled: 5-line block ×4, first 2 shown]
; %bb.390:
	v_mov_b32_e32 v0, 46
	v_cmp_eq_u16_sdwa s[0:1], v16, v0 src0_sel:BYTE_0 src1_sel:DWORD
	s_mov_b64 s[26:27], 0
	s_and_b64 vcc, exec, s[0:1]
	s_cbranch_vccz .LBB70_414
; %bb.391:
	global_load_dword v0, v[2:3], off
	s_mov_b64 s[0:1], -1
	s_mov_b64 s[24:25], 0
	s_waitcnt vmcnt(0)
	v_lshlrev_b32_e32 v0, 16, v0
	v_cvt_f64_f32_e32 v[0:1], v0
	s_branch .LBB70_415
.LBB70_392:
	s_or_b64 exec, exec, s[22:23]
	s_mov_b64 s[22:23], 0
	s_and_saveexec_b64 s[0:1], s[20:21]
	s_cbranch_execnz .LBB70_1248
.LBB70_393:
	s_or_b64 exec, exec, s[0:1]
	s_and_saveexec_b64 s[0:1], s[26:27]
	s_xor_b64 s[0:1], exec, s[0:1]
	s_cbranch_execz .LBB70_1249
.LBB70_394:
	global_load_ubyte v1, v[2:3], off
	s_waitcnt vmcnt(1)
	v_mov_b32_e32 v5, 0x3ff00000
	v_mov_b32_e32 v0, 0
	s_or_b64 s[28:29], s[28:29], exec
	s_waitcnt vmcnt(0)
	v_cmp_ne_u16_e32 vcc, 0, v1
	v_cndmask_b32_e32 v1, 0, v5, vcc
	s_or_b64 exec, exec, s[0:1]
	s_and_saveexec_b64 s[0:1], s[30:31]
	s_cbranch_execz .LBB70_1295
	s_branch .LBB70_1250
.LBB70_395:
	s_mov_b64 s[0:1], 0
                                        ; implicit-def: $vgpr0_vgpr1
	s_mov_b64 s[24:25], s[20:21]
	s_cbranch_execnz .LBB70_481
.LBB70_396:
	s_andn2_b64 vcc, exec, s[0:1]
	s_cbranch_vccnz .LBB70_529
.LBB70_397:
	v_mul_lo_u32 v2, v19, s14
	v_ashrrev_i32_e32 v3, 31, v2
	v_mov_b32_e32 v4, s3
	v_add_co_u32_e32 v2, vcc, s2, v2
	v_addc_co_u32_e32 v3, vcc, v4, v3, vcc
	v_mov_b32_e32 v4, 11
	v_cmp_lt_i16_sdwa s[0:1], v20, v4 src0_sel:BYTE_0 src1_sel:DWORD
	s_and_b64 vcc, exec, s[0:1]
	s_cbranch_vccnz .LBB70_405
; %bb.398:
	v_mov_b32_e32 v4, 25
	v_cmp_gt_i16_sdwa s[0:1], v20, v4 src0_sel:BYTE_0 src1_sel:DWORD
	s_and_b64 vcc, exec, s[0:1]
	s_cbranch_vccz .LBB70_407
; %bb.399:
	v_mov_b32_e32 v4, 28
	v_cmp_gt_i16_sdwa s[0:1], v20, v4 src0_sel:BYTE_0 src1_sel:DWORD
	s_and_b64 vcc, exec, s[0:1]
	s_cbranch_vccz .LBB70_409
	;; [unrolled: 5-line block ×4, first 2 shown]
; %bb.402:
	v_mov_b32_e32 v4, 46
	v_cmp_eq_u16_sdwa s[0:1], v20, v4 src0_sel:BYTE_0 src1_sel:DWORD
	s_mov_b64 s[28:29], 0
	s_and_b64 vcc, exec, s[0:1]
	s_cbranch_vccz .LBB70_533
; %bb.403:
	global_load_dword v4, v[2:3], off
	s_mov_b64 s[0:1], -1
	s_mov_b64 s[26:27], 0
	s_waitcnt vmcnt(0)
	v_lshlrev_b32_e32 v4, 16, v4
	v_cvt_f64_f32_e32 v[4:5], v4
	s_branch .LBB70_534
.LBB70_404:
	s_mov_b64 s[26:27], -1
	s_mov_b64 s[0:1], 0
	s_mov_b64 s[24:25], s[20:21]
                                        ; implicit-def: $vgpr0_vgpr1
	s_branch .LBB70_445
.LBB70_405:
	s_mov_b64 s[28:29], -1
	s_mov_b64 s[0:1], 0
                                        ; implicit-def: $vgpr4_vgpr5
	s_mov_b64 s[26:27], s[18:19]
	s_branch .LBB70_599
.LBB70_406:
	s_mov_b64 s[26:27], -1
	s_mov_b64 s[0:1], 0
	s_mov_b64 s[24:25], s[20:21]
                                        ; implicit-def: $vgpr0_vgpr1
	s_branch .LBB70_426
.LBB70_407:
	s_mov_b64 s[28:29], -1
	s_mov_b64 s[0:1], 0
	s_mov_b64 s[26:27], s[18:19]
                                        ; implicit-def: $vgpr4_vgpr5
	s_branch .LBB70_563
.LBB70_408:
	s_mov_b64 s[26:27], -1
	s_mov_b64 s[0:1], 0
	s_mov_b64 s[24:25], s[20:21]
                                        ; implicit-def: $vgpr0_vgpr1
	s_branch .LBB70_421
.LBB70_409:
	s_mov_b64 s[28:29], -1
	s_mov_b64 s[0:1], 0
	s_mov_b64 s[26:27], s[18:19]
                                        ; implicit-def: $vgpr4_vgpr5
	s_branch .LBB70_544
.LBB70_410:
	s_mov_b64 s[26:27], -1
	s_mov_b64 s[0:1], 0
	s_mov_b64 s[24:25], s[20:21]
                                        ; implicit-def: $vgpr0_vgpr1
	s_branch .LBB70_415
.LBB70_411:
	s_mov_b64 s[28:29], -1
	s_mov_b64 s[0:1], 0
	s_mov_b64 s[26:27], s[18:19]
                                        ; implicit-def: $vgpr4_vgpr5
	s_branch .LBB70_539
.LBB70_412:
	s_or_saveexec_b64 s[28:29], s[28:29]
                                        ; implicit-def: $sgpr15
	s_xor_b64 exec, exec, s[28:29]
	s_cbranch_execz .LBB70_180
.LBB70_413:
	s_mov_b32 s15, 0x46000000
	v_add_f32_e64 v3, |v2|, s15
	v_and_b32_e32 v3, 0xff, v3
	v_cmp_ne_u32_e32 vcc, 0, v3
	s_andn2_b64 s[24:25], s[24:25], exec
	s_and_b64 s[30:31], vcc, exec
	s_mov_b32 s15, 0
	s_or_b64 s[24:25], s[24:25], s[30:31]
	s_or_b64 exec, exec, s[28:29]
	v_mov_b32_e32 v6, s15
	s_and_saveexec_b64 s[28:29], s[24:25]
	s_cbranch_execnz .LBB70_181
	s_branch .LBB70_182
.LBB70_414:
	s_mov_b64 s[24:25], -1
                                        ; implicit-def: $vgpr0_vgpr1
	s_mov_b64 s[0:1], 0
.LBB70_415:
	s_and_b64 vcc, exec, s[26:27]
	s_cbranch_vccz .LBB70_420
; %bb.416:
	v_mov_b32_e32 v0, 44
	v_cmp_eq_u16_sdwa s[24:25], v16, v0 src0_sel:BYTE_0 src1_sel:DWORD
	s_and_b64 vcc, exec, s[24:25]
	s_cbranch_vccz .LBB70_419
; %bb.417:
	global_load_ubyte v4, v[2:3], off
	s_movk_i32 s15, 0xff
	v_bfrev_b32_e32 v5, 4
	v_mov_b32_e32 v6, 0x7ff80000
	v_bfrev_b32_e32 v7, 28
	s_mov_b64 s[0:1], -1
	s_mov_b64 s[24:25], 0
	s_waitcnt vmcnt(0)
	v_lshlrev_b32_e32 v0, 23, v4
	v_cvt_f64_f32_e32 v[0:1], v0
	v_cmp_ne_u32_e32 vcc, s15, v4
	v_cndmask_b32_e32 v0, v5, v0, vcc
	v_cndmask_b32_e32 v1, v6, v1, vcc
	v_cmp_ne_u32_e32 vcc, 0, v4
	v_cndmask_b32_e32 v1, v7, v1, vcc
	v_cndmask_b32_e32 v0, 0, v0, vcc
	s_branch .LBB70_420
.LBB70_418:
	s_mov_b64 s[28:29], -1
	s_mov_b64 s[0:1], 0
	s_mov_b64 s[26:27], s[18:19]
                                        ; implicit-def: $vgpr4_vgpr5
	s_branch .LBB70_534
.LBB70_419:
	s_mov_b64 s[24:25], -1
                                        ; implicit-def: $vgpr0_vgpr1
.LBB70_420:
	s_mov_b64 s[26:27], 0
.LBB70_421:
	s_and_b64 vcc, exec, s[26:27]
	s_cbranch_vccz .LBB70_425
; %bb.422:
	v_mov_b32_e32 v0, 29
	v_cmp_eq_u16_sdwa s[24:25], v16, v0 src0_sel:BYTE_0 src1_sel:DWORD
	s_and_b64 vcc, exec, s[24:25]
	s_cbranch_vccz .LBB70_424
; %bb.423:
	global_load_dwordx2 v[0:1], v[2:3], off
	s_mov_b64 s[0:1], -1
	s_mov_b64 s[24:25], 0
	s_mov_b64 s[26:27], 0
	s_waitcnt vmcnt(0)
	v_cvt_f64_u32_e32 v[4:5], v1
	v_cvt_f64_u32_e32 v[0:1], v0
	v_ldexp_f64 v[4:5], v[4:5], 32
	v_add_f64 v[0:1], v[4:5], v[0:1]
	s_branch .LBB70_426
.LBB70_424:
	s_mov_b64 s[24:25], -1
                                        ; implicit-def: $vgpr0_vgpr1
.LBB70_425:
	s_mov_b64 s[26:27], 0
.LBB70_426:
	s_and_b64 vcc, exec, s[26:27]
	s_cbranch_vccz .LBB70_444
; %bb.427:
	v_mov_b32_e32 v0, 27
	v_cmp_lt_i16_sdwa s[0:1], v16, v0 src0_sel:BYTE_0 src1_sel:DWORD
	s_and_b64 vcc, exec, s[0:1]
	s_cbranch_vccnz .LBB70_430
; %bb.428:
	v_cmp_gt_i16_sdwa s[0:1], v16, v0 src0_sel:BYTE_0 src1_sel:DWORD
	s_and_b64 vcc, exec, s[0:1]
	s_cbranch_vccz .LBB70_431
; %bb.429:
	global_load_dword v0, v[2:3], off
	s_mov_b64 s[0:1], 0
	s_waitcnt vmcnt(0)
	v_cvt_f64_u32_e32 v[0:1], v0
	s_branch .LBB70_432
.LBB70_430:
	s_mov_b64 s[0:1], -1
                                        ; implicit-def: $vgpr0_vgpr1
	s_branch .LBB70_435
.LBB70_431:
	s_mov_b64 s[0:1], -1
                                        ; implicit-def: $vgpr0_vgpr1
.LBB70_432:
	s_andn2_b64 vcc, exec, s[0:1]
	s_cbranch_vccnz .LBB70_434
; %bb.433:
	global_load_ushort v0, v[2:3], off
	s_waitcnt vmcnt(0)
	v_cvt_f64_u32_e32 v[0:1], v0
.LBB70_434:
	s_mov_b64 s[0:1], 0
.LBB70_435:
	s_andn2_b64 vcc, exec, s[0:1]
	s_cbranch_vccnz .LBB70_443
; %bb.436:
	global_load_ubyte v4, v[2:3], off
	s_movk_i32 s0, 0x7f
                                        ; implicit-def: $sgpr26_sgpr27
	s_waitcnt vmcnt(0)
	v_cmp_lt_i16_e32 vcc, s0, v4
	s_mov_b64 s[0:1], 0
	s_and_saveexec_b64 s[28:29], vcc
	s_xor_b64 s[28:29], exec, s[28:29]
	s_cbranch_execz .LBB70_457
; %bb.437:
	s_movk_i32 s0, 0x80
	v_cmp_eq_u16_e32 vcc, s0, v4
	s_mov_b64 s[34:35], -1
                                        ; implicit-def: $sgpr26_sgpr27
	s_and_saveexec_b64 s[0:1], vcc
; %bb.438:
	s_mov_b32 s27, 0x7ff80000
	s_brev_b32 s26, 4
	s_xor_b64 s[34:35], exec, -1
; %bb.439:
	s_or_b64 exec, exec, s[0:1]
	s_and_b64 s[0:1], s[34:35], exec
	s_or_saveexec_b64 s[28:29], s[28:29]
	v_pk_mov_b32 v[0:1], s[26:27], s[26:27] op_sel:[0,1]
	s_xor_b64 exec, exec, s[28:29]
	s_cbranch_execnz .LBB70_458
.LBB70_440:
	s_or_b64 exec, exec, s[28:29]
	s_and_saveexec_b64 s[26:27], s[0:1]
	s_cbranch_execz .LBB70_442
.LBB70_441:
	v_and_b32_e32 v1, 0xffff, v4
	v_lshlrev_b32_e32 v0, 24, v4
	v_and_b32_e32 v4, 7, v1
	v_ffbh_u32_e32 v6, v4
	v_min_u32_e32 v6, 32, v6
	v_subrev_u32_e32 v7, 28, v6
	v_bfe_u32 v5, v1, 3, 4
	v_lshlrev_b32_e32 v1, v7, v1
	v_sub_u32_e32 v6, 29, v6
	v_and_b32_e32 v1, 7, v1
	v_cmp_eq_u32_e32 vcc, 0, v5
	v_cndmask_b32_e32 v5, v5, v6, vcc
	v_cndmask_b32_e32 v1, v4, v1, vcc
	v_mov_b32_e32 v4, 0x3b800000
	v_lshlrev_b32_e32 v1, 20, v1
	v_and_b32_e32 v0, 0x80000000, v0
	v_lshl_add_u32 v4, v5, 23, v4
	v_or3_b32 v0, v0, v4, v1
	v_cvt_f64_f32_e32 v[0:1], v0
.LBB70_442:
	s_or_b64 exec, exec, s[26:27]
.LBB70_443:
	s_mov_b64 s[0:1], -1
.LBB70_444:
	s_mov_b64 s[26:27], 0
.LBB70_445:
	s_and_b64 vcc, exec, s[26:27]
	s_cbranch_vccz .LBB70_480
; %bb.446:
	v_mov_b32_e32 v0, 22
	v_cmp_gt_i16_sdwa s[26:27], v16, v0 src0_sel:BYTE_0 src1_sel:DWORD
	s_and_b64 vcc, exec, s[26:27]
	s_cbranch_vccz .LBB70_456
; %bb.447:
	v_mov_b32_e32 v0, 24
	v_cmp_lt_i16_sdwa s[0:1], v16, v0 src0_sel:BYTE_0 src1_sel:DWORD
	s_and_b64 vcc, exec, s[0:1]
	s_cbranch_vccnz .LBB70_459
; %bb.448:
	v_cmp_gt_i16_sdwa s[0:1], v16, v0 src0_sel:BYTE_0 src1_sel:DWORD
	s_and_b64 vcc, exec, s[0:1]
	s_cbranch_vccz .LBB70_460
; %bb.449:
	global_load_ubyte v4, v[2:3], off
	s_movk_i32 s0, 0x7f
                                        ; implicit-def: $sgpr26_sgpr27
	s_waitcnt vmcnt(0)
	v_cmp_lt_i16_e32 vcc, s0, v4
	s_mov_b64 s[0:1], 0
	s_and_saveexec_b64 s[28:29], vcc
	s_xor_b64 s[28:29], exec, s[28:29]
	s_cbranch_execz .LBB70_472
; %bb.450:
	s_movk_i32 s0, 0x80
	v_cmp_eq_u16_e32 vcc, s0, v4
	s_mov_b64 s[34:35], -1
                                        ; implicit-def: $sgpr26_sgpr27
	s_and_saveexec_b64 s[0:1], vcc
; %bb.451:
	s_mov_b32 s27, 0x7ff80000
	s_brev_b32 s26, 4
	s_xor_b64 s[34:35], exec, -1
; %bb.452:
	s_or_b64 exec, exec, s[0:1]
	s_and_b64 s[0:1], s[34:35], exec
	s_or_saveexec_b64 s[28:29], s[28:29]
	v_pk_mov_b32 v[0:1], s[26:27], s[26:27] op_sel:[0,1]
	s_xor_b64 exec, exec, s[28:29]
	s_cbranch_execnz .LBB70_473
.LBB70_453:
	s_or_b64 exec, exec, s[28:29]
	s_and_saveexec_b64 s[26:27], s[0:1]
	s_cbranch_execz .LBB70_455
.LBB70_454:
	v_and_b32_e32 v1, 0xffff, v4
	v_lshlrev_b32_e32 v0, 24, v4
	v_and_b32_e32 v4, 3, v1
	v_ffbh_u32_e32 v6, v4
	v_min_u32_e32 v6, 32, v6
	v_subrev_u32_e32 v7, 29, v6
	v_bfe_u32 v5, v1, 2, 5
	v_lshlrev_b32_e32 v1, v7, v1
	v_sub_u32_e32 v6, 30, v6
	v_and_b32_e32 v1, 3, v1
	v_cmp_eq_u32_e32 vcc, 0, v5
	v_cndmask_b32_e32 v5, v5, v6, vcc
	v_cndmask_b32_e32 v1, v4, v1, vcc
	v_mov_b32_e32 v4, 0x37800000
	v_lshlrev_b32_e32 v1, 21, v1
	v_and_b32_e32 v0, 0x80000000, v0
	v_lshl_add_u32 v4, v5, 23, v4
	v_or3_b32 v0, v0, v4, v1
	v_cvt_f64_f32_e32 v[0:1], v0
.LBB70_455:
	s_or_b64 exec, exec, s[26:27]
	s_mov_b64 s[0:1], 0
	s_branch .LBB70_461
.LBB70_456:
	s_mov_b64 s[26:27], -1
                                        ; implicit-def: $vgpr0_vgpr1
	s_branch .LBB70_467
.LBB70_457:
	s_or_saveexec_b64 s[28:29], s[28:29]
	v_pk_mov_b32 v[0:1], s[26:27], s[26:27] op_sel:[0,1]
	s_xor_b64 exec, exec, s[28:29]
	s_cbranch_execz .LBB70_440
.LBB70_458:
	v_cmp_ne_u16_e32 vcc, 0, v4
	s_andn2_b64 s[0:1], s[0:1], exec
	s_and_b64 s[26:27], vcc, exec
	v_pk_mov_b32 v[0:1], 0, 0
	s_or_b64 s[0:1], s[0:1], s[26:27]
	s_or_b64 exec, exec, s[28:29]
	s_and_saveexec_b64 s[26:27], s[0:1]
	s_cbranch_execnz .LBB70_441
	s_branch .LBB70_442
.LBB70_459:
	s_mov_b64 s[0:1], -1
                                        ; implicit-def: $vgpr0_vgpr1
	s_branch .LBB70_464
.LBB70_460:
	s_mov_b64 s[0:1], -1
                                        ; implicit-def: $vgpr0_vgpr1
.LBB70_461:
	s_and_b64 vcc, exec, s[0:1]
	s_cbranch_vccz .LBB70_463
; %bb.462:
	global_load_ubyte v0, v[2:3], off
	s_mov_b32 s0, 0x7f800000
	s_waitcnt vmcnt(0)
	v_lshlrev_b32_e32 v0, 24, v0
	v_and_b32_e32 v1, 0x7f000000, v0
	v_ffbh_u32_e32 v4, v1
	v_min_u32_e32 v4, 32, v4
	v_sub_u32_e64 v4, v4, 4 clamp
	v_lshlrev_b32_e32 v6, v4, v1
	v_lshlrev_b32_e32 v4, 23, v4
	v_lshrrev_b32_e32 v6, 4, v6
	v_add_u32_e32 v5, 0x1000000, v1
	v_sub_u32_e32 v4, v6, v4
	v_ashrrev_i32_e32 v5, 8, v5
	v_add_u32_e32 v4, 0x3c000000, v4
	v_and_or_b32 v4, v5, s0, v4
	v_cmp_ne_u32_e32 vcc, 0, v1
	v_cndmask_b32_e32 v1, 0, v4, vcc
	s_brev_b32 s0, 1
	v_and_or_b32 v0, v0, s0, v1
	v_cvt_f64_f32_e32 v[0:1], v0
.LBB70_463:
	s_mov_b64 s[0:1], 0
.LBB70_464:
	s_andn2_b64 vcc, exec, s[0:1]
	s_cbranch_vccnz .LBB70_466
; %bb.465:
	global_load_ubyte v0, v[2:3], off
	s_movk_i32 s0, 0x7f00
	s_brev_b32 s1, 16
	s_waitcnt vmcnt(0)
	v_lshlrev_b16_e32 v1, 8, v0
	v_lshlrev_b32_e32 v0, 25, v0
	v_lshrrev_b32_e32 v4, 4, v0
	v_and_or_b32 v5, v1, s0, 0.5
	v_or_b32_e32 v4, 0x70000000, v4
	v_add_f32_e32 v5, -0.5, v5
	v_mul_f32_e32 v4, 0x7800000, v4
	v_cmp_gt_u32_e32 vcc, s1, v0
	v_bfe_i32 v1, v1, 0, 16
	v_cndmask_b32_e32 v0, v4, v5, vcc
	s_brev_b32 s0, 1
	v_and_or_b32 v0, v1, s0, v0
	v_cvt_f64_f32_e32 v[0:1], v0
.LBB70_466:
	s_mov_b64 s[26:27], 0
	s_mov_b64 s[0:1], -1
.LBB70_467:
	s_andn2_b64 vcc, exec, s[26:27]
	s_cbranch_vccnz .LBB70_480
; %bb.468:
	v_mov_b32_e32 v0, 14
	v_cmp_gt_i16_sdwa s[26:27], v16, v0 src0_sel:BYTE_0 src1_sel:DWORD
	s_and_b64 vcc, exec, s[26:27]
	s_cbranch_vccz .LBB70_471
; %bb.469:
	v_mov_b32_e32 v0, 15
	v_cmp_eq_u16_sdwa s[24:25], v16, v0 src0_sel:BYTE_0 src1_sel:DWORD
	s_and_b64 vcc, exec, s[24:25]
	s_cbranch_vccz .LBB70_474
; %bb.470:
	global_load_ushort v0, v[2:3], off
	s_mov_b64 s[0:1], -1
	s_mov_b64 s[24:25], 0
	s_waitcnt vmcnt(0)
	v_lshlrev_b32_e32 v0, 16, v0
	v_cvt_f64_f32_e32 v[0:1], v0
	s_branch .LBB70_475
.LBB70_471:
	s_mov_b64 s[26:27], -1
                                        ; implicit-def: $vgpr0_vgpr1
	s_branch .LBB70_476
.LBB70_472:
	s_or_saveexec_b64 s[28:29], s[28:29]
	v_pk_mov_b32 v[0:1], s[26:27], s[26:27] op_sel:[0,1]
	s_xor_b64 exec, exec, s[28:29]
	s_cbranch_execz .LBB70_453
.LBB70_473:
	v_cmp_ne_u16_e32 vcc, 0, v4
	s_andn2_b64 s[0:1], s[0:1], exec
	s_and_b64 s[26:27], vcc, exec
	v_pk_mov_b32 v[0:1], 0, 0
	s_or_b64 s[0:1], s[0:1], s[26:27]
	s_or_b64 exec, exec, s[28:29]
	s_and_saveexec_b64 s[26:27], s[0:1]
	s_cbranch_execnz .LBB70_454
	s_branch .LBB70_455
.LBB70_474:
	s_mov_b64 s[24:25], -1
                                        ; implicit-def: $vgpr0_vgpr1
.LBB70_475:
	s_mov_b64 s[26:27], 0
.LBB70_476:
	s_and_b64 vcc, exec, s[26:27]
	s_cbranch_vccz .LBB70_480
; %bb.477:
	v_mov_b32_e32 v0, 11
	v_cmp_eq_u16_sdwa s[24:25], v16, v0 src0_sel:BYTE_0 src1_sel:DWORD
	s_and_b64 vcc, exec, s[24:25]
	s_cbranch_vccz .LBB70_479
; %bb.478:
	global_load_ubyte v1, v[2:3], off
	v_mov_b32_e32 v4, 0x3ff00000
	v_mov_b32_e32 v0, 0
	s_mov_b64 s[0:1], -1
	s_mov_b64 s[24:25], 0
	s_waitcnt vmcnt(0)
	v_cmp_ne_u16_e32 vcc, 0, v1
	v_cndmask_b32_e32 v1, 0, v4, vcc
	s_branch .LBB70_480
.LBB70_479:
	s_mov_b64 s[24:25], -1
                                        ; implicit-def: $vgpr0_vgpr1
.LBB70_480:
	s_branch .LBB70_396
.LBB70_481:
	v_mov_b32_e32 v0, 5
	v_cmp_lt_i16_sdwa s[0:1], v16, v0 src0_sel:BYTE_0 src1_sel:DWORD
	s_and_b64 vcc, exec, s[0:1]
	s_cbranch_vccnz .LBB70_486
; %bb.482:
	v_mov_b32_e32 v0, 8
	v_cmp_lt_i16_sdwa s[0:1], v16, v0 src0_sel:BYTE_0 src1_sel:DWORD
	s_and_b64 vcc, exec, s[0:1]
	s_cbranch_vccnz .LBB70_487
; %bb.483:
	;; [unrolled: 5-line block ×3, first 2 shown]
	v_cmp_gt_i16_sdwa s[0:1], v16, v0 src0_sel:BYTE_0 src1_sel:DWORD
	s_and_b64 vcc, exec, s[0:1]
	s_cbranch_vccz .LBB70_489
; %bb.485:
	global_load_dwordx2 v[0:1], v[2:3], off
	s_mov_b64 s[0:1], 0
	s_branch .LBB70_490
.LBB70_486:
	s_mov_b64 s[0:1], -1
                                        ; implicit-def: $vgpr0_vgpr1
	s_branch .LBB70_508
.LBB70_487:
	s_mov_b64 s[0:1], -1
                                        ; implicit-def: $vgpr0_vgpr1
	s_branch .LBB70_496
.LBB70_488:
	s_mov_b64 s[0:1], -1
                                        ; implicit-def: $vgpr0_vgpr1
	s_branch .LBB70_493
.LBB70_489:
	s_mov_b64 s[0:1], -1
                                        ; implicit-def: $vgpr0_vgpr1
.LBB70_490:
	s_andn2_b64 vcc, exec, s[0:1]
	s_cbranch_vccnz .LBB70_492
; %bb.491:
	global_load_dword v0, v[2:3], off
	s_waitcnt vmcnt(0)
	v_cvt_f64_f32_e32 v[0:1], v0
.LBB70_492:
	s_mov_b64 s[0:1], 0
.LBB70_493:
	s_andn2_b64 vcc, exec, s[0:1]
	s_cbranch_vccnz .LBB70_495
; %bb.494:
	global_load_dword v0, v[2:3], off
	s_waitcnt vmcnt(0)
	v_cvt_f32_f16_e32 v0, v0
	v_cvt_f64_f32_e32 v[0:1], v0
.LBB70_495:
	s_mov_b64 s[0:1], 0
.LBB70_496:
	s_andn2_b64 vcc, exec, s[0:1]
	s_cbranch_vccnz .LBB70_507
; %bb.497:
	s_waitcnt vmcnt(0)
	v_mov_b32_e32 v0, 6
	v_cmp_lt_i16_sdwa s[0:1], v16, v0 src0_sel:BYTE_0 src1_sel:DWORD
	s_and_b64 vcc, exec, s[0:1]
	s_cbranch_vccnz .LBB70_500
; %bb.498:
	v_cmp_gt_i16_sdwa s[0:1], v16, v0 src0_sel:BYTE_0 src1_sel:DWORD
	s_and_b64 vcc, exec, s[0:1]
	s_cbranch_vccz .LBB70_501
; %bb.499:
	global_load_dwordx2 v[0:1], v[2:3], off
	s_mov_b64 s[0:1], 0
	s_branch .LBB70_502
.LBB70_500:
	s_mov_b64 s[0:1], -1
                                        ; implicit-def: $vgpr0_vgpr1
	s_branch .LBB70_505
.LBB70_501:
	s_mov_b64 s[0:1], -1
                                        ; implicit-def: $vgpr0_vgpr1
.LBB70_502:
	s_andn2_b64 vcc, exec, s[0:1]
	s_cbranch_vccnz .LBB70_504
; %bb.503:
	global_load_dword v0, v[2:3], off
	s_waitcnt vmcnt(0)
	v_cvt_f64_f32_e32 v[0:1], v0
.LBB70_504:
	s_mov_b64 s[0:1], 0
.LBB70_505:
	s_andn2_b64 vcc, exec, s[0:1]
	s_cbranch_vccnz .LBB70_507
; %bb.506:
	global_load_ushort v0, v[2:3], off
	s_waitcnt vmcnt(0)
	v_cvt_f32_f16_e32 v0, v0
	v_cvt_f64_f32_e32 v[0:1], v0
.LBB70_507:
	s_mov_b64 s[0:1], 0
.LBB70_508:
	s_andn2_b64 vcc, exec, s[0:1]
	s_cbranch_vccnz .LBB70_528
; %bb.509:
	s_waitcnt vmcnt(0)
	v_mov_b32_e32 v0, 2
	v_cmp_lt_i16_sdwa s[0:1], v16, v0 src0_sel:BYTE_0 src1_sel:DWORD
	s_and_b64 vcc, exec, s[0:1]
	s_cbranch_vccnz .LBB70_513
; %bb.510:
	v_mov_b32_e32 v0, 3
	v_cmp_lt_i16_sdwa s[0:1], v16, v0 src0_sel:BYTE_0 src1_sel:DWORD
	s_and_b64 vcc, exec, s[0:1]
	s_cbranch_vccnz .LBB70_514
; %bb.511:
	v_cmp_gt_i16_sdwa s[0:1], v16, v0 src0_sel:BYTE_0 src1_sel:DWORD
	s_and_b64 vcc, exec, s[0:1]
	s_cbranch_vccz .LBB70_515
; %bb.512:
	global_load_dwordx2 v[0:1], v[2:3], off
	s_mov_b64 s[0:1], 0
	s_waitcnt vmcnt(0)
	v_cvt_f64_i32_e32 v[4:5], v1
	v_cvt_f64_u32_e32 v[0:1], v0
	v_ldexp_f64 v[4:5], v[4:5], 32
	v_add_f64 v[0:1], v[4:5], v[0:1]
	s_branch .LBB70_516
.LBB70_513:
	s_mov_b64 s[0:1], -1
                                        ; implicit-def: $vgpr0_vgpr1
	s_branch .LBB70_522
.LBB70_514:
	s_mov_b64 s[0:1], -1
                                        ; implicit-def: $vgpr0_vgpr1
	s_branch .LBB70_519
.LBB70_515:
	s_mov_b64 s[0:1], -1
                                        ; implicit-def: $vgpr0_vgpr1
.LBB70_516:
	s_andn2_b64 vcc, exec, s[0:1]
	s_cbranch_vccnz .LBB70_518
; %bb.517:
	global_load_dword v0, v[2:3], off
	s_waitcnt vmcnt(0)
	v_cvt_f64_i32_e32 v[0:1], v0
.LBB70_518:
	s_mov_b64 s[0:1], 0
.LBB70_519:
	s_andn2_b64 vcc, exec, s[0:1]
	s_cbranch_vccnz .LBB70_521
; %bb.520:
	global_load_sshort v0, v[2:3], off
	s_waitcnt vmcnt(0)
	v_cvt_f64_i32_e32 v[0:1], v0
.LBB70_521:
	s_mov_b64 s[0:1], 0
.LBB70_522:
	s_andn2_b64 vcc, exec, s[0:1]
	s_cbranch_vccnz .LBB70_528
; %bb.523:
	v_mov_b32_e32 v0, 0
	v_cmp_gt_i16_sdwa s[0:1], v16, v0 src0_sel:BYTE_0 src1_sel:DWORD
	s_and_b64 vcc, exec, s[0:1]
	s_cbranch_vccz .LBB70_525
; %bb.524:
	global_load_sbyte v0, v[2:3], off
	s_mov_b64 s[0:1], 0
	s_waitcnt vmcnt(0)
	v_cvt_f64_i32_e32 v[0:1], v0
	s_branch .LBB70_526
.LBB70_525:
	s_mov_b64 s[0:1], -1
                                        ; implicit-def: $vgpr0_vgpr1
.LBB70_526:
	s_andn2_b64 vcc, exec, s[0:1]
	s_cbranch_vccnz .LBB70_528
; %bb.527:
	global_load_ubyte v0, v[2:3], off
	s_waitcnt vmcnt(0)
	v_cvt_f64_u32_e32 v[0:1], v0
.LBB70_528:
	s_branch .LBB70_397
.LBB70_529:
	s_mov_b64 s[34:35], 0
	s_mov_b64 s[0:1], s[6:7]
	;; [unrolled: 1-line block ×3, first 2 shown]
.LBB70_530:
                                        ; implicit-def: $vgpr19
	s_branch .LBB70_772
.LBB70_531:
	s_or_saveexec_b64 s[28:29], s[28:29]
                                        ; implicit-def: $sgpr15
	s_xor_b64 exec, exec, s[28:29]
	s_cbranch_execz .LBB70_193
.LBB70_532:
	s_mov_b32 s15, 0x42800000
	v_add_f32_e64 v3, |v2|, s15
	v_and_b32_e32 v3, 0xff, v3
	v_cmp_ne_u32_e32 vcc, 0, v3
	s_andn2_b64 s[24:25], s[24:25], exec
	s_and_b64 s[30:31], vcc, exec
	s_mov_b32 s15, 0
	s_or_b64 s[24:25], s[24:25], s[30:31]
	s_or_b64 exec, exec, s[28:29]
	v_mov_b32_e32 v6, s15
	s_and_saveexec_b64 s[28:29], s[24:25]
	s_cbranch_execnz .LBB70_194
	s_branch .LBB70_195
.LBB70_533:
	s_mov_b64 s[26:27], -1
                                        ; implicit-def: $vgpr4_vgpr5
	s_mov_b64 s[0:1], 0
.LBB70_534:
	s_and_b64 vcc, exec, s[28:29]
	s_cbranch_vccz .LBB70_538
; %bb.535:
	v_mov_b32_e32 v4, 44
	v_cmp_eq_u16_sdwa s[26:27], v20, v4 src0_sel:BYTE_0 src1_sel:DWORD
	s_and_b64 vcc, exec, s[26:27]
	s_cbranch_vccz .LBB70_537
; %bb.536:
	global_load_ubyte v6, v[2:3], off
	s_movk_i32 s15, 0xff
	v_mov_b32_e32 v7, 0x7ff80000
	v_bfrev_b32_e32 v8, 28
	s_mov_b64 s[0:1], -1
	s_mov_b64 s[26:27], 0
	s_waitcnt vmcnt(0)
	v_lshlrev_b32_e32 v4, 23, v6
	v_cvt_f64_f32_e32 v[4:5], v4
	v_cmp_ne_u32_e32 vcc, s15, v6
	v_cndmask_b32_e32 v4, v7, v5, vcc
	v_cmp_ne_u32_e32 vcc, 0, v6
	v_cndmask_b32_e32 v5, v8, v4, vcc
	s_branch .LBB70_538
.LBB70_537:
	s_mov_b64 s[26:27], -1
                                        ; implicit-def: $vgpr4_vgpr5
.LBB70_538:
	s_mov_b64 s[28:29], 0
.LBB70_539:
	s_and_b64 vcc, exec, s[28:29]
	s_cbranch_vccz .LBB70_543
; %bb.540:
	v_mov_b32_e32 v4, 29
	v_cmp_eq_u16_sdwa s[26:27], v20, v4 src0_sel:BYTE_0 src1_sel:DWORD
	s_and_b64 vcc, exec, s[26:27]
	s_cbranch_vccz .LBB70_542
; %bb.541:
	global_load_dwordx2 v[4:5], v[2:3], off
	s_mov_b64 s[0:1], -1
	s_mov_b64 s[26:27], 0
	s_mov_b64 s[28:29], 0
	s_waitcnt vmcnt(0)
	v_cvt_f64_u32_e32 v[6:7], v5
	v_cvt_f64_u32_e32 v[4:5], v4
	v_ldexp_f64 v[6:7], v[6:7], 32
	v_add_f64 v[4:5], v[6:7], v[4:5]
	s_branch .LBB70_544
.LBB70_542:
	s_mov_b64 s[26:27], -1
                                        ; implicit-def: $vgpr4_vgpr5
.LBB70_543:
	s_mov_b64 s[28:29], 0
.LBB70_544:
	s_and_b64 vcc, exec, s[28:29]
	s_cbranch_vccz .LBB70_562
; %bb.545:
	v_mov_b32_e32 v4, 27
	v_cmp_lt_i16_sdwa s[0:1], v20, v4 src0_sel:BYTE_0 src1_sel:DWORD
	s_and_b64 vcc, exec, s[0:1]
	s_cbranch_vccnz .LBB70_548
; %bb.546:
	v_cmp_gt_i16_sdwa s[0:1], v20, v4 src0_sel:BYTE_0 src1_sel:DWORD
	s_and_b64 vcc, exec, s[0:1]
	s_cbranch_vccz .LBB70_549
; %bb.547:
	global_load_dword v4, v[2:3], off
	s_mov_b64 s[0:1], 0
	s_waitcnt vmcnt(0)
	v_cvt_f64_u32_e32 v[4:5], v4
	s_branch .LBB70_550
.LBB70_548:
	s_mov_b64 s[0:1], -1
                                        ; implicit-def: $vgpr4_vgpr5
	s_branch .LBB70_553
.LBB70_549:
	s_mov_b64 s[0:1], -1
                                        ; implicit-def: $vgpr4_vgpr5
.LBB70_550:
	s_andn2_b64 vcc, exec, s[0:1]
	s_cbranch_vccnz .LBB70_552
; %bb.551:
	global_load_ushort v4, v[2:3], off
	s_waitcnt vmcnt(0)
	v_cvt_f64_u32_e32 v[4:5], v4
.LBB70_552:
	s_mov_b64 s[0:1], 0
.LBB70_553:
	s_andn2_b64 vcc, exec, s[0:1]
	s_cbranch_vccnz .LBB70_561
; %bb.554:
	global_load_ubyte v6, v[2:3], off
	s_movk_i32 s0, 0x7f
                                        ; implicit-def: $sgpr28_sgpr29
	s_waitcnt vmcnt(0)
	v_cmp_lt_i16_e32 vcc, s0, v6
	s_mov_b64 s[0:1], 0
	s_and_saveexec_b64 s[34:35], vcc
	s_xor_b64 s[34:35], exec, s[34:35]
	s_cbranch_execz .LBB70_575
; %bb.555:
	s_movk_i32 s0, 0x80
	v_cmp_eq_u16_e32 vcc, s0, v6
	s_mov_b64 s[36:37], -1
                                        ; implicit-def: $sgpr28_sgpr29
	s_and_saveexec_b64 s[0:1], vcc
; %bb.556:
	s_mov_b32 s29, 0x7ff80000
	s_brev_b32 s28, 4
	s_xor_b64 s[36:37], exec, -1
; %bb.557:
	s_or_b64 exec, exec, s[0:1]
	s_and_b64 s[0:1], s[36:37], exec
	s_or_saveexec_b64 s[34:35], s[34:35]
	v_pk_mov_b32 v[4:5], s[28:29], s[28:29] op_sel:[0,1]
	s_xor_b64 exec, exec, s[34:35]
	s_cbranch_execnz .LBB70_576
.LBB70_558:
	s_or_b64 exec, exec, s[34:35]
	s_and_saveexec_b64 s[28:29], s[0:1]
	s_cbranch_execz .LBB70_560
.LBB70_559:
	v_and_b32_e32 v5, 0xffff, v6
	v_lshlrev_b32_e32 v4, 24, v6
	v_and_b32_e32 v6, 7, v5
	v_ffbh_u32_e32 v8, v6
	v_min_u32_e32 v8, 32, v8
	v_subrev_u32_e32 v9, 28, v8
	v_bfe_u32 v7, v5, 3, 4
	v_lshlrev_b32_e32 v5, v9, v5
	v_sub_u32_e32 v8, 29, v8
	v_and_b32_e32 v5, 7, v5
	v_cmp_eq_u32_e32 vcc, 0, v7
	v_cndmask_b32_e32 v7, v7, v8, vcc
	v_cndmask_b32_e32 v5, v6, v5, vcc
	v_mov_b32_e32 v6, 0x3b800000
	v_lshlrev_b32_e32 v5, 20, v5
	v_and_b32_e32 v4, 0x80000000, v4
	v_lshl_add_u32 v6, v7, 23, v6
	v_or3_b32 v4, v4, v6, v5
	v_cvt_f64_f32_e32 v[4:5], v4
.LBB70_560:
	s_or_b64 exec, exec, s[28:29]
.LBB70_561:
	s_mov_b64 s[0:1], -1
.LBB70_562:
	s_mov_b64 s[28:29], 0
.LBB70_563:
	s_and_b64 vcc, exec, s[28:29]
	s_cbranch_vccz .LBB70_598
; %bb.564:
	v_mov_b32_e32 v4, 22
	v_cmp_gt_i16_sdwa s[28:29], v20, v4 src0_sel:BYTE_0 src1_sel:DWORD
	s_and_b64 vcc, exec, s[28:29]
	s_cbranch_vccz .LBB70_574
; %bb.565:
	v_mov_b32_e32 v4, 24
	v_cmp_lt_i16_sdwa s[0:1], v20, v4 src0_sel:BYTE_0 src1_sel:DWORD
	s_and_b64 vcc, exec, s[0:1]
	s_cbranch_vccnz .LBB70_577
; %bb.566:
	v_cmp_gt_i16_sdwa s[0:1], v20, v4 src0_sel:BYTE_0 src1_sel:DWORD
	s_and_b64 vcc, exec, s[0:1]
	s_cbranch_vccz .LBB70_578
; %bb.567:
	global_load_ubyte v6, v[2:3], off
	s_movk_i32 s0, 0x7f
                                        ; implicit-def: $sgpr28_sgpr29
	s_waitcnt vmcnt(0)
	v_cmp_lt_i16_e32 vcc, s0, v6
	s_mov_b64 s[0:1], 0
	s_and_saveexec_b64 s[34:35], vcc
	s_xor_b64 s[34:35], exec, s[34:35]
	s_cbranch_execz .LBB70_590
; %bb.568:
	s_movk_i32 s0, 0x80
	v_cmp_eq_u16_e32 vcc, s0, v6
	s_mov_b64 s[36:37], -1
                                        ; implicit-def: $sgpr28_sgpr29
	s_and_saveexec_b64 s[0:1], vcc
; %bb.569:
	s_mov_b32 s29, 0x7ff80000
	s_brev_b32 s28, 4
	s_xor_b64 s[36:37], exec, -1
; %bb.570:
	s_or_b64 exec, exec, s[0:1]
	s_and_b64 s[0:1], s[36:37], exec
	s_or_saveexec_b64 s[34:35], s[34:35]
	v_pk_mov_b32 v[4:5], s[28:29], s[28:29] op_sel:[0,1]
	s_xor_b64 exec, exec, s[34:35]
	s_cbranch_execnz .LBB70_591
.LBB70_571:
	s_or_b64 exec, exec, s[34:35]
	s_and_saveexec_b64 s[28:29], s[0:1]
	s_cbranch_execz .LBB70_573
.LBB70_572:
	v_and_b32_e32 v5, 0xffff, v6
	v_lshlrev_b32_e32 v4, 24, v6
	v_and_b32_e32 v6, 3, v5
	v_ffbh_u32_e32 v8, v6
	v_min_u32_e32 v8, 32, v8
	v_subrev_u32_e32 v9, 29, v8
	v_bfe_u32 v7, v5, 2, 5
	v_lshlrev_b32_e32 v5, v9, v5
	v_sub_u32_e32 v8, 30, v8
	v_and_b32_e32 v5, 3, v5
	v_cmp_eq_u32_e32 vcc, 0, v7
	v_cndmask_b32_e32 v7, v7, v8, vcc
	v_cndmask_b32_e32 v5, v6, v5, vcc
	v_mov_b32_e32 v6, 0x37800000
	v_lshlrev_b32_e32 v5, 21, v5
	v_and_b32_e32 v4, 0x80000000, v4
	v_lshl_add_u32 v6, v7, 23, v6
	v_or3_b32 v4, v4, v6, v5
	v_cvt_f64_f32_e32 v[4:5], v4
.LBB70_573:
	s_or_b64 exec, exec, s[28:29]
	s_mov_b64 s[0:1], 0
	s_branch .LBB70_579
.LBB70_574:
	s_mov_b64 s[28:29], -1
                                        ; implicit-def: $vgpr4_vgpr5
	s_branch .LBB70_585
.LBB70_575:
	s_or_saveexec_b64 s[34:35], s[34:35]
	v_pk_mov_b32 v[4:5], s[28:29], s[28:29] op_sel:[0,1]
	s_xor_b64 exec, exec, s[34:35]
	s_cbranch_execz .LBB70_558
.LBB70_576:
	v_cmp_ne_u16_e32 vcc, 0, v6
	s_andn2_b64 s[0:1], s[0:1], exec
	s_and_b64 s[28:29], vcc, exec
	v_pk_mov_b32 v[4:5], 0, 0
	s_or_b64 s[0:1], s[0:1], s[28:29]
	s_or_b64 exec, exec, s[34:35]
	s_and_saveexec_b64 s[28:29], s[0:1]
	s_cbranch_execnz .LBB70_559
	s_branch .LBB70_560
.LBB70_577:
	s_mov_b64 s[0:1], -1
                                        ; implicit-def: $vgpr4_vgpr5
	s_branch .LBB70_582
.LBB70_578:
	s_mov_b64 s[0:1], -1
                                        ; implicit-def: $vgpr4_vgpr5
.LBB70_579:
	s_and_b64 vcc, exec, s[0:1]
	s_cbranch_vccz .LBB70_581
; %bb.580:
	global_load_ubyte v4, v[2:3], off
	s_mov_b32 s0, 0x7f800000
	s_waitcnt vmcnt(0)
	v_lshlrev_b32_e32 v4, 24, v4
	v_and_b32_e32 v5, 0x7f000000, v4
	v_ffbh_u32_e32 v6, v5
	v_min_u32_e32 v6, 32, v6
	v_sub_u32_e64 v6, v6, 4 clamp
	v_lshlrev_b32_e32 v8, v6, v5
	v_lshlrev_b32_e32 v6, 23, v6
	v_lshrrev_b32_e32 v8, 4, v8
	v_add_u32_e32 v7, 0x1000000, v5
	v_sub_u32_e32 v6, v8, v6
	v_ashrrev_i32_e32 v7, 8, v7
	v_add_u32_e32 v6, 0x3c000000, v6
	v_and_or_b32 v6, v7, s0, v6
	v_cmp_ne_u32_e32 vcc, 0, v5
	v_cndmask_b32_e32 v5, 0, v6, vcc
	s_brev_b32 s0, 1
	v_and_or_b32 v4, v4, s0, v5
	v_cvt_f64_f32_e32 v[4:5], v4
.LBB70_581:
	s_mov_b64 s[0:1], 0
.LBB70_582:
	s_andn2_b64 vcc, exec, s[0:1]
	s_cbranch_vccnz .LBB70_584
; %bb.583:
	global_load_ubyte v4, v[2:3], off
	s_movk_i32 s0, 0x7f00
	s_brev_b32 s1, 16
	s_waitcnt vmcnt(0)
	v_lshlrev_b16_e32 v5, 8, v4
	v_lshlrev_b32_e32 v4, 25, v4
	v_lshrrev_b32_e32 v6, 4, v4
	v_and_or_b32 v7, v5, s0, 0.5
	v_or_b32_e32 v6, 0x70000000, v6
	v_add_f32_e32 v7, -0.5, v7
	v_mul_f32_e32 v6, 0x7800000, v6
	v_cmp_gt_u32_e32 vcc, s1, v4
	v_bfe_i32 v5, v5, 0, 16
	v_cndmask_b32_e32 v4, v6, v7, vcc
	s_brev_b32 s0, 1
	v_and_or_b32 v4, v5, s0, v4
	v_cvt_f64_f32_e32 v[4:5], v4
.LBB70_584:
	s_mov_b64 s[28:29], 0
	s_mov_b64 s[0:1], -1
.LBB70_585:
	s_andn2_b64 vcc, exec, s[28:29]
	s_cbranch_vccnz .LBB70_598
; %bb.586:
	v_mov_b32_e32 v4, 14
	v_cmp_gt_i16_sdwa s[28:29], v20, v4 src0_sel:BYTE_0 src1_sel:DWORD
	s_and_b64 vcc, exec, s[28:29]
	s_cbranch_vccz .LBB70_589
; %bb.587:
	v_mov_b32_e32 v4, 15
	v_cmp_eq_u16_sdwa s[26:27], v20, v4 src0_sel:BYTE_0 src1_sel:DWORD
	s_and_b64 vcc, exec, s[26:27]
	s_cbranch_vccz .LBB70_592
; %bb.588:
	global_load_ushort v4, v[2:3], off
	s_mov_b64 s[0:1], -1
	s_mov_b64 s[26:27], 0
	s_waitcnt vmcnt(0)
	v_lshlrev_b32_e32 v4, 16, v4
	v_cvt_f64_f32_e32 v[4:5], v4
	s_branch .LBB70_593
.LBB70_589:
	s_mov_b64 s[28:29], -1
                                        ; implicit-def: $vgpr4_vgpr5
	s_branch .LBB70_594
.LBB70_590:
	s_or_saveexec_b64 s[34:35], s[34:35]
	v_pk_mov_b32 v[4:5], s[28:29], s[28:29] op_sel:[0,1]
	s_xor_b64 exec, exec, s[34:35]
	s_cbranch_execz .LBB70_571
.LBB70_591:
	v_cmp_ne_u16_e32 vcc, 0, v6
	s_andn2_b64 s[0:1], s[0:1], exec
	s_and_b64 s[28:29], vcc, exec
	v_pk_mov_b32 v[4:5], 0, 0
	s_or_b64 s[0:1], s[0:1], s[28:29]
	s_or_b64 exec, exec, s[34:35]
	s_and_saveexec_b64 s[28:29], s[0:1]
	s_cbranch_execnz .LBB70_572
	s_branch .LBB70_573
.LBB70_592:
	s_mov_b64 s[26:27], -1
                                        ; implicit-def: $vgpr4_vgpr5
.LBB70_593:
	s_mov_b64 s[28:29], 0
.LBB70_594:
	s_and_b64 vcc, exec, s[28:29]
	s_cbranch_vccz .LBB70_598
; %bb.595:
	v_mov_b32_e32 v4, 11
	v_cmp_eq_u16_sdwa s[26:27], v20, v4 src0_sel:BYTE_0 src1_sel:DWORD
	s_and_b64 vcc, exec, s[26:27]
	s_cbranch_vccz .LBB70_597
; %bb.596:
	global_load_ubyte v4, v[2:3], off
	v_mov_b32_e32 v5, 0x3ff00000
	s_mov_b64 s[0:1], -1
	s_mov_b64 s[26:27], 0
	s_waitcnt vmcnt(0)
	v_cmp_ne_u16_e32 vcc, 0, v4
	v_cndmask_b32_e32 v5, 0, v5, vcc
	s_branch .LBB70_598
.LBB70_597:
	s_mov_b64 s[26:27], -1
                                        ; implicit-def: $vgpr4_vgpr5
.LBB70_598:
	s_mov_b64 s[28:29], 0
.LBB70_599:
	s_and_b64 vcc, exec, s[28:29]
	s_cbranch_vccz .LBB70_648
; %bb.600:
	v_mov_b32_e32 v4, 5
	v_cmp_lt_i16_sdwa s[0:1], v20, v4 src0_sel:BYTE_0 src1_sel:DWORD
	s_and_b64 vcc, exec, s[0:1]
	s_cbranch_vccnz .LBB70_605
; %bb.601:
	v_mov_b32_e32 v4, 8
	v_cmp_lt_i16_sdwa s[0:1], v20, v4 src0_sel:BYTE_0 src1_sel:DWORD
	s_and_b64 vcc, exec, s[0:1]
	s_cbranch_vccnz .LBB70_606
	;; [unrolled: 5-line block ×3, first 2 shown]
; %bb.603:
	v_cmp_gt_i16_sdwa s[0:1], v20, v4 src0_sel:BYTE_0 src1_sel:DWORD
	s_and_b64 vcc, exec, s[0:1]
	s_cbranch_vccz .LBB70_608
; %bb.604:
	global_load_dwordx2 v[4:5], v[2:3], off
	s_mov_b64 s[0:1], 0
	s_branch .LBB70_609
.LBB70_605:
	s_mov_b64 s[0:1], -1
                                        ; implicit-def: $vgpr4_vgpr5
	s_branch .LBB70_627
.LBB70_606:
	s_mov_b64 s[0:1], -1
                                        ; implicit-def: $vgpr4_vgpr5
	s_branch .LBB70_615
.LBB70_607:
	s_mov_b64 s[0:1], -1
                                        ; implicit-def: $vgpr4_vgpr5
	s_branch .LBB70_612
.LBB70_608:
	s_mov_b64 s[0:1], -1
                                        ; implicit-def: $vgpr4_vgpr5
.LBB70_609:
	s_andn2_b64 vcc, exec, s[0:1]
	s_cbranch_vccnz .LBB70_611
; %bb.610:
	global_load_dword v4, v[2:3], off
	s_waitcnt vmcnt(0)
	v_cvt_f64_f32_e32 v[4:5], v4
.LBB70_611:
	s_mov_b64 s[0:1], 0
.LBB70_612:
	s_andn2_b64 vcc, exec, s[0:1]
	s_cbranch_vccnz .LBB70_614
; %bb.613:
	global_load_dword v4, v[2:3], off
	s_waitcnt vmcnt(0)
	v_cvt_f32_f16_e32 v4, v4
	v_cvt_f64_f32_e32 v[4:5], v4
.LBB70_614:
	s_mov_b64 s[0:1], 0
.LBB70_615:
	s_andn2_b64 vcc, exec, s[0:1]
	s_cbranch_vccnz .LBB70_626
; %bb.616:
	s_waitcnt vmcnt(0)
	v_mov_b32_e32 v4, 6
	v_cmp_lt_i16_sdwa s[0:1], v20, v4 src0_sel:BYTE_0 src1_sel:DWORD
	s_and_b64 vcc, exec, s[0:1]
	s_cbranch_vccnz .LBB70_619
; %bb.617:
	v_cmp_gt_i16_sdwa s[0:1], v20, v4 src0_sel:BYTE_0 src1_sel:DWORD
	s_and_b64 vcc, exec, s[0:1]
	s_cbranch_vccz .LBB70_620
; %bb.618:
	global_load_dwordx2 v[4:5], v[2:3], off
	s_mov_b64 s[0:1], 0
	s_branch .LBB70_621
.LBB70_619:
	s_mov_b64 s[0:1], -1
                                        ; implicit-def: $vgpr4_vgpr5
	s_branch .LBB70_624
.LBB70_620:
	s_mov_b64 s[0:1], -1
                                        ; implicit-def: $vgpr4_vgpr5
.LBB70_621:
	s_andn2_b64 vcc, exec, s[0:1]
	s_cbranch_vccnz .LBB70_623
; %bb.622:
	global_load_dword v4, v[2:3], off
	s_waitcnt vmcnt(0)
	v_cvt_f64_f32_e32 v[4:5], v4
.LBB70_623:
	s_mov_b64 s[0:1], 0
.LBB70_624:
	s_andn2_b64 vcc, exec, s[0:1]
	s_cbranch_vccnz .LBB70_626
; %bb.625:
	global_load_ushort v4, v[2:3], off
	s_waitcnt vmcnt(0)
	v_cvt_f32_f16_e32 v4, v4
	v_cvt_f64_f32_e32 v[4:5], v4
.LBB70_626:
	s_mov_b64 s[0:1], 0
.LBB70_627:
	s_andn2_b64 vcc, exec, s[0:1]
	s_cbranch_vccnz .LBB70_647
; %bb.628:
	s_waitcnt vmcnt(0)
	v_mov_b32_e32 v4, 2
	v_cmp_lt_i16_sdwa s[0:1], v20, v4 src0_sel:BYTE_0 src1_sel:DWORD
	s_and_b64 vcc, exec, s[0:1]
	s_cbranch_vccnz .LBB70_632
; %bb.629:
	v_mov_b32_e32 v4, 3
	v_cmp_lt_i16_sdwa s[0:1], v20, v4 src0_sel:BYTE_0 src1_sel:DWORD
	s_and_b64 vcc, exec, s[0:1]
	s_cbranch_vccnz .LBB70_633
; %bb.630:
	v_cmp_gt_i16_sdwa s[0:1], v20, v4 src0_sel:BYTE_0 src1_sel:DWORD
	s_and_b64 vcc, exec, s[0:1]
	s_cbranch_vccz .LBB70_634
; %bb.631:
	global_load_dwordx2 v[4:5], v[2:3], off
	s_mov_b64 s[0:1], 0
	s_waitcnt vmcnt(0)
	v_cvt_f64_i32_e32 v[6:7], v5
	v_cvt_f64_u32_e32 v[4:5], v4
	v_ldexp_f64 v[6:7], v[6:7], 32
	v_add_f64 v[4:5], v[6:7], v[4:5]
	s_branch .LBB70_635
.LBB70_632:
	s_mov_b64 s[0:1], -1
                                        ; implicit-def: $vgpr4_vgpr5
	s_branch .LBB70_641
.LBB70_633:
	s_mov_b64 s[0:1], -1
                                        ; implicit-def: $vgpr4_vgpr5
	s_branch .LBB70_638
.LBB70_634:
	s_mov_b64 s[0:1], -1
                                        ; implicit-def: $vgpr4_vgpr5
.LBB70_635:
	s_andn2_b64 vcc, exec, s[0:1]
	s_cbranch_vccnz .LBB70_637
; %bb.636:
	global_load_dword v4, v[2:3], off
	s_waitcnt vmcnt(0)
	v_cvt_f64_i32_e32 v[4:5], v4
.LBB70_637:
	s_mov_b64 s[0:1], 0
.LBB70_638:
	s_andn2_b64 vcc, exec, s[0:1]
	s_cbranch_vccnz .LBB70_640
; %bb.639:
	global_load_sshort v4, v[2:3], off
	s_waitcnt vmcnt(0)
	v_cvt_f64_i32_e32 v[4:5], v4
.LBB70_640:
	s_mov_b64 s[0:1], 0
.LBB70_641:
	s_andn2_b64 vcc, exec, s[0:1]
	s_cbranch_vccnz .LBB70_647
; %bb.642:
	v_mov_b32_e32 v4, 0
	v_cmp_gt_i16_sdwa s[0:1], v20, v4 src0_sel:BYTE_0 src1_sel:DWORD
	s_and_b64 vcc, exec, s[0:1]
	s_cbranch_vccz .LBB70_644
; %bb.643:
	global_load_sbyte v4, v[2:3], off
	s_mov_b64 s[0:1], 0
	s_waitcnt vmcnt(0)
	v_cvt_f64_i32_e32 v[4:5], v4
	s_branch .LBB70_645
.LBB70_644:
	s_mov_b64 s[0:1], -1
                                        ; implicit-def: $vgpr4_vgpr5
.LBB70_645:
	s_andn2_b64 vcc, exec, s[0:1]
	s_cbranch_vccnz .LBB70_647
; %bb.646:
	global_load_ubyte v2, v[2:3], off
	s_waitcnt vmcnt(0)
	v_cvt_f64_u32_e32 v[4:5], v2
.LBB70_647:
	s_mov_b64 s[0:1], -1
.LBB70_648:
	s_andn2_b64 vcc, exec, s[0:1]
	s_cbranch_vccnz .LBB70_656
; %bb.649:
	s_brev_b32 s0, -2
	v_mul_lo_u32 v2, v19, s12
	s_waitcnt vmcnt(0)
	v_bfi_b32 v1, s0, v1, v5
	v_ashrrev_i32_e32 v3, 31, v2
	v_mov_b32_e32 v5, s9
	v_add_co_u32_e32 v4, vcc, s8, v2
	v_mov_b32_e32 v2, 11
	v_addc_co_u32_e32 v5, vcc, v5, v3, vcc
	v_cmp_lt_i16_sdwa s[0:1], v18, v2 src0_sel:BYTE_0 src1_sel:DWORD
	s_and_b64 vcc, exec, s[0:1]
	s_cbranch_vccnz .LBB70_657
; %bb.650:
	v_mov_b32_e32 v2, 25
	v_cmp_gt_i16_sdwa s[0:1], v18, v2 src0_sel:BYTE_0 src1_sel:DWORD
	s_and_b64 vcc, exec, s[0:1]
	s_cbranch_vccz .LBB70_658
; %bb.651:
	v_mov_b32_e32 v2, 28
	v_cmp_gt_i16_sdwa s[0:1], v18, v2 src0_sel:BYTE_0 src1_sel:DWORD
	s_and_b64 vcc, exec, s[0:1]
	s_cbranch_vccz .LBB70_659
	;; [unrolled: 5-line block ×4, first 2 shown]
; %bb.654:
	v_mov_b32_e32 v2, 46
	v_cmp_eq_u16_sdwa s[28:29], v18, v2 src0_sel:BYTE_0 src1_sel:DWORD
	s_mov_b64 s[34:35], 0
	s_mov_b64 s[0:1], -1
	s_and_b64 vcc, exec, s[28:29]
	s_mov_b64 s[28:29], 0
	s_cbranch_vccz .LBB70_662
; %bb.655:
	v_cvt_f32_f64_e32 v2, v[0:1]
	v_bfe_u32 v3, v2, 16, 1
	s_movk_i32 s0, 0x7fff
	v_add3_u32 v3, v2, v3, s0
	v_lshrrev_b32_e32 v3, 16, v3
	v_mov_b32_e32 v6, 0x7fc0
	v_cmp_o_f32_e32 vcc, v2, v2
	v_cndmask_b32_e32 v2, v6, v3, vcc
	global_store_dword v[4:5], v2, off
	s_mov_b64 s[28:29], -1
	s_mov_b64 s[0:1], 0
	s_branch .LBB70_662
.LBB70_656:
	s_mov_b64 s[34:35], 0
                                        ; implicit-def: $vgpr19
	s_mov_b64 s[0:1], s[6:7]
	s_branch .LBB70_772
.LBB70_657:
	s_mov_b64 s[34:35], -1
	s_mov_b64 s[28:29], 0
	s_mov_b64 s[0:1], s[6:7]
	s_branch .LBB70_731
.LBB70_658:
	s_mov_b64 s[34:35], -1
	s_mov_b64 s[28:29], 0
	s_mov_b64 s[0:1], s[6:7]
	s_branch .LBB70_689
.LBB70_659:
	s_mov_b64 s[34:35], -1
	s_mov_b64 s[28:29], 0
	s_mov_b64 s[0:1], s[6:7]
	s_branch .LBB70_672
.LBB70_660:
	s_mov_b64 s[34:35], -1
	s_mov_b64 s[28:29], 0
	s_mov_b64 s[0:1], s[6:7]
	s_branch .LBB70_668
.LBB70_661:
	s_mov_b64 s[34:35], -1
	s_mov_b64 s[28:29], 0
	s_mov_b64 s[0:1], s[6:7]
.LBB70_662:
	s_and_b64 vcc, exec, s[34:35]
	s_cbranch_vccz .LBB70_667
; %bb.663:
	v_mov_b32_e32 v2, 44
	v_cmp_eq_u16_sdwa s[34:35], v18, v2 src0_sel:BYTE_0 src1_sel:DWORD
	s_mov_b64 s[0:1], -1
	s_and_b64 vcc, exec, s[34:35]
	s_cbranch_vccz .LBB70_667
; %bb.664:
	v_cvt_f32_f64_e32 v2, v[0:1]
	v_bfe_u32 v3, v2, 23, 8
	s_movk_i32 s0, 0xff
	v_cmp_ne_u32_e32 vcc, s0, v3
	v_mov_b32_e32 v6, 0xff
	s_and_saveexec_b64 s[28:29], vcc
; %bb.665:
	s_mov_b32 s0, 0x3fffff
	v_lshrrev_b32_e32 v6, 23, v2
	v_and_b32_e32 v7, 0x400000, v2
	v_and_or_b32 v2, v2, s0, v3
	v_cmp_ne_u32_e32 vcc, 0, v7
	v_cmp_ne_u32_e64 s[0:1], 0, v2
	s_and_b64 s[0:1], vcc, s[0:1]
	v_cndmask_b32_e64 v2, 0, 1, s[0:1]
	v_add_u32_e32 v6, v6, v2
; %bb.666:
	s_or_b64 exec, exec, s[28:29]
	s_mov_b64 s[28:29], -1
	s_mov_b64 s[0:1], 0
	global_store_byte v[4:5], v6, off
.LBB70_667:
	s_mov_b64 s[34:35], 0
.LBB70_668:
	s_and_b64 vcc, exec, s[34:35]
	s_cbranch_vccz .LBB70_671
; %bb.669:
	v_mov_b32_e32 v2, 29
	v_cmp_eq_u16_sdwa s[34:35], v18, v2 src0_sel:BYTE_0 src1_sel:DWORD
	s_mov_b64 s[0:1], -1
	s_and_b64 vcc, exec, s[34:35]
	s_cbranch_vccz .LBB70_671
; %bb.670:
	v_trunc_f64_e32 v[2:3], v[0:1]
	s_movk_i32 s0, 0xffe0
	v_ldexp_f64 v[6:7], v[2:3], s0
	v_floor_f64_e32 v[6:7], v[6:7]
	v_fmac_f64_e32 v[2:3], 0xc1f00000, v[6:7]
	v_cvt_u32_f64_e32 v9, v[6:7]
	v_cvt_u32_f64_e32 v8, v[2:3]
	global_store_dwordx2 v[4:5], v[8:9], off
	s_mov_b64 s[28:29], -1
	s_mov_b64 s[0:1], 0
.LBB70_671:
	s_mov_b64 s[34:35], 0
.LBB70_672:
	s_and_b64 vcc, exec, s[34:35]
	s_cbranch_vccz .LBB70_688
; %bb.673:
	v_mov_b32_e32 v2, 27
	v_cmp_lt_i16_sdwa s[34:35], v18, v2 src0_sel:BYTE_0 src1_sel:DWORD
	s_mov_b64 s[28:29], -1
	s_and_b64 vcc, exec, s[34:35]
	s_cbranch_vccnz .LBB70_679
; %bb.674:
	v_cmp_gt_i16_sdwa s[34:35], v18, v2 src0_sel:BYTE_0 src1_sel:DWORD
	s_and_b64 vcc, exec, s[34:35]
	v_cvt_u32_f64_e32 v2, v[0:1]
	s_cbranch_vccz .LBB70_676
; %bb.675:
	s_mov_b64 s[28:29], 0
	global_store_dword v[4:5], v2, off
.LBB70_676:
	s_andn2_b64 vcc, exec, s[28:29]
	s_cbranch_vccnz .LBB70_678
; %bb.677:
	global_store_short v[4:5], v2, off
.LBB70_678:
	s_mov_b64 s[28:29], 0
.LBB70_679:
	s_andn2_b64 vcc, exec, s[28:29]
	s_cbranch_vccnz .LBB70_687
; %bb.680:
	v_cvt_f32_f64_e32 v2, v[0:1]
	v_and_b32_e32 v3, 0x7fffffff, v2
	s_mov_b32 s15, 0x43800000
	v_cmp_gt_u32_e32 vcc, s15, v3
	v_mov_b32_e32 v6, 0x80
	s_and_saveexec_b64 s[28:29], vcc
	s_cbranch_execz .LBB70_686
; %bb.681:
	s_mov_b32 s15, 0x3bffffff
	v_cmp_lt_u32_e32 vcc, s15, v3
	s_mov_b64 s[34:35], 0
                                        ; implicit-def: $vgpr3
	s_and_saveexec_b64 s[36:37], vcc
	s_xor_b64 s[36:37], exec, s[36:37]
	s_cbranch_execz .LBB70_788
; %bb.682:
	v_bfe_u32 v3, v2, 20, 1
	s_mov_b32 s15, 0x487ffff
	v_add3_u32 v3, v2, v3, s15
	s_mov_b64 s[34:35], exec
	v_lshrrev_b32_e32 v3, 20, v3
	s_or_saveexec_b64 s[36:37], s[36:37]
                                        ; implicit-def: $sgpr15
	s_xor_b64 exec, exec, s[36:37]
	s_cbranch_execnz .LBB70_789
.LBB70_683:
	s_or_b64 exec, exec, s[36:37]
	v_mov_b32_e32 v6, s15
	s_and_saveexec_b64 s[36:37], s[34:35]
.LBB70_684:
	v_lshrrev_b32_e32 v2, 24, v2
	s_movk_i32 s15, 0x80
	v_and_or_b32 v6, v2, s15, v3
.LBB70_685:
	s_or_b64 exec, exec, s[36:37]
.LBB70_686:
	s_or_b64 exec, exec, s[28:29]
	global_store_byte v[4:5], v6, off
.LBB70_687:
	s_mov_b64 s[28:29], -1
.LBB70_688:
	s_mov_b64 s[34:35], 0
.LBB70_689:
	s_and_b64 vcc, exec, s[34:35]
	s_cbranch_vccz .LBB70_730
; %bb.690:
	v_mov_b32_e32 v2, 22
	v_cmp_gt_i16_sdwa s[36:37], v18, v2 src0_sel:BYTE_0 src1_sel:DWORD
	s_mov_b64 s[34:35], -1
	s_and_b64 vcc, exec, s[36:37]
	s_cbranch_vccz .LBB70_722
; %bb.691:
	v_mov_b32_e32 v2, 24
	v_cmp_lt_i16_sdwa s[34:35], v18, v2 src0_sel:BYTE_0 src1_sel:DWORD
	s_mov_b64 s[28:29], -1
	s_and_b64 vcc, exec, s[34:35]
	s_cbranch_vccnz .LBB70_711
; %bb.692:
	v_cmp_gt_i16_sdwa s[34:35], v18, v2 src0_sel:BYTE_0 src1_sel:DWORD
	s_and_b64 vcc, exec, s[34:35]
	s_cbranch_vccz .LBB70_700
; %bb.693:
	v_cvt_f32_f64_e32 v2, v[0:1]
	v_and_b32_e32 v3, 0x7fffffff, v2
	s_mov_b32 s15, 0x47800000
	v_cmp_gt_u32_e32 vcc, s15, v3
	v_mov_b32_e32 v6, 0x80
	s_and_saveexec_b64 s[28:29], vcc
	s_cbranch_execz .LBB70_699
; %bb.694:
	s_mov_b32 s15, 0x37ffffff
	v_cmp_lt_u32_e32 vcc, s15, v3
	s_mov_b64 s[34:35], 0
                                        ; implicit-def: $vgpr3
	s_and_saveexec_b64 s[36:37], vcc
	s_xor_b64 s[36:37], exec, s[36:37]
	s_cbranch_execz .LBB70_920
; %bb.695:
	v_bfe_u32 v3, v2, 21, 1
	s_mov_b32 s15, 0x88fffff
	v_add3_u32 v3, v2, v3, s15
	s_mov_b64 s[34:35], exec
	v_lshrrev_b32_e32 v3, 21, v3
	s_or_saveexec_b64 s[36:37], s[36:37]
                                        ; implicit-def: $sgpr15
	s_xor_b64 exec, exec, s[36:37]
	s_cbranch_execnz .LBB70_921
.LBB70_696:
	s_or_b64 exec, exec, s[36:37]
	v_mov_b32_e32 v6, s15
	s_and_saveexec_b64 s[36:37], s[34:35]
.LBB70_697:
	v_lshrrev_b32_e32 v2, 24, v2
	s_movk_i32 s15, 0x80
	v_and_or_b32 v6, v2, s15, v3
.LBB70_698:
	s_or_b64 exec, exec, s[36:37]
.LBB70_699:
	s_or_b64 exec, exec, s[28:29]
	s_mov_b64 s[28:29], 0
	global_store_byte v[4:5], v6, off
.LBB70_700:
	s_and_b64 vcc, exec, s[28:29]
	s_cbranch_vccz .LBB70_710
; %bb.701:
	v_cvt_f32_f64_e32 v2, v[0:1]
	v_and_b32_e32 v6, 0x7fffffff, v2
	s_mov_b32 s15, 0x43f00000
	v_cmp_gt_u32_e32 vcc, s15, v6
                                        ; implicit-def: $vgpr3
	s_and_saveexec_b64 s[28:29], vcc
	s_xor_b64 s[28:29], exec, s[28:29]
	s_cbranch_execz .LBB70_707
; %bb.702:
	s_mov_b32 s15, 0x3c7fffff
	v_cmp_lt_u32_e32 vcc, s15, v6
                                        ; implicit-def: $vgpr3
	s_and_saveexec_b64 s[34:35], vcc
	s_xor_b64 s[34:35], exec, s[34:35]
; %bb.703:
	v_bfe_u32 v3, v2, 20, 1
	s_mov_b32 s15, 0x407ffff
	v_add3_u32 v3, v2, v3, s15
	v_lshrrev_b32_e32 v6, 20, v3
	v_and_b32_e32 v3, 0xff00000, v3
	s_mov_b32 s15, 0x7f00000
	v_mov_b32_e32 v7, 0x7e
	v_cmp_ne_u32_e32 vcc, s15, v3
	v_cndmask_b32_e32 v3, v7, v6, vcc
; %bb.704:
	s_andn2_saveexec_b64 s[34:35], s[34:35]
; %bb.705:
	s_mov_b32 s15, 0x46800000
	v_add_f32_e64 v3, |v2|, s15
; %bb.706:
	s_or_b64 exec, exec, s[34:35]
                                        ; implicit-def: $vgpr6
.LBB70_707:
	s_andn2_saveexec_b64 s[28:29], s[28:29]
; %bb.708:
	s_mov_b32 s15, 0x7f800000
	v_mov_b32_e32 v3, 0x7e
	v_mov_b32_e32 v7, 0x7f
	v_cmp_lt_u32_e32 vcc, s15, v6
	v_cndmask_b32_e32 v3, v3, v7, vcc
; %bb.709:
	s_or_b64 exec, exec, s[28:29]
	v_lshrrev_b32_e32 v2, 24, v2
	s_movk_i32 s15, 0x80
	v_and_or_b32 v2, v2, s15, v3
	global_store_byte v[4:5], v2, off
.LBB70_710:
	s_mov_b64 s[28:29], 0
.LBB70_711:
	s_andn2_b64 vcc, exec, s[28:29]
	s_cbranch_vccnz .LBB70_721
; %bb.712:
	v_cvt_f32_f64_e32 v2, v[0:1]
	v_and_b32_e32 v6, 0x7fffffff, v2
	s_mov_b32 s15, 0x47800000
	v_cmp_gt_u32_e32 vcc, s15, v6
                                        ; implicit-def: $vgpr3
	s_and_saveexec_b64 s[28:29], vcc
	s_xor_b64 s[28:29], exec, s[28:29]
	s_cbranch_execz .LBB70_718
; %bb.713:
	s_mov_b32 s15, 0x387fffff
	v_cmp_lt_u32_e32 vcc, s15, v6
                                        ; implicit-def: $vgpr3
	s_and_saveexec_b64 s[34:35], vcc
	s_xor_b64 s[34:35], exec, s[34:35]
; %bb.714:
	v_bfe_u32 v3, v2, 21, 1
	s_mov_b32 s15, 0x80fffff
	v_add3_u32 v3, v2, v3, s15
	v_lshrrev_b32_e32 v3, 21, v3
; %bb.715:
	s_andn2_saveexec_b64 s[34:35], s[34:35]
; %bb.716:
	s_mov_b32 s15, 0x43000000
	v_add_f32_e64 v3, |v2|, s15
; %bb.717:
	s_or_b64 exec, exec, s[34:35]
                                        ; implicit-def: $vgpr6
.LBB70_718:
	s_andn2_saveexec_b64 s[28:29], s[28:29]
; %bb.719:
	s_mov_b32 s15, 0x7f800000
	v_mov_b32_e32 v3, 0x7c
	v_mov_b32_e32 v7, 0x7f
	v_cmp_lt_u32_e32 vcc, s15, v6
	v_cndmask_b32_e32 v3, v3, v7, vcc
; %bb.720:
	s_or_b64 exec, exec, s[28:29]
	v_lshrrev_b32_e32 v2, 24, v2
	s_movk_i32 s15, 0x80
	v_and_or_b32 v2, v2, s15, v3
	global_store_byte v[4:5], v2, off
.LBB70_721:
	s_mov_b64 s[34:35], 0
	s_mov_b64 s[28:29], -1
.LBB70_722:
	s_andn2_b64 vcc, exec, s[34:35]
	s_cbranch_vccnz .LBB70_730
; %bb.723:
	v_mov_b32_e32 v2, 14
	v_cmp_gt_i16_sdwa s[36:37], v18, v2 src0_sel:BYTE_0 src1_sel:DWORD
	s_mov_b64 s[34:35], -1
	s_and_b64 vcc, exec, s[36:37]
	s_cbranch_vccz .LBB70_727
; %bb.724:
	v_mov_b32_e32 v2, 15
	v_cmp_eq_u16_sdwa s[34:35], v18, v2 src0_sel:BYTE_0 src1_sel:DWORD
	s_mov_b64 s[0:1], -1
	s_and_b64 vcc, exec, s[34:35]
	s_cbranch_vccz .LBB70_726
; %bb.725:
	v_cvt_f32_f64_e32 v2, v[0:1]
	v_bfe_u32 v3, v2, 16, 1
	s_movk_i32 s0, 0x7fff
	v_add3_u32 v3, v2, v3, s0
	v_lshrrev_b32_e32 v3, 16, v3
	v_mov_b32_e32 v6, 0x7fc0
	v_cmp_o_f32_e32 vcc, v2, v2
	v_cndmask_b32_e32 v2, v6, v3, vcc
	global_store_short v[4:5], v2, off
	s_mov_b64 s[28:29], -1
	s_mov_b64 s[0:1], 0
.LBB70_726:
	s_mov_b64 s[34:35], 0
.LBB70_727:
	s_and_b64 vcc, exec, s[34:35]
	s_cbranch_vccz .LBB70_730
; %bb.728:
	v_mov_b32_e32 v2, 11
	v_cmp_eq_u16_sdwa s[34:35], v18, v2 src0_sel:BYTE_0 src1_sel:DWORD
	s_mov_b64 s[0:1], -1
	s_and_b64 vcc, exec, s[34:35]
	s_cbranch_vccz .LBB70_730
; %bb.729:
	v_cmp_neq_f64_e32 vcc, 0, v[0:1]
	s_mov_b64 s[0:1], 0
	v_cndmask_b32_e64 v2, 0, 1, vcc
	s_mov_b64 s[28:29], -1
	global_store_byte v[4:5], v2, off
.LBB70_730:
	s_mov_b64 s[34:35], 0
.LBB70_731:
	s_and_b64 vcc, exec, s[34:35]
	s_cbranch_vccz .LBB70_770
; %bb.732:
	v_mov_b32_e32 v2, 5
	v_cmp_lt_i16_sdwa s[34:35], v18, v2 src0_sel:BYTE_0 src1_sel:DWORD
	s_mov_b64 s[28:29], -1
	s_and_b64 vcc, exec, s[34:35]
	s_cbranch_vccnz .LBB70_753
; %bb.733:
	v_mov_b32_e32 v2, 8
	v_cmp_lt_i16_sdwa s[34:35], v18, v2 src0_sel:BYTE_0 src1_sel:DWORD
	s_and_b64 vcc, exec, s[34:35]
	s_cbranch_vccnz .LBB70_743
; %bb.734:
	v_mov_b32_e32 v2, 9
	v_cmp_lt_i16_sdwa s[34:35], v18, v2 src0_sel:BYTE_0 src1_sel:DWORD
	s_and_b64 vcc, exec, s[34:35]
	s_cbranch_vccnz .LBB70_740
; %bb.735:
	v_cmp_gt_i16_sdwa s[34:35], v18, v2 src0_sel:BYTE_0 src1_sel:DWORD
	s_and_b64 vcc, exec, s[34:35]
	s_cbranch_vccz .LBB70_737
; %bb.736:
	v_mov_b32_e32 v2, 0
	v_mov_b32_e32 v3, v2
	s_mov_b64 s[28:29], 0
	global_store_dwordx4 v[4:5], v[0:3], off
.LBB70_737:
	s_andn2_b64 vcc, exec, s[28:29]
	s_cbranch_vccnz .LBB70_739
; %bb.738:
	v_cvt_f32_f64_e32 v2, v[0:1]
	v_mov_b32_e32 v3, 0
	global_store_dwordx2 v[4:5], v[2:3], off
.LBB70_739:
	s_mov_b64 s[28:29], 0
.LBB70_740:
	s_andn2_b64 vcc, exec, s[28:29]
	s_cbranch_vccnz .LBB70_742
; %bb.741:
	v_cvt_f32_f64_e32 v2, v[0:1]
	v_cvt_f16_f32_e32 v2, v2
	global_store_dword v[4:5], v2, off
.LBB70_742:
	s_mov_b64 s[28:29], 0
.LBB70_743:
	s_andn2_b64 vcc, exec, s[28:29]
	s_cbranch_vccnz .LBB70_752
; %bb.744:
	v_mov_b32_e32 v2, 6
	v_cmp_lt_i16_sdwa s[34:35], v18, v2 src0_sel:BYTE_0 src1_sel:DWORD
	s_mov_b64 s[28:29], -1
	s_and_b64 vcc, exec, s[34:35]
	s_cbranch_vccnz .LBB70_750
; %bb.745:
	v_cmp_gt_i16_sdwa s[34:35], v18, v2 src0_sel:BYTE_0 src1_sel:DWORD
	s_and_b64 vcc, exec, s[34:35]
	s_cbranch_vccz .LBB70_747
; %bb.746:
	s_mov_b64 s[28:29], 0
	global_store_dwordx2 v[4:5], v[0:1], off
.LBB70_747:
	s_andn2_b64 vcc, exec, s[28:29]
	s_cbranch_vccnz .LBB70_749
; %bb.748:
	v_cvt_f32_f64_e32 v2, v[0:1]
	global_store_dword v[4:5], v2, off
.LBB70_749:
	s_mov_b64 s[28:29], 0
.LBB70_750:
	s_andn2_b64 vcc, exec, s[28:29]
	s_cbranch_vccnz .LBB70_752
; %bb.751:
	v_cvt_f32_f64_e32 v2, v[0:1]
	v_cvt_f16_f32_e32 v2, v2
	global_store_short v[4:5], v2, off
.LBB70_752:
	s_mov_b64 s[28:29], 0
.LBB70_753:
	s_andn2_b64 vcc, exec, s[28:29]
	s_cbranch_vccnz .LBB70_769
; %bb.754:
	v_mov_b32_e32 v2, 2
	v_cmp_lt_i16_sdwa s[34:35], v18, v2 src0_sel:BYTE_0 src1_sel:DWORD
	s_mov_b64 s[28:29], -1
	s_and_b64 vcc, exec, s[34:35]
	s_cbranch_vccnz .LBB70_764
; %bb.755:
	v_mov_b32_e32 v2, 3
	v_cmp_lt_i16_sdwa s[34:35], v18, v2 src0_sel:BYTE_0 src1_sel:DWORD
	s_and_b64 vcc, exec, s[34:35]
	s_cbranch_vccnz .LBB70_761
; %bb.756:
	v_cmp_gt_i16_sdwa s[34:35], v18, v2 src0_sel:BYTE_0 src1_sel:DWORD
	s_and_b64 vcc, exec, s[34:35]
	s_cbranch_vccz .LBB70_758
; %bb.757:
	v_trunc_f64_e32 v[2:3], v[0:1]
	s_movk_i32 s15, 0xffe0
	v_ldexp_f64 v[6:7], v[2:3], s15
	v_floor_f64_e32 v[6:7], v[6:7]
	v_fmac_f64_e32 v[2:3], 0xc1f00000, v[6:7]
	v_cvt_i32_f64_e32 v9, v[6:7]
	v_cvt_u32_f64_e32 v8, v[2:3]
	s_mov_b64 s[28:29], 0
	global_store_dwordx2 v[4:5], v[8:9], off
.LBB70_758:
	s_andn2_b64 vcc, exec, s[28:29]
	s_cbranch_vccnz .LBB70_760
; %bb.759:
	v_cvt_i32_f64_e32 v2, v[0:1]
	global_store_dword v[4:5], v2, off
.LBB70_760:
	s_mov_b64 s[28:29], 0
.LBB70_761:
	s_andn2_b64 vcc, exec, s[28:29]
	s_cbranch_vccnz .LBB70_763
; %bb.762:
	v_cvt_i32_f64_e32 v2, v[0:1]
	global_store_short v[4:5], v2, off
.LBB70_763:
	s_mov_b64 s[28:29], 0
.LBB70_764:
	s_andn2_b64 vcc, exec, s[28:29]
	s_cbranch_vccnz .LBB70_769
; %bb.765:
	v_mov_b32_e32 v2, 0
	v_cmp_gt_i16_sdwa s[34:35], v18, v2 src0_sel:BYTE_0 src1_sel:DWORD
	s_mov_b64 s[28:29], -1
	s_and_b64 vcc, exec, s[34:35]
	s_cbranch_vccz .LBB70_767
; %bb.766:
	v_cvt_i32_f64_e32 v2, v[0:1]
	s_mov_b64 s[28:29], 0
	global_store_byte v[4:5], v2, off
.LBB70_767:
	s_andn2_b64 vcc, exec, s[28:29]
	s_cbranch_vccnz .LBB70_769
; %bb.768:
	v_trunc_f64_e32 v[0:1], v[0:1]
	s_movk_i32 s15, 0xffe0
	v_ldexp_f64 v[2:3], v[0:1], s15
	v_floor_f64_e32 v[2:3], v[2:3]
	v_fmac_f64_e32 v[0:1], 0xc1f00000, v[2:3]
	v_cvt_u32_f64_e32 v0, v[0:1]
	global_store_byte v[4:5], v0, off
.LBB70_769:
	s_mov_b64 s[28:29], -1
.LBB70_770:
	s_andn2_b64 vcc, exec, s[28:29]
	s_cbranch_vccnz .LBB70_783
; %bb.771:
	v_add_u32_e32 v19, 0x80, v19
	s_mov_b64 s[34:35], -1
.LBB70_772:
	s_andn2_b64 s[28:29], s[6:7], exec
	s_and_b64 s[0:1], s[0:1], exec
	s_or_b64 s[28:29], s[28:29], s[0:1]
	s_andn2_b64 s[0:1], s[18:19], exec
	s_and_b64 s[26:27], s[26:27], exec
	s_or_b64 s[26:27], s[0:1], s[26:27]
	;; [unrolled: 3-line block ×3, first 2 shown]
	s_orn2_b64 s[0:1], s[34:35], exec
.LBB70_773:
	s_or_b64 exec, exec, s[30:31]
	s_mov_b64 s[34:35], 0
	s_mov_b64 s[36:37], 0
	;; [unrolled: 1-line block ×3, first 2 shown]
                                        ; implicit-def: $vgpr4
                                        ; implicit-def: $vgpr2_vgpr3
                                        ; implicit-def: $vgpr0_vgpr1
	s_and_saveexec_b64 s[30:31], s[0:1]
	s_cbranch_execz .LBB70_1247
; %bb.774:
	v_cmp_gt_i32_e32 vcc, s33, v19
	s_mov_b64 s[46:47], -1
	s_mov_b64 s[0:1], s[24:25]
	s_mov_b64 s[38:39], s[26:27]
	;; [unrolled: 1-line block ×3, first 2 shown]
	s_and_saveexec_b64 s[34:35], vcc
	s_cbranch_execz .LBB70_1162
; %bb.775:
	s_waitcnt vmcnt(0)
	v_mul_lo_u32 v0, v19, s13
	v_ashrrev_i32_e32 v1, 31, v0
	v_mov_b32_e32 v3, s11
	v_add_co_u32_e32 v2, vcc, s10, v0
	v_mov_b32_e32 v0, 11
	v_addc_co_u32_e32 v3, vcc, v3, v1, vcc
	v_cmp_lt_i16_sdwa s[0:1], v16, v0 src0_sel:BYTE_0 src1_sel:DWORD
	s_and_b64 vcc, exec, s[0:1]
	s_cbranch_vccnz .LBB70_782
; %bb.776:
	v_mov_b32_e32 v0, 25
	v_cmp_gt_i16_sdwa s[0:1], v16, v0 src0_sel:BYTE_0 src1_sel:DWORD
	s_and_b64 vcc, exec, s[0:1]
	s_cbranch_vccz .LBB70_784
; %bb.777:
	v_mov_b32_e32 v0, 28
	v_cmp_gt_i16_sdwa s[0:1], v16, v0 src0_sel:BYTE_0 src1_sel:DWORD
	s_and_b64 vcc, exec, s[0:1]
	s_cbranch_vccz .LBB70_785
	;; [unrolled: 5-line block ×4, first 2 shown]
; %bb.780:
	v_mov_b32_e32 v0, 46
	v_cmp_eq_u16_sdwa s[0:1], v16, v0 src0_sel:BYTE_0 src1_sel:DWORD
	s_mov_b64 s[38:39], 0
	s_and_b64 vcc, exec, s[0:1]
	s_cbranch_vccz .LBB70_790
; %bb.781:
	global_load_dword v0, v[2:3], off
	s_mov_b64 s[0:1], -1
	s_waitcnt vmcnt(0)
	v_lshlrev_b32_e32 v0, 16, v0
	v_cvt_f64_f32_e32 v[0:1], v0
	s_branch .LBB70_791
.LBB70_782:
	s_mov_b64 s[38:39], -1
	s_mov_b64 s[0:1], 0
                                        ; implicit-def: $vgpr0_vgpr1
	s_mov_b64 s[36:37], s[24:25]
	s_branch .LBB70_856
.LBB70_783:
	s_mov_b64 s[34:35], 0
	s_branch .LBB70_530
.LBB70_784:
	s_mov_b64 s[38:39], -1
	s_mov_b64 s[0:1], 0
	s_mov_b64 s[36:37], s[24:25]
                                        ; implicit-def: $vgpr0_vgpr1
	s_branch .LBB70_820
.LBB70_785:
	s_mov_b64 s[38:39], -1
	s_mov_b64 s[0:1], 0
	s_mov_b64 s[36:37], s[24:25]
                                        ; implicit-def: $vgpr0_vgpr1
	s_branch .LBB70_801
.LBB70_786:
	s_mov_b64 s[38:39], -1
	s_mov_b64 s[0:1], 0
	s_mov_b64 s[36:37], s[24:25]
                                        ; implicit-def: $vgpr0_vgpr1
	s_branch .LBB70_796
.LBB70_787:
	s_mov_b64 s[38:39], -1
	s_mov_b64 s[0:1], 0
	s_mov_b64 s[36:37], s[24:25]
                                        ; implicit-def: $vgpr0_vgpr1
	s_branch .LBB70_791
.LBB70_788:
	s_or_saveexec_b64 s[36:37], s[36:37]
                                        ; implicit-def: $sgpr15
	s_xor_b64 exec, exec, s[36:37]
	s_cbranch_execz .LBB70_683
.LBB70_789:
	s_mov_b32 s15, 0x46000000
	v_add_f32_e64 v3, |v2|, s15
	v_and_b32_e32 v3, 0xff, v3
	v_cmp_ne_u32_e32 vcc, 0, v3
	s_andn2_b64 s[34:35], s[34:35], exec
	s_and_b64 s[38:39], vcc, exec
	s_mov_b32 s15, 0
	s_or_b64 s[34:35], s[34:35], s[38:39]
	s_or_b64 exec, exec, s[36:37]
	v_mov_b32_e32 v6, s15
	s_and_saveexec_b64 s[36:37], s[34:35]
	s_cbranch_execnz .LBB70_684
	s_branch .LBB70_685
.LBB70_790:
	s_mov_b64 s[36:37], -1
                                        ; implicit-def: $vgpr0_vgpr1
	s_mov_b64 s[0:1], 0
.LBB70_791:
	s_and_b64 vcc, exec, s[38:39]
	s_cbranch_vccz .LBB70_795
; %bb.792:
	v_mov_b32_e32 v0, 44
	v_cmp_eq_u16_sdwa s[36:37], v16, v0 src0_sel:BYTE_0 src1_sel:DWORD
	s_and_b64 vcc, exec, s[36:37]
	s_cbranch_vccz .LBB70_794
; %bb.793:
	global_load_ubyte v4, v[2:3], off
	s_movk_i32 s15, 0xff
	v_bfrev_b32_e32 v5, 4
	v_mov_b32_e32 v6, 0x7ff80000
	v_bfrev_b32_e32 v7, 28
	s_mov_b64 s[0:1], -1
	s_mov_b64 s[36:37], 0
	s_waitcnt vmcnt(0)
	v_lshlrev_b32_e32 v0, 23, v4
	v_cvt_f64_f32_e32 v[0:1], v0
	v_cmp_ne_u32_e32 vcc, s15, v4
	v_cndmask_b32_e32 v0, v5, v0, vcc
	v_cndmask_b32_e32 v1, v6, v1, vcc
	v_cmp_ne_u32_e32 vcc, 0, v4
	v_cndmask_b32_e32 v1, v7, v1, vcc
	v_cndmask_b32_e32 v0, 0, v0, vcc
	s_branch .LBB70_795
.LBB70_794:
	s_mov_b64 s[36:37], -1
                                        ; implicit-def: $vgpr0_vgpr1
.LBB70_795:
	s_mov_b64 s[38:39], 0
.LBB70_796:
	s_and_b64 vcc, exec, s[38:39]
	s_cbranch_vccz .LBB70_800
; %bb.797:
	v_mov_b32_e32 v0, 29
	v_cmp_eq_u16_sdwa s[36:37], v16, v0 src0_sel:BYTE_0 src1_sel:DWORD
	s_and_b64 vcc, exec, s[36:37]
	s_cbranch_vccz .LBB70_799
; %bb.798:
	global_load_dwordx2 v[0:1], v[2:3], off
	s_mov_b64 s[0:1], -1
	s_mov_b64 s[36:37], 0
	s_mov_b64 s[38:39], 0
	s_waitcnt vmcnt(0)
	v_cvt_f64_u32_e32 v[4:5], v1
	v_cvt_f64_u32_e32 v[0:1], v0
	v_ldexp_f64 v[4:5], v[4:5], 32
	v_add_f64 v[0:1], v[4:5], v[0:1]
	s_branch .LBB70_801
.LBB70_799:
	s_mov_b64 s[36:37], -1
                                        ; implicit-def: $vgpr0_vgpr1
.LBB70_800:
	s_mov_b64 s[38:39], 0
.LBB70_801:
	s_and_b64 vcc, exec, s[38:39]
	s_cbranch_vccz .LBB70_819
; %bb.802:
	v_mov_b32_e32 v0, 27
	v_cmp_lt_i16_sdwa s[0:1], v16, v0 src0_sel:BYTE_0 src1_sel:DWORD
	s_and_b64 vcc, exec, s[0:1]
	s_cbranch_vccnz .LBB70_805
; %bb.803:
	v_cmp_gt_i16_sdwa s[0:1], v16, v0 src0_sel:BYTE_0 src1_sel:DWORD
	s_and_b64 vcc, exec, s[0:1]
	s_cbranch_vccz .LBB70_806
; %bb.804:
	global_load_dword v0, v[2:3], off
	s_mov_b64 s[0:1], 0
	s_waitcnt vmcnt(0)
	v_cvt_f64_u32_e32 v[0:1], v0
	s_branch .LBB70_807
.LBB70_805:
	s_mov_b64 s[0:1], -1
                                        ; implicit-def: $vgpr0_vgpr1
	s_branch .LBB70_810
.LBB70_806:
	s_mov_b64 s[0:1], -1
                                        ; implicit-def: $vgpr0_vgpr1
.LBB70_807:
	s_andn2_b64 vcc, exec, s[0:1]
	s_cbranch_vccnz .LBB70_809
; %bb.808:
	global_load_ushort v0, v[2:3], off
	s_waitcnt vmcnt(0)
	v_cvt_f64_u32_e32 v[0:1], v0
.LBB70_809:
	s_mov_b64 s[0:1], 0
.LBB70_810:
	s_andn2_b64 vcc, exec, s[0:1]
	s_cbranch_vccnz .LBB70_818
; %bb.811:
	global_load_ubyte v4, v[2:3], off
	s_movk_i32 s0, 0x7f
                                        ; implicit-def: $sgpr38_sgpr39
	s_waitcnt vmcnt(0)
	v_cmp_lt_i16_e32 vcc, s0, v4
	s_mov_b64 s[0:1], 0
	s_and_saveexec_b64 s[40:41], vcc
	s_xor_b64 s[40:41], exec, s[40:41]
	s_cbranch_execz .LBB70_832
; %bb.812:
	s_movk_i32 s0, 0x80
	v_cmp_eq_u16_e32 vcc, s0, v4
	s_mov_b64 s[42:43], -1
                                        ; implicit-def: $sgpr38_sgpr39
	s_and_saveexec_b64 s[0:1], vcc
; %bb.813:
	s_mov_b32 s39, 0x7ff80000
	s_brev_b32 s38, 4
	s_xor_b64 s[42:43], exec, -1
; %bb.814:
	s_or_b64 exec, exec, s[0:1]
	s_and_b64 s[0:1], s[42:43], exec
	s_or_saveexec_b64 s[40:41], s[40:41]
	v_pk_mov_b32 v[0:1], s[38:39], s[38:39] op_sel:[0,1]
	s_xor_b64 exec, exec, s[40:41]
	s_cbranch_execnz .LBB70_833
.LBB70_815:
	s_or_b64 exec, exec, s[40:41]
	s_and_saveexec_b64 s[38:39], s[0:1]
	s_cbranch_execz .LBB70_817
.LBB70_816:
	v_and_b32_e32 v1, 0xffff, v4
	v_lshlrev_b32_e32 v0, 24, v4
	v_and_b32_e32 v4, 7, v1
	v_ffbh_u32_e32 v6, v4
	v_min_u32_e32 v6, 32, v6
	v_subrev_u32_e32 v7, 28, v6
	v_bfe_u32 v5, v1, 3, 4
	v_lshlrev_b32_e32 v1, v7, v1
	v_sub_u32_e32 v6, 29, v6
	v_and_b32_e32 v1, 7, v1
	v_cmp_eq_u32_e32 vcc, 0, v5
	v_cndmask_b32_e32 v5, v5, v6, vcc
	v_cndmask_b32_e32 v1, v4, v1, vcc
	v_mov_b32_e32 v4, 0x3b800000
	v_lshlrev_b32_e32 v1, 20, v1
	v_and_b32_e32 v0, 0x80000000, v0
	v_lshl_add_u32 v4, v5, 23, v4
	v_or3_b32 v0, v0, v4, v1
	v_cvt_f64_f32_e32 v[0:1], v0
.LBB70_817:
	s_or_b64 exec, exec, s[38:39]
.LBB70_818:
	s_mov_b64 s[0:1], -1
.LBB70_819:
	s_mov_b64 s[38:39], 0
.LBB70_820:
	s_and_b64 vcc, exec, s[38:39]
	s_cbranch_vccz .LBB70_855
; %bb.821:
	v_mov_b32_e32 v0, 22
	v_cmp_gt_i16_sdwa s[38:39], v16, v0 src0_sel:BYTE_0 src1_sel:DWORD
	s_and_b64 vcc, exec, s[38:39]
	s_cbranch_vccz .LBB70_831
; %bb.822:
	v_mov_b32_e32 v0, 24
	v_cmp_lt_i16_sdwa s[0:1], v16, v0 src0_sel:BYTE_0 src1_sel:DWORD
	s_and_b64 vcc, exec, s[0:1]
	s_cbranch_vccnz .LBB70_834
; %bb.823:
	v_cmp_gt_i16_sdwa s[0:1], v16, v0 src0_sel:BYTE_0 src1_sel:DWORD
	s_and_b64 vcc, exec, s[0:1]
	s_cbranch_vccz .LBB70_835
; %bb.824:
	global_load_ubyte v4, v[2:3], off
	s_movk_i32 s0, 0x7f
                                        ; implicit-def: $sgpr38_sgpr39
	s_waitcnt vmcnt(0)
	v_cmp_lt_i16_e32 vcc, s0, v4
	s_mov_b64 s[0:1], 0
	s_and_saveexec_b64 s[40:41], vcc
	s_xor_b64 s[40:41], exec, s[40:41]
	s_cbranch_execz .LBB70_847
; %bb.825:
	s_movk_i32 s0, 0x80
	v_cmp_eq_u16_e32 vcc, s0, v4
	s_mov_b64 s[42:43], -1
                                        ; implicit-def: $sgpr38_sgpr39
	s_and_saveexec_b64 s[0:1], vcc
; %bb.826:
	s_mov_b32 s39, 0x7ff80000
	s_brev_b32 s38, 4
	s_xor_b64 s[42:43], exec, -1
; %bb.827:
	s_or_b64 exec, exec, s[0:1]
	s_and_b64 s[0:1], s[42:43], exec
	s_or_saveexec_b64 s[40:41], s[40:41]
	v_pk_mov_b32 v[0:1], s[38:39], s[38:39] op_sel:[0,1]
	s_xor_b64 exec, exec, s[40:41]
	s_cbranch_execnz .LBB70_848
.LBB70_828:
	s_or_b64 exec, exec, s[40:41]
	s_and_saveexec_b64 s[38:39], s[0:1]
	s_cbranch_execz .LBB70_830
.LBB70_829:
	v_and_b32_e32 v1, 0xffff, v4
	v_lshlrev_b32_e32 v0, 24, v4
	v_and_b32_e32 v4, 3, v1
	v_ffbh_u32_e32 v6, v4
	v_min_u32_e32 v6, 32, v6
	v_subrev_u32_e32 v7, 29, v6
	v_bfe_u32 v5, v1, 2, 5
	v_lshlrev_b32_e32 v1, v7, v1
	v_sub_u32_e32 v6, 30, v6
	v_and_b32_e32 v1, 3, v1
	v_cmp_eq_u32_e32 vcc, 0, v5
	v_cndmask_b32_e32 v5, v5, v6, vcc
	v_cndmask_b32_e32 v1, v4, v1, vcc
	v_mov_b32_e32 v4, 0x37800000
	v_lshlrev_b32_e32 v1, 21, v1
	v_and_b32_e32 v0, 0x80000000, v0
	v_lshl_add_u32 v4, v5, 23, v4
	v_or3_b32 v0, v0, v4, v1
	v_cvt_f64_f32_e32 v[0:1], v0
.LBB70_830:
	s_or_b64 exec, exec, s[38:39]
	s_mov_b64 s[0:1], 0
	s_branch .LBB70_836
.LBB70_831:
	s_mov_b64 s[38:39], -1
                                        ; implicit-def: $vgpr0_vgpr1
	s_branch .LBB70_842
.LBB70_832:
	s_or_saveexec_b64 s[40:41], s[40:41]
	v_pk_mov_b32 v[0:1], s[38:39], s[38:39] op_sel:[0,1]
	s_xor_b64 exec, exec, s[40:41]
	s_cbranch_execz .LBB70_815
.LBB70_833:
	v_cmp_ne_u16_e32 vcc, 0, v4
	s_andn2_b64 s[0:1], s[0:1], exec
	s_and_b64 s[38:39], vcc, exec
	v_pk_mov_b32 v[0:1], 0, 0
	s_or_b64 s[0:1], s[0:1], s[38:39]
	s_or_b64 exec, exec, s[40:41]
	s_and_saveexec_b64 s[38:39], s[0:1]
	s_cbranch_execnz .LBB70_816
	s_branch .LBB70_817
.LBB70_834:
	s_mov_b64 s[0:1], -1
                                        ; implicit-def: $vgpr0_vgpr1
	s_branch .LBB70_839
.LBB70_835:
	s_mov_b64 s[0:1], -1
                                        ; implicit-def: $vgpr0_vgpr1
.LBB70_836:
	s_and_b64 vcc, exec, s[0:1]
	s_cbranch_vccz .LBB70_838
; %bb.837:
	global_load_ubyte v0, v[2:3], off
	s_mov_b32 s0, 0x7f800000
	s_waitcnt vmcnt(0)
	v_lshlrev_b32_e32 v0, 24, v0
	v_and_b32_e32 v1, 0x7f000000, v0
	v_ffbh_u32_e32 v4, v1
	v_min_u32_e32 v4, 32, v4
	v_sub_u32_e64 v4, v4, 4 clamp
	v_lshlrev_b32_e32 v6, v4, v1
	v_lshlrev_b32_e32 v4, 23, v4
	v_lshrrev_b32_e32 v6, 4, v6
	v_add_u32_e32 v5, 0x1000000, v1
	v_sub_u32_e32 v4, v6, v4
	v_ashrrev_i32_e32 v5, 8, v5
	v_add_u32_e32 v4, 0x3c000000, v4
	v_and_or_b32 v4, v5, s0, v4
	v_cmp_ne_u32_e32 vcc, 0, v1
	v_cndmask_b32_e32 v1, 0, v4, vcc
	s_brev_b32 s0, 1
	v_and_or_b32 v0, v0, s0, v1
	v_cvt_f64_f32_e32 v[0:1], v0
.LBB70_838:
	s_mov_b64 s[0:1], 0
.LBB70_839:
	s_andn2_b64 vcc, exec, s[0:1]
	s_cbranch_vccnz .LBB70_841
; %bb.840:
	global_load_ubyte v0, v[2:3], off
	s_movk_i32 s0, 0x7f00
	s_brev_b32 s1, 16
	s_waitcnt vmcnt(0)
	v_lshlrev_b16_e32 v1, 8, v0
	v_lshlrev_b32_e32 v0, 25, v0
	v_lshrrev_b32_e32 v4, 4, v0
	v_and_or_b32 v5, v1, s0, 0.5
	v_or_b32_e32 v4, 0x70000000, v4
	v_add_f32_e32 v5, -0.5, v5
	v_mul_f32_e32 v4, 0x7800000, v4
	v_cmp_gt_u32_e32 vcc, s1, v0
	v_bfe_i32 v1, v1, 0, 16
	v_cndmask_b32_e32 v0, v4, v5, vcc
	s_brev_b32 s0, 1
	v_and_or_b32 v0, v1, s0, v0
	v_cvt_f64_f32_e32 v[0:1], v0
.LBB70_841:
	s_mov_b64 s[38:39], 0
	s_mov_b64 s[0:1], -1
.LBB70_842:
	s_andn2_b64 vcc, exec, s[38:39]
	s_cbranch_vccnz .LBB70_855
; %bb.843:
	v_mov_b32_e32 v0, 14
	v_cmp_gt_i16_sdwa s[38:39], v16, v0 src0_sel:BYTE_0 src1_sel:DWORD
	s_and_b64 vcc, exec, s[38:39]
	s_cbranch_vccz .LBB70_846
; %bb.844:
	v_mov_b32_e32 v0, 15
	v_cmp_eq_u16_sdwa s[36:37], v16, v0 src0_sel:BYTE_0 src1_sel:DWORD
	s_and_b64 vcc, exec, s[36:37]
	s_cbranch_vccz .LBB70_849
; %bb.845:
	global_load_ushort v0, v[2:3], off
	s_mov_b64 s[0:1], -1
	s_mov_b64 s[36:37], 0
	s_waitcnt vmcnt(0)
	v_lshlrev_b32_e32 v0, 16, v0
	v_cvt_f64_f32_e32 v[0:1], v0
	s_branch .LBB70_850
.LBB70_846:
	s_mov_b64 s[38:39], -1
                                        ; implicit-def: $vgpr0_vgpr1
	s_branch .LBB70_851
.LBB70_847:
	s_or_saveexec_b64 s[40:41], s[40:41]
	v_pk_mov_b32 v[0:1], s[38:39], s[38:39] op_sel:[0,1]
	s_xor_b64 exec, exec, s[40:41]
	s_cbranch_execz .LBB70_828
.LBB70_848:
	v_cmp_ne_u16_e32 vcc, 0, v4
	s_andn2_b64 s[0:1], s[0:1], exec
	s_and_b64 s[38:39], vcc, exec
	v_pk_mov_b32 v[0:1], 0, 0
	s_or_b64 s[0:1], s[0:1], s[38:39]
	s_or_b64 exec, exec, s[40:41]
	s_and_saveexec_b64 s[38:39], s[0:1]
	s_cbranch_execnz .LBB70_829
	s_branch .LBB70_830
.LBB70_849:
	s_mov_b64 s[36:37], -1
                                        ; implicit-def: $vgpr0_vgpr1
.LBB70_850:
	s_mov_b64 s[38:39], 0
.LBB70_851:
	s_and_b64 vcc, exec, s[38:39]
	s_cbranch_vccz .LBB70_855
; %bb.852:
	v_mov_b32_e32 v0, 11
	v_cmp_eq_u16_sdwa s[36:37], v16, v0 src0_sel:BYTE_0 src1_sel:DWORD
	s_and_b64 vcc, exec, s[36:37]
	s_cbranch_vccz .LBB70_854
; %bb.853:
	global_load_ubyte v1, v[2:3], off
	v_mov_b32_e32 v4, 0x3ff00000
	v_mov_b32_e32 v0, 0
	s_mov_b64 s[0:1], -1
	s_mov_b64 s[36:37], 0
	s_waitcnt vmcnt(0)
	v_cmp_ne_u16_e32 vcc, 0, v1
	v_cndmask_b32_e32 v1, 0, v4, vcc
	s_branch .LBB70_855
.LBB70_854:
	s_mov_b64 s[36:37], -1
                                        ; implicit-def: $vgpr0_vgpr1
.LBB70_855:
	s_mov_b64 s[38:39], 0
.LBB70_856:
	s_and_b64 vcc, exec, s[38:39]
	s_cbranch_vccz .LBB70_905
; %bb.857:
	v_mov_b32_e32 v0, 5
	v_cmp_lt_i16_sdwa s[0:1], v16, v0 src0_sel:BYTE_0 src1_sel:DWORD
	s_and_b64 vcc, exec, s[0:1]
	s_cbranch_vccnz .LBB70_862
; %bb.858:
	v_mov_b32_e32 v0, 8
	v_cmp_lt_i16_sdwa s[0:1], v16, v0 src0_sel:BYTE_0 src1_sel:DWORD
	s_and_b64 vcc, exec, s[0:1]
	s_cbranch_vccnz .LBB70_863
	;; [unrolled: 5-line block ×3, first 2 shown]
; %bb.860:
	v_cmp_gt_i16_sdwa s[0:1], v16, v0 src0_sel:BYTE_0 src1_sel:DWORD
	s_and_b64 vcc, exec, s[0:1]
	s_cbranch_vccz .LBB70_865
; %bb.861:
	global_load_dwordx2 v[0:1], v[2:3], off
	s_mov_b64 s[0:1], 0
	s_branch .LBB70_866
.LBB70_862:
	s_mov_b64 s[0:1], -1
                                        ; implicit-def: $vgpr0_vgpr1
	s_branch .LBB70_884
.LBB70_863:
	s_mov_b64 s[0:1], -1
                                        ; implicit-def: $vgpr0_vgpr1
	s_branch .LBB70_872
.LBB70_864:
	s_mov_b64 s[0:1], -1
                                        ; implicit-def: $vgpr0_vgpr1
	s_branch .LBB70_869
.LBB70_865:
	s_mov_b64 s[0:1], -1
                                        ; implicit-def: $vgpr0_vgpr1
.LBB70_866:
	s_andn2_b64 vcc, exec, s[0:1]
	s_cbranch_vccnz .LBB70_868
; %bb.867:
	global_load_dword v0, v[2:3], off
	s_waitcnt vmcnt(0)
	v_cvt_f64_f32_e32 v[0:1], v0
.LBB70_868:
	s_mov_b64 s[0:1], 0
.LBB70_869:
	s_andn2_b64 vcc, exec, s[0:1]
	s_cbranch_vccnz .LBB70_871
; %bb.870:
	global_load_dword v0, v[2:3], off
	s_waitcnt vmcnt(0)
	v_cvt_f32_f16_e32 v0, v0
	v_cvt_f64_f32_e32 v[0:1], v0
.LBB70_871:
	s_mov_b64 s[0:1], 0
.LBB70_872:
	s_andn2_b64 vcc, exec, s[0:1]
	s_cbranch_vccnz .LBB70_883
; %bb.873:
	s_waitcnt vmcnt(0)
	v_mov_b32_e32 v0, 6
	v_cmp_lt_i16_sdwa s[0:1], v16, v0 src0_sel:BYTE_0 src1_sel:DWORD
	s_and_b64 vcc, exec, s[0:1]
	s_cbranch_vccnz .LBB70_876
; %bb.874:
	v_cmp_gt_i16_sdwa s[0:1], v16, v0 src0_sel:BYTE_0 src1_sel:DWORD
	s_and_b64 vcc, exec, s[0:1]
	s_cbranch_vccz .LBB70_877
; %bb.875:
	global_load_dwordx2 v[0:1], v[2:3], off
	s_mov_b64 s[0:1], 0
	s_branch .LBB70_878
.LBB70_876:
	s_mov_b64 s[0:1], -1
                                        ; implicit-def: $vgpr0_vgpr1
	s_branch .LBB70_881
.LBB70_877:
	s_mov_b64 s[0:1], -1
                                        ; implicit-def: $vgpr0_vgpr1
.LBB70_878:
	s_andn2_b64 vcc, exec, s[0:1]
	s_cbranch_vccnz .LBB70_880
; %bb.879:
	global_load_dword v0, v[2:3], off
	s_waitcnt vmcnt(0)
	v_cvt_f64_f32_e32 v[0:1], v0
.LBB70_880:
	s_mov_b64 s[0:1], 0
.LBB70_881:
	s_andn2_b64 vcc, exec, s[0:1]
	s_cbranch_vccnz .LBB70_883
; %bb.882:
	global_load_ushort v0, v[2:3], off
	s_waitcnt vmcnt(0)
	v_cvt_f32_f16_e32 v0, v0
	v_cvt_f64_f32_e32 v[0:1], v0
.LBB70_883:
	s_mov_b64 s[0:1], 0
.LBB70_884:
	s_andn2_b64 vcc, exec, s[0:1]
	s_cbranch_vccnz .LBB70_904
; %bb.885:
	s_waitcnt vmcnt(0)
	v_mov_b32_e32 v0, 2
	v_cmp_lt_i16_sdwa s[0:1], v16, v0 src0_sel:BYTE_0 src1_sel:DWORD
	s_and_b64 vcc, exec, s[0:1]
	s_cbranch_vccnz .LBB70_889
; %bb.886:
	v_mov_b32_e32 v0, 3
	v_cmp_lt_i16_sdwa s[0:1], v16, v0 src0_sel:BYTE_0 src1_sel:DWORD
	s_and_b64 vcc, exec, s[0:1]
	s_cbranch_vccnz .LBB70_890
; %bb.887:
	v_cmp_gt_i16_sdwa s[0:1], v16, v0 src0_sel:BYTE_0 src1_sel:DWORD
	s_and_b64 vcc, exec, s[0:1]
	s_cbranch_vccz .LBB70_891
; %bb.888:
	global_load_dwordx2 v[0:1], v[2:3], off
	s_mov_b64 s[0:1], 0
	s_waitcnt vmcnt(0)
	v_cvt_f64_i32_e32 v[4:5], v1
	v_cvt_f64_u32_e32 v[0:1], v0
	v_ldexp_f64 v[4:5], v[4:5], 32
	v_add_f64 v[0:1], v[4:5], v[0:1]
	s_branch .LBB70_892
.LBB70_889:
	s_mov_b64 s[0:1], -1
                                        ; implicit-def: $vgpr0_vgpr1
	s_branch .LBB70_898
.LBB70_890:
	s_mov_b64 s[0:1], -1
                                        ; implicit-def: $vgpr0_vgpr1
	s_branch .LBB70_895
.LBB70_891:
	s_mov_b64 s[0:1], -1
                                        ; implicit-def: $vgpr0_vgpr1
.LBB70_892:
	s_andn2_b64 vcc, exec, s[0:1]
	s_cbranch_vccnz .LBB70_894
; %bb.893:
	global_load_dword v0, v[2:3], off
	s_waitcnt vmcnt(0)
	v_cvt_f64_i32_e32 v[0:1], v0
.LBB70_894:
	s_mov_b64 s[0:1], 0
.LBB70_895:
	s_andn2_b64 vcc, exec, s[0:1]
	s_cbranch_vccnz .LBB70_897
; %bb.896:
	global_load_sshort v0, v[2:3], off
	s_waitcnt vmcnt(0)
	v_cvt_f64_i32_e32 v[0:1], v0
.LBB70_897:
	s_mov_b64 s[0:1], 0
.LBB70_898:
	s_andn2_b64 vcc, exec, s[0:1]
	s_cbranch_vccnz .LBB70_904
; %bb.899:
	v_mov_b32_e32 v0, 0
	v_cmp_gt_i16_sdwa s[0:1], v16, v0 src0_sel:BYTE_0 src1_sel:DWORD
	s_and_b64 vcc, exec, s[0:1]
	s_cbranch_vccz .LBB70_901
; %bb.900:
	global_load_sbyte v0, v[2:3], off
	s_mov_b64 s[0:1], 0
	s_waitcnt vmcnt(0)
	v_cvt_f64_i32_e32 v[0:1], v0
	s_branch .LBB70_902
.LBB70_901:
	s_mov_b64 s[0:1], -1
                                        ; implicit-def: $vgpr0_vgpr1
.LBB70_902:
	s_andn2_b64 vcc, exec, s[0:1]
	s_cbranch_vccnz .LBB70_904
; %bb.903:
	global_load_ubyte v0, v[2:3], off
	s_waitcnt vmcnt(0)
	v_cvt_f64_u32_e32 v[0:1], v0
.LBB70_904:
	s_mov_b64 s[0:1], -1
.LBB70_905:
	s_andn2_b64 vcc, exec, s[0:1]
	s_cbranch_vccnz .LBB70_913
; %bb.906:
	v_mul_lo_u32 v2, v19, s14
	v_ashrrev_i32_e32 v3, 31, v2
	v_mov_b32_e32 v4, s3
	v_add_co_u32_e32 v2, vcc, s2, v2
	v_addc_co_u32_e32 v3, vcc, v4, v3, vcc
	v_mov_b32_e32 v4, 11
	v_cmp_lt_i16_sdwa s[0:1], v20, v4 src0_sel:BYTE_0 src1_sel:DWORD
	s_and_b64 vcc, exec, s[0:1]
	s_cbranch_vccnz .LBB70_915
; %bb.907:
	v_mov_b32_e32 v4, 25
	v_cmp_gt_i16_sdwa s[0:1], v20, v4 src0_sel:BYTE_0 src1_sel:DWORD
	s_and_b64 vcc, exec, s[0:1]
	s_cbranch_vccz .LBB70_916
; %bb.908:
	v_mov_b32_e32 v4, 28
	v_cmp_gt_i16_sdwa s[0:1], v20, v4 src0_sel:BYTE_0 src1_sel:DWORD
	s_and_b64 vcc, exec, s[0:1]
	s_cbranch_vccz .LBB70_917
	;; [unrolled: 5-line block ×4, first 2 shown]
; %bb.911:
	v_mov_b32_e32 v4, 46
	v_cmp_eq_u16_sdwa s[0:1], v20, v4 src0_sel:BYTE_0 src1_sel:DWORD
	s_mov_b64 s[40:41], 0
	s_and_b64 vcc, exec, s[0:1]
	s_cbranch_vccz .LBB70_922
; %bb.912:
	global_load_dword v4, v[2:3], off
	s_mov_b64 s[0:1], -1
	s_mov_b64 s[38:39], 0
	s_waitcnt vmcnt(0)
	v_lshlrev_b32_e32 v4, 16, v4
	v_cvt_f64_f32_e32 v[4:5], v4
	s_branch .LBB70_923
.LBB70_913:
	s_mov_b64 s[42:43], 0
	s_mov_b64 s[0:1], s[28:29]
	s_mov_b64 s[38:39], s[26:27]
.LBB70_914:
                                        ; implicit-def: $vgpr19
	s_branch .LBB70_1161
.LBB70_915:
	s_mov_b64 s[40:41], -1
	s_mov_b64 s[0:1], 0
                                        ; implicit-def: $vgpr4_vgpr5
	s_mov_b64 s[38:39], s[26:27]
	s_branch .LBB70_988
.LBB70_916:
	s_mov_b64 s[40:41], -1
	s_mov_b64 s[0:1], 0
	s_mov_b64 s[38:39], s[26:27]
                                        ; implicit-def: $vgpr4_vgpr5
	s_branch .LBB70_952
.LBB70_917:
	s_mov_b64 s[40:41], -1
	s_mov_b64 s[0:1], 0
	s_mov_b64 s[38:39], s[26:27]
                                        ; implicit-def: $vgpr4_vgpr5
	s_branch .LBB70_933
.LBB70_918:
	s_mov_b64 s[40:41], -1
	s_mov_b64 s[0:1], 0
	s_mov_b64 s[38:39], s[26:27]
                                        ; implicit-def: $vgpr4_vgpr5
	s_branch .LBB70_928
.LBB70_919:
	s_mov_b64 s[40:41], -1
	s_mov_b64 s[0:1], 0
	s_mov_b64 s[38:39], s[26:27]
                                        ; implicit-def: $vgpr4_vgpr5
	s_branch .LBB70_923
.LBB70_920:
	s_or_saveexec_b64 s[36:37], s[36:37]
                                        ; implicit-def: $sgpr15
	s_xor_b64 exec, exec, s[36:37]
	s_cbranch_execz .LBB70_696
.LBB70_921:
	s_mov_b32 s15, 0x42800000
	v_add_f32_e64 v3, |v2|, s15
	v_and_b32_e32 v3, 0xff, v3
	v_cmp_ne_u32_e32 vcc, 0, v3
	s_andn2_b64 s[34:35], s[34:35], exec
	s_and_b64 s[38:39], vcc, exec
	s_mov_b32 s15, 0
	s_or_b64 s[34:35], s[34:35], s[38:39]
	s_or_b64 exec, exec, s[36:37]
	v_mov_b32_e32 v6, s15
	s_and_saveexec_b64 s[36:37], s[34:35]
	s_cbranch_execnz .LBB70_697
	s_branch .LBB70_698
.LBB70_922:
	s_mov_b64 s[38:39], -1
                                        ; implicit-def: $vgpr4_vgpr5
	s_mov_b64 s[0:1], 0
.LBB70_923:
	s_and_b64 vcc, exec, s[40:41]
	s_cbranch_vccz .LBB70_927
; %bb.924:
	v_mov_b32_e32 v4, 44
	v_cmp_eq_u16_sdwa s[38:39], v20, v4 src0_sel:BYTE_0 src1_sel:DWORD
	s_and_b64 vcc, exec, s[38:39]
	s_cbranch_vccz .LBB70_926
; %bb.925:
	global_load_ubyte v6, v[2:3], off
	s_movk_i32 s15, 0xff
	v_mov_b32_e32 v7, 0x7ff80000
	v_bfrev_b32_e32 v8, 28
	s_mov_b64 s[0:1], -1
	s_mov_b64 s[38:39], 0
	s_waitcnt vmcnt(0)
	v_lshlrev_b32_e32 v4, 23, v6
	v_cvt_f64_f32_e32 v[4:5], v4
	v_cmp_ne_u32_e32 vcc, s15, v6
	v_cndmask_b32_e32 v4, v7, v5, vcc
	v_cmp_ne_u32_e32 vcc, 0, v6
	v_cndmask_b32_e32 v5, v8, v4, vcc
	s_branch .LBB70_927
.LBB70_926:
	s_mov_b64 s[38:39], -1
                                        ; implicit-def: $vgpr4_vgpr5
.LBB70_927:
	s_mov_b64 s[40:41], 0
.LBB70_928:
	s_and_b64 vcc, exec, s[40:41]
	s_cbranch_vccz .LBB70_932
; %bb.929:
	v_mov_b32_e32 v4, 29
	v_cmp_eq_u16_sdwa s[38:39], v20, v4 src0_sel:BYTE_0 src1_sel:DWORD
	s_and_b64 vcc, exec, s[38:39]
	s_cbranch_vccz .LBB70_931
; %bb.930:
	global_load_dwordx2 v[4:5], v[2:3], off
	s_mov_b64 s[0:1], -1
	s_mov_b64 s[38:39], 0
	s_mov_b64 s[40:41], 0
	s_waitcnt vmcnt(0)
	v_cvt_f64_u32_e32 v[6:7], v5
	v_cvt_f64_u32_e32 v[4:5], v4
	v_ldexp_f64 v[6:7], v[6:7], 32
	v_add_f64 v[4:5], v[6:7], v[4:5]
	s_branch .LBB70_933
.LBB70_931:
	s_mov_b64 s[38:39], -1
                                        ; implicit-def: $vgpr4_vgpr5
.LBB70_932:
	s_mov_b64 s[40:41], 0
.LBB70_933:
	s_and_b64 vcc, exec, s[40:41]
	s_cbranch_vccz .LBB70_951
; %bb.934:
	v_mov_b32_e32 v4, 27
	v_cmp_lt_i16_sdwa s[0:1], v20, v4 src0_sel:BYTE_0 src1_sel:DWORD
	s_and_b64 vcc, exec, s[0:1]
	s_cbranch_vccnz .LBB70_937
; %bb.935:
	v_cmp_gt_i16_sdwa s[0:1], v20, v4 src0_sel:BYTE_0 src1_sel:DWORD
	s_and_b64 vcc, exec, s[0:1]
	s_cbranch_vccz .LBB70_938
; %bb.936:
	global_load_dword v4, v[2:3], off
	s_mov_b64 s[0:1], 0
	s_waitcnt vmcnt(0)
	v_cvt_f64_u32_e32 v[4:5], v4
	s_branch .LBB70_939
.LBB70_937:
	s_mov_b64 s[0:1], -1
                                        ; implicit-def: $vgpr4_vgpr5
	s_branch .LBB70_942
.LBB70_938:
	s_mov_b64 s[0:1], -1
                                        ; implicit-def: $vgpr4_vgpr5
.LBB70_939:
	s_andn2_b64 vcc, exec, s[0:1]
	s_cbranch_vccnz .LBB70_941
; %bb.940:
	global_load_ushort v4, v[2:3], off
	s_waitcnt vmcnt(0)
	v_cvt_f64_u32_e32 v[4:5], v4
.LBB70_941:
	s_mov_b64 s[0:1], 0
.LBB70_942:
	s_andn2_b64 vcc, exec, s[0:1]
	s_cbranch_vccnz .LBB70_950
; %bb.943:
	global_load_ubyte v6, v[2:3], off
	s_movk_i32 s0, 0x7f
                                        ; implicit-def: $sgpr40_sgpr41
	s_waitcnt vmcnt(0)
	v_cmp_lt_i16_e32 vcc, s0, v6
	s_mov_b64 s[0:1], 0
	s_and_saveexec_b64 s[42:43], vcc
	s_xor_b64 s[42:43], exec, s[42:43]
	s_cbranch_execz .LBB70_964
; %bb.944:
	s_movk_i32 s0, 0x80
	v_cmp_eq_u16_e32 vcc, s0, v6
	s_mov_b64 s[44:45], -1
                                        ; implicit-def: $sgpr40_sgpr41
	s_and_saveexec_b64 s[0:1], vcc
; %bb.945:
	s_mov_b32 s41, 0x7ff80000
	s_brev_b32 s40, 4
	s_xor_b64 s[44:45], exec, -1
; %bb.946:
	s_or_b64 exec, exec, s[0:1]
	s_and_b64 s[0:1], s[44:45], exec
	s_or_saveexec_b64 s[42:43], s[42:43]
	v_pk_mov_b32 v[4:5], s[40:41], s[40:41] op_sel:[0,1]
	s_xor_b64 exec, exec, s[42:43]
	s_cbranch_execnz .LBB70_965
.LBB70_947:
	s_or_b64 exec, exec, s[42:43]
	s_and_saveexec_b64 s[40:41], s[0:1]
	s_cbranch_execz .LBB70_949
.LBB70_948:
	v_and_b32_e32 v5, 0xffff, v6
	v_lshlrev_b32_e32 v4, 24, v6
	v_and_b32_e32 v6, 7, v5
	v_ffbh_u32_e32 v8, v6
	v_min_u32_e32 v8, 32, v8
	v_subrev_u32_e32 v9, 28, v8
	v_bfe_u32 v7, v5, 3, 4
	v_lshlrev_b32_e32 v5, v9, v5
	v_sub_u32_e32 v8, 29, v8
	v_and_b32_e32 v5, 7, v5
	v_cmp_eq_u32_e32 vcc, 0, v7
	v_cndmask_b32_e32 v7, v7, v8, vcc
	v_cndmask_b32_e32 v5, v6, v5, vcc
	v_mov_b32_e32 v6, 0x3b800000
	v_lshlrev_b32_e32 v5, 20, v5
	v_and_b32_e32 v4, 0x80000000, v4
	v_lshl_add_u32 v6, v7, 23, v6
	v_or3_b32 v4, v4, v6, v5
	v_cvt_f64_f32_e32 v[4:5], v4
.LBB70_949:
	s_or_b64 exec, exec, s[40:41]
.LBB70_950:
	s_mov_b64 s[0:1], -1
.LBB70_951:
	s_mov_b64 s[40:41], 0
.LBB70_952:
	s_and_b64 vcc, exec, s[40:41]
	s_cbranch_vccz .LBB70_987
; %bb.953:
	v_mov_b32_e32 v4, 22
	v_cmp_gt_i16_sdwa s[40:41], v20, v4 src0_sel:BYTE_0 src1_sel:DWORD
	s_and_b64 vcc, exec, s[40:41]
	s_cbranch_vccz .LBB70_963
; %bb.954:
	v_mov_b32_e32 v4, 24
	v_cmp_lt_i16_sdwa s[0:1], v20, v4 src0_sel:BYTE_0 src1_sel:DWORD
	s_and_b64 vcc, exec, s[0:1]
	s_cbranch_vccnz .LBB70_966
; %bb.955:
	v_cmp_gt_i16_sdwa s[0:1], v20, v4 src0_sel:BYTE_0 src1_sel:DWORD
	s_and_b64 vcc, exec, s[0:1]
	s_cbranch_vccz .LBB70_967
; %bb.956:
	global_load_ubyte v6, v[2:3], off
	s_movk_i32 s0, 0x7f
                                        ; implicit-def: $sgpr40_sgpr41
	s_waitcnt vmcnt(0)
	v_cmp_lt_i16_e32 vcc, s0, v6
	s_mov_b64 s[0:1], 0
	s_and_saveexec_b64 s[42:43], vcc
	s_xor_b64 s[42:43], exec, s[42:43]
	s_cbranch_execz .LBB70_979
; %bb.957:
	s_movk_i32 s0, 0x80
	v_cmp_eq_u16_e32 vcc, s0, v6
	s_mov_b64 s[44:45], -1
                                        ; implicit-def: $sgpr40_sgpr41
	s_and_saveexec_b64 s[0:1], vcc
; %bb.958:
	s_mov_b32 s41, 0x7ff80000
	s_brev_b32 s40, 4
	s_xor_b64 s[44:45], exec, -1
; %bb.959:
	s_or_b64 exec, exec, s[0:1]
	s_and_b64 s[0:1], s[44:45], exec
	s_or_saveexec_b64 s[42:43], s[42:43]
	v_pk_mov_b32 v[4:5], s[40:41], s[40:41] op_sel:[0,1]
	s_xor_b64 exec, exec, s[42:43]
	s_cbranch_execnz .LBB70_980
.LBB70_960:
	s_or_b64 exec, exec, s[42:43]
	s_and_saveexec_b64 s[40:41], s[0:1]
	s_cbranch_execz .LBB70_962
.LBB70_961:
	v_and_b32_e32 v5, 0xffff, v6
	v_lshlrev_b32_e32 v4, 24, v6
	v_and_b32_e32 v6, 3, v5
	v_ffbh_u32_e32 v8, v6
	v_min_u32_e32 v8, 32, v8
	v_subrev_u32_e32 v9, 29, v8
	v_bfe_u32 v7, v5, 2, 5
	v_lshlrev_b32_e32 v5, v9, v5
	v_sub_u32_e32 v8, 30, v8
	v_and_b32_e32 v5, 3, v5
	v_cmp_eq_u32_e32 vcc, 0, v7
	v_cndmask_b32_e32 v7, v7, v8, vcc
	v_cndmask_b32_e32 v5, v6, v5, vcc
	v_mov_b32_e32 v6, 0x37800000
	v_lshlrev_b32_e32 v5, 21, v5
	v_and_b32_e32 v4, 0x80000000, v4
	v_lshl_add_u32 v6, v7, 23, v6
	v_or3_b32 v4, v4, v6, v5
	v_cvt_f64_f32_e32 v[4:5], v4
.LBB70_962:
	s_or_b64 exec, exec, s[40:41]
	s_mov_b64 s[0:1], 0
	s_branch .LBB70_968
.LBB70_963:
	s_mov_b64 s[40:41], -1
                                        ; implicit-def: $vgpr4_vgpr5
	s_branch .LBB70_974
.LBB70_964:
	s_or_saveexec_b64 s[42:43], s[42:43]
	v_pk_mov_b32 v[4:5], s[40:41], s[40:41] op_sel:[0,1]
	s_xor_b64 exec, exec, s[42:43]
	s_cbranch_execz .LBB70_947
.LBB70_965:
	v_cmp_ne_u16_e32 vcc, 0, v6
	s_andn2_b64 s[0:1], s[0:1], exec
	s_and_b64 s[40:41], vcc, exec
	v_pk_mov_b32 v[4:5], 0, 0
	s_or_b64 s[0:1], s[0:1], s[40:41]
	s_or_b64 exec, exec, s[42:43]
	s_and_saveexec_b64 s[40:41], s[0:1]
	s_cbranch_execnz .LBB70_948
	s_branch .LBB70_949
.LBB70_966:
	s_mov_b64 s[0:1], -1
                                        ; implicit-def: $vgpr4_vgpr5
	s_branch .LBB70_971
.LBB70_967:
	s_mov_b64 s[0:1], -1
                                        ; implicit-def: $vgpr4_vgpr5
.LBB70_968:
	s_and_b64 vcc, exec, s[0:1]
	s_cbranch_vccz .LBB70_970
; %bb.969:
	global_load_ubyte v4, v[2:3], off
	s_mov_b32 s0, 0x7f800000
	s_waitcnt vmcnt(0)
	v_lshlrev_b32_e32 v4, 24, v4
	v_and_b32_e32 v5, 0x7f000000, v4
	v_ffbh_u32_e32 v6, v5
	v_min_u32_e32 v6, 32, v6
	v_sub_u32_e64 v6, v6, 4 clamp
	v_lshlrev_b32_e32 v8, v6, v5
	v_lshlrev_b32_e32 v6, 23, v6
	v_lshrrev_b32_e32 v8, 4, v8
	v_add_u32_e32 v7, 0x1000000, v5
	v_sub_u32_e32 v6, v8, v6
	v_ashrrev_i32_e32 v7, 8, v7
	v_add_u32_e32 v6, 0x3c000000, v6
	v_and_or_b32 v6, v7, s0, v6
	v_cmp_ne_u32_e32 vcc, 0, v5
	v_cndmask_b32_e32 v5, 0, v6, vcc
	s_brev_b32 s0, 1
	v_and_or_b32 v4, v4, s0, v5
	v_cvt_f64_f32_e32 v[4:5], v4
.LBB70_970:
	s_mov_b64 s[0:1], 0
.LBB70_971:
	s_andn2_b64 vcc, exec, s[0:1]
	s_cbranch_vccnz .LBB70_973
; %bb.972:
	global_load_ubyte v4, v[2:3], off
	s_movk_i32 s0, 0x7f00
	s_brev_b32 s1, 16
	s_waitcnt vmcnt(0)
	v_lshlrev_b16_e32 v5, 8, v4
	v_lshlrev_b32_e32 v4, 25, v4
	v_lshrrev_b32_e32 v6, 4, v4
	v_and_or_b32 v7, v5, s0, 0.5
	v_or_b32_e32 v6, 0x70000000, v6
	v_add_f32_e32 v7, -0.5, v7
	v_mul_f32_e32 v6, 0x7800000, v6
	v_cmp_gt_u32_e32 vcc, s1, v4
	v_bfe_i32 v5, v5, 0, 16
	v_cndmask_b32_e32 v4, v6, v7, vcc
	s_brev_b32 s0, 1
	v_and_or_b32 v4, v5, s0, v4
	v_cvt_f64_f32_e32 v[4:5], v4
.LBB70_973:
	s_mov_b64 s[40:41], 0
	s_mov_b64 s[0:1], -1
.LBB70_974:
	s_andn2_b64 vcc, exec, s[40:41]
	s_cbranch_vccnz .LBB70_987
; %bb.975:
	v_mov_b32_e32 v4, 14
	v_cmp_gt_i16_sdwa s[40:41], v20, v4 src0_sel:BYTE_0 src1_sel:DWORD
	s_and_b64 vcc, exec, s[40:41]
	s_cbranch_vccz .LBB70_978
; %bb.976:
	v_mov_b32_e32 v4, 15
	v_cmp_eq_u16_sdwa s[38:39], v20, v4 src0_sel:BYTE_0 src1_sel:DWORD
	s_and_b64 vcc, exec, s[38:39]
	s_cbranch_vccz .LBB70_981
; %bb.977:
	global_load_ushort v4, v[2:3], off
	s_mov_b64 s[0:1], -1
	s_mov_b64 s[38:39], 0
	s_waitcnt vmcnt(0)
	v_lshlrev_b32_e32 v4, 16, v4
	v_cvt_f64_f32_e32 v[4:5], v4
	s_branch .LBB70_982
.LBB70_978:
	s_mov_b64 s[40:41], -1
                                        ; implicit-def: $vgpr4_vgpr5
	s_branch .LBB70_983
.LBB70_979:
	s_or_saveexec_b64 s[42:43], s[42:43]
	v_pk_mov_b32 v[4:5], s[40:41], s[40:41] op_sel:[0,1]
	s_xor_b64 exec, exec, s[42:43]
	s_cbranch_execz .LBB70_960
.LBB70_980:
	v_cmp_ne_u16_e32 vcc, 0, v6
	s_andn2_b64 s[0:1], s[0:1], exec
	s_and_b64 s[40:41], vcc, exec
	v_pk_mov_b32 v[4:5], 0, 0
	s_or_b64 s[0:1], s[0:1], s[40:41]
	s_or_b64 exec, exec, s[42:43]
	s_and_saveexec_b64 s[40:41], s[0:1]
	s_cbranch_execnz .LBB70_961
	s_branch .LBB70_962
.LBB70_981:
	s_mov_b64 s[38:39], -1
                                        ; implicit-def: $vgpr4_vgpr5
.LBB70_982:
	s_mov_b64 s[40:41], 0
.LBB70_983:
	s_and_b64 vcc, exec, s[40:41]
	s_cbranch_vccz .LBB70_987
; %bb.984:
	v_mov_b32_e32 v4, 11
	v_cmp_eq_u16_sdwa s[38:39], v20, v4 src0_sel:BYTE_0 src1_sel:DWORD
	s_and_b64 vcc, exec, s[38:39]
	s_cbranch_vccz .LBB70_986
; %bb.985:
	global_load_ubyte v4, v[2:3], off
	v_mov_b32_e32 v5, 0x3ff00000
	s_mov_b64 s[0:1], -1
	s_mov_b64 s[38:39], 0
	s_waitcnt vmcnt(0)
	v_cmp_ne_u16_e32 vcc, 0, v4
	v_cndmask_b32_e32 v5, 0, v5, vcc
	s_branch .LBB70_987
.LBB70_986:
	s_mov_b64 s[38:39], -1
                                        ; implicit-def: $vgpr4_vgpr5
.LBB70_987:
	s_mov_b64 s[40:41], 0
.LBB70_988:
	s_and_b64 vcc, exec, s[40:41]
	s_cbranch_vccz .LBB70_1037
; %bb.989:
	v_mov_b32_e32 v4, 5
	v_cmp_lt_i16_sdwa s[0:1], v20, v4 src0_sel:BYTE_0 src1_sel:DWORD
	s_and_b64 vcc, exec, s[0:1]
	s_cbranch_vccnz .LBB70_994
; %bb.990:
	v_mov_b32_e32 v4, 8
	v_cmp_lt_i16_sdwa s[0:1], v20, v4 src0_sel:BYTE_0 src1_sel:DWORD
	s_and_b64 vcc, exec, s[0:1]
	s_cbranch_vccnz .LBB70_995
	;; [unrolled: 5-line block ×3, first 2 shown]
; %bb.992:
	v_cmp_gt_i16_sdwa s[0:1], v20, v4 src0_sel:BYTE_0 src1_sel:DWORD
	s_and_b64 vcc, exec, s[0:1]
	s_cbranch_vccz .LBB70_997
; %bb.993:
	global_load_dwordx2 v[4:5], v[2:3], off
	s_mov_b64 s[0:1], 0
	s_branch .LBB70_998
.LBB70_994:
	s_mov_b64 s[0:1], -1
                                        ; implicit-def: $vgpr4_vgpr5
	s_branch .LBB70_1016
.LBB70_995:
	s_mov_b64 s[0:1], -1
                                        ; implicit-def: $vgpr4_vgpr5
	s_branch .LBB70_1004
.LBB70_996:
	s_mov_b64 s[0:1], -1
                                        ; implicit-def: $vgpr4_vgpr5
	s_branch .LBB70_1001
.LBB70_997:
	s_mov_b64 s[0:1], -1
                                        ; implicit-def: $vgpr4_vgpr5
.LBB70_998:
	s_andn2_b64 vcc, exec, s[0:1]
	s_cbranch_vccnz .LBB70_1000
; %bb.999:
	global_load_dword v4, v[2:3], off
	s_waitcnt vmcnt(0)
	v_cvt_f64_f32_e32 v[4:5], v4
.LBB70_1000:
	s_mov_b64 s[0:1], 0
.LBB70_1001:
	s_andn2_b64 vcc, exec, s[0:1]
	s_cbranch_vccnz .LBB70_1003
; %bb.1002:
	global_load_dword v4, v[2:3], off
	s_waitcnt vmcnt(0)
	v_cvt_f32_f16_e32 v4, v4
	v_cvt_f64_f32_e32 v[4:5], v4
.LBB70_1003:
	s_mov_b64 s[0:1], 0
.LBB70_1004:
	s_andn2_b64 vcc, exec, s[0:1]
	s_cbranch_vccnz .LBB70_1015
; %bb.1005:
	s_waitcnt vmcnt(0)
	v_mov_b32_e32 v4, 6
	v_cmp_lt_i16_sdwa s[0:1], v20, v4 src0_sel:BYTE_0 src1_sel:DWORD
	s_and_b64 vcc, exec, s[0:1]
	s_cbranch_vccnz .LBB70_1008
; %bb.1006:
	v_cmp_gt_i16_sdwa s[0:1], v20, v4 src0_sel:BYTE_0 src1_sel:DWORD
	s_and_b64 vcc, exec, s[0:1]
	s_cbranch_vccz .LBB70_1009
; %bb.1007:
	global_load_dwordx2 v[4:5], v[2:3], off
	s_mov_b64 s[0:1], 0
	s_branch .LBB70_1010
.LBB70_1008:
	s_mov_b64 s[0:1], -1
                                        ; implicit-def: $vgpr4_vgpr5
	s_branch .LBB70_1013
.LBB70_1009:
	s_mov_b64 s[0:1], -1
                                        ; implicit-def: $vgpr4_vgpr5
.LBB70_1010:
	s_andn2_b64 vcc, exec, s[0:1]
	s_cbranch_vccnz .LBB70_1012
; %bb.1011:
	global_load_dword v4, v[2:3], off
	s_waitcnt vmcnt(0)
	v_cvt_f64_f32_e32 v[4:5], v4
.LBB70_1012:
	s_mov_b64 s[0:1], 0
.LBB70_1013:
	s_andn2_b64 vcc, exec, s[0:1]
	s_cbranch_vccnz .LBB70_1015
; %bb.1014:
	global_load_ushort v4, v[2:3], off
	s_waitcnt vmcnt(0)
	v_cvt_f32_f16_e32 v4, v4
	v_cvt_f64_f32_e32 v[4:5], v4
.LBB70_1015:
	s_mov_b64 s[0:1], 0
.LBB70_1016:
	s_andn2_b64 vcc, exec, s[0:1]
	s_cbranch_vccnz .LBB70_1036
; %bb.1017:
	s_waitcnt vmcnt(0)
	v_mov_b32_e32 v4, 2
	v_cmp_lt_i16_sdwa s[0:1], v20, v4 src0_sel:BYTE_0 src1_sel:DWORD
	s_and_b64 vcc, exec, s[0:1]
	s_cbranch_vccnz .LBB70_1021
; %bb.1018:
	v_mov_b32_e32 v4, 3
	v_cmp_lt_i16_sdwa s[0:1], v20, v4 src0_sel:BYTE_0 src1_sel:DWORD
	s_and_b64 vcc, exec, s[0:1]
	s_cbranch_vccnz .LBB70_1022
; %bb.1019:
	v_cmp_gt_i16_sdwa s[0:1], v20, v4 src0_sel:BYTE_0 src1_sel:DWORD
	s_and_b64 vcc, exec, s[0:1]
	s_cbranch_vccz .LBB70_1023
; %bb.1020:
	global_load_dwordx2 v[4:5], v[2:3], off
	s_mov_b64 s[0:1], 0
	s_waitcnt vmcnt(0)
	v_cvt_f64_i32_e32 v[6:7], v5
	v_cvt_f64_u32_e32 v[4:5], v4
	v_ldexp_f64 v[6:7], v[6:7], 32
	v_add_f64 v[4:5], v[6:7], v[4:5]
	s_branch .LBB70_1024
.LBB70_1021:
	s_mov_b64 s[0:1], -1
                                        ; implicit-def: $vgpr4_vgpr5
	s_branch .LBB70_1030
.LBB70_1022:
	s_mov_b64 s[0:1], -1
                                        ; implicit-def: $vgpr4_vgpr5
	s_branch .LBB70_1027
.LBB70_1023:
	s_mov_b64 s[0:1], -1
                                        ; implicit-def: $vgpr4_vgpr5
.LBB70_1024:
	s_andn2_b64 vcc, exec, s[0:1]
	s_cbranch_vccnz .LBB70_1026
; %bb.1025:
	global_load_dword v4, v[2:3], off
	s_waitcnt vmcnt(0)
	v_cvt_f64_i32_e32 v[4:5], v4
.LBB70_1026:
	s_mov_b64 s[0:1], 0
.LBB70_1027:
	s_andn2_b64 vcc, exec, s[0:1]
	s_cbranch_vccnz .LBB70_1029
; %bb.1028:
	global_load_sshort v4, v[2:3], off
	s_waitcnt vmcnt(0)
	v_cvt_f64_i32_e32 v[4:5], v4
.LBB70_1029:
	s_mov_b64 s[0:1], 0
.LBB70_1030:
	s_andn2_b64 vcc, exec, s[0:1]
	s_cbranch_vccnz .LBB70_1036
; %bb.1031:
	v_mov_b32_e32 v4, 0
	v_cmp_gt_i16_sdwa s[0:1], v20, v4 src0_sel:BYTE_0 src1_sel:DWORD
	s_and_b64 vcc, exec, s[0:1]
	s_cbranch_vccz .LBB70_1033
; %bb.1032:
	global_load_sbyte v4, v[2:3], off
	s_mov_b64 s[0:1], 0
	s_waitcnt vmcnt(0)
	v_cvt_f64_i32_e32 v[4:5], v4
	s_branch .LBB70_1034
.LBB70_1033:
	s_mov_b64 s[0:1], -1
                                        ; implicit-def: $vgpr4_vgpr5
.LBB70_1034:
	s_andn2_b64 vcc, exec, s[0:1]
	s_cbranch_vccnz .LBB70_1036
; %bb.1035:
	global_load_ubyte v2, v[2:3], off
	s_waitcnt vmcnt(0)
	v_cvt_f64_u32_e32 v[4:5], v2
.LBB70_1036:
	s_mov_b64 s[0:1], -1
.LBB70_1037:
	s_andn2_b64 vcc, exec, s[0:1]
	s_cbranch_vccnz .LBB70_1045
; %bb.1038:
	s_brev_b32 s0, -2
	v_mul_lo_u32 v2, v19, s12
	s_waitcnt vmcnt(0)
	v_bfi_b32 v1, s0, v1, v5
	v_ashrrev_i32_e32 v3, 31, v2
	v_mov_b32_e32 v5, s9
	v_add_co_u32_e32 v4, vcc, s8, v2
	v_mov_b32_e32 v2, 11
	v_addc_co_u32_e32 v5, vcc, v5, v3, vcc
	v_cmp_lt_i16_sdwa s[0:1], v18, v2 src0_sel:BYTE_0 src1_sel:DWORD
	s_and_b64 vcc, exec, s[0:1]
	s_cbranch_vccnz .LBB70_1046
; %bb.1039:
	v_mov_b32_e32 v2, 25
	v_cmp_gt_i16_sdwa s[0:1], v18, v2 src0_sel:BYTE_0 src1_sel:DWORD
	s_and_b64 vcc, exec, s[0:1]
	s_cbranch_vccz .LBB70_1047
; %bb.1040:
	v_mov_b32_e32 v2, 28
	v_cmp_gt_i16_sdwa s[0:1], v18, v2 src0_sel:BYTE_0 src1_sel:DWORD
	s_and_b64 vcc, exec, s[0:1]
	s_cbranch_vccz .LBB70_1048
	;; [unrolled: 5-line block ×4, first 2 shown]
; %bb.1043:
	v_mov_b32_e32 v2, 46
	v_cmp_eq_u16_sdwa s[40:41], v18, v2 src0_sel:BYTE_0 src1_sel:DWORD
	s_mov_b64 s[42:43], 0
	s_mov_b64 s[0:1], -1
	s_and_b64 vcc, exec, s[40:41]
	s_mov_b64 s[40:41], 0
	s_cbranch_vccz .LBB70_1051
; %bb.1044:
	v_cvt_f32_f64_e32 v2, v[0:1]
	v_bfe_u32 v3, v2, 16, 1
	s_movk_i32 s0, 0x7fff
	v_add3_u32 v3, v2, v3, s0
	v_lshrrev_b32_e32 v3, 16, v3
	v_mov_b32_e32 v6, 0x7fc0
	v_cmp_o_f32_e32 vcc, v2, v2
	v_cndmask_b32_e32 v2, v6, v3, vcc
	global_store_dword v[4:5], v2, off
	s_mov_b64 s[40:41], -1
	s_mov_b64 s[0:1], 0
	s_branch .LBB70_1051
.LBB70_1045:
	s_mov_b64 s[42:43], 0
                                        ; implicit-def: $vgpr19
	s_mov_b64 s[0:1], s[28:29]
	s_branch .LBB70_1161
.LBB70_1046:
	s_mov_b64 s[42:43], -1
	s_mov_b64 s[40:41], 0
	s_mov_b64 s[0:1], s[28:29]
	s_branch .LBB70_1120
.LBB70_1047:
	s_mov_b64 s[42:43], -1
	s_mov_b64 s[40:41], 0
	s_mov_b64 s[0:1], s[28:29]
	s_branch .LBB70_1078
.LBB70_1048:
	s_mov_b64 s[42:43], -1
	s_mov_b64 s[40:41], 0
	s_mov_b64 s[0:1], s[28:29]
	s_branch .LBB70_1061
.LBB70_1049:
	s_mov_b64 s[42:43], -1
	s_mov_b64 s[40:41], 0
	s_mov_b64 s[0:1], s[28:29]
	s_branch .LBB70_1057
.LBB70_1050:
	s_mov_b64 s[42:43], -1
	s_mov_b64 s[40:41], 0
	s_mov_b64 s[0:1], s[28:29]
.LBB70_1051:
	s_and_b64 vcc, exec, s[42:43]
	s_cbranch_vccz .LBB70_1056
; %bb.1052:
	v_mov_b32_e32 v2, 44
	v_cmp_eq_u16_sdwa s[42:43], v18, v2 src0_sel:BYTE_0 src1_sel:DWORD
	s_mov_b64 s[0:1], -1
	s_and_b64 vcc, exec, s[42:43]
	s_cbranch_vccz .LBB70_1056
; %bb.1053:
	v_cvt_f32_f64_e32 v2, v[0:1]
	v_bfe_u32 v3, v2, 23, 8
	s_movk_i32 s0, 0xff
	v_cmp_ne_u32_e32 vcc, s0, v3
	v_mov_b32_e32 v6, 0xff
	s_and_saveexec_b64 s[40:41], vcc
; %bb.1054:
	s_mov_b32 s0, 0x3fffff
	v_lshrrev_b32_e32 v6, 23, v2
	v_and_b32_e32 v7, 0x400000, v2
	v_and_or_b32 v2, v2, s0, v3
	v_cmp_ne_u32_e32 vcc, 0, v7
	v_cmp_ne_u32_e64 s[0:1], 0, v2
	s_and_b64 s[0:1], vcc, s[0:1]
	v_cndmask_b32_e64 v2, 0, 1, s[0:1]
	v_add_u32_e32 v6, v6, v2
; %bb.1055:
	s_or_b64 exec, exec, s[40:41]
	s_mov_b64 s[40:41], -1
	s_mov_b64 s[0:1], 0
	global_store_byte v[4:5], v6, off
.LBB70_1056:
	s_mov_b64 s[42:43], 0
.LBB70_1057:
	s_and_b64 vcc, exec, s[42:43]
	s_cbranch_vccz .LBB70_1060
; %bb.1058:
	v_mov_b32_e32 v2, 29
	v_cmp_eq_u16_sdwa s[42:43], v18, v2 src0_sel:BYTE_0 src1_sel:DWORD
	s_mov_b64 s[0:1], -1
	s_and_b64 vcc, exec, s[42:43]
	s_cbranch_vccz .LBB70_1060
; %bb.1059:
	v_trunc_f64_e32 v[2:3], v[0:1]
	s_movk_i32 s0, 0xffe0
	v_ldexp_f64 v[6:7], v[2:3], s0
	v_floor_f64_e32 v[6:7], v[6:7]
	v_fmac_f64_e32 v[2:3], 0xc1f00000, v[6:7]
	v_cvt_u32_f64_e32 v9, v[6:7]
	v_cvt_u32_f64_e32 v8, v[2:3]
	global_store_dwordx2 v[4:5], v[8:9], off
	s_mov_b64 s[40:41], -1
	s_mov_b64 s[0:1], 0
.LBB70_1060:
	s_mov_b64 s[42:43], 0
.LBB70_1061:
	s_and_b64 vcc, exec, s[42:43]
	s_cbranch_vccz .LBB70_1077
; %bb.1062:
	v_mov_b32_e32 v2, 27
	v_cmp_lt_i16_sdwa s[42:43], v18, v2 src0_sel:BYTE_0 src1_sel:DWORD
	s_mov_b64 s[40:41], -1
	s_and_b64 vcc, exec, s[42:43]
	s_cbranch_vccnz .LBB70_1068
; %bb.1063:
	v_cmp_gt_i16_sdwa s[42:43], v18, v2 src0_sel:BYTE_0 src1_sel:DWORD
	s_and_b64 vcc, exec, s[42:43]
	v_cvt_u32_f64_e32 v2, v[0:1]
	s_cbranch_vccz .LBB70_1065
; %bb.1064:
	s_mov_b64 s[40:41], 0
	global_store_dword v[4:5], v2, off
.LBB70_1065:
	s_andn2_b64 vcc, exec, s[40:41]
	s_cbranch_vccnz .LBB70_1067
; %bb.1066:
	global_store_short v[4:5], v2, off
.LBB70_1067:
	s_mov_b64 s[40:41], 0
.LBB70_1068:
	s_andn2_b64 vcc, exec, s[40:41]
	s_cbranch_vccnz .LBB70_1076
; %bb.1069:
	v_cvt_f32_f64_e32 v2, v[0:1]
	v_and_b32_e32 v3, 0x7fffffff, v2
	s_mov_b32 s15, 0x43800000
	v_cmp_gt_u32_e32 vcc, s15, v3
	v_mov_b32_e32 v6, 0x80
	s_and_saveexec_b64 s[40:41], vcc
	s_cbranch_execz .LBB70_1075
; %bb.1070:
	s_mov_b32 s15, 0x3bffffff
	v_cmp_lt_u32_e32 vcc, s15, v3
	s_mov_b64 s[42:43], 0
                                        ; implicit-def: $vgpr3
	s_and_saveexec_b64 s[44:45], vcc
	s_xor_b64 s[44:45], exec, s[44:45]
	s_cbranch_execz .LBB70_1177
; %bb.1071:
	v_bfe_u32 v3, v2, 20, 1
	s_mov_b32 s15, 0x487ffff
	v_add3_u32 v3, v2, v3, s15
	s_mov_b64 s[42:43], exec
	v_lshrrev_b32_e32 v3, 20, v3
	s_or_saveexec_b64 s[44:45], s[44:45]
                                        ; implicit-def: $sgpr15
	s_xor_b64 exec, exec, s[44:45]
	s_cbranch_execnz .LBB70_1178
.LBB70_1072:
	s_or_b64 exec, exec, s[44:45]
	v_mov_b32_e32 v6, s15
	s_and_saveexec_b64 s[44:45], s[42:43]
.LBB70_1073:
	v_lshrrev_b32_e32 v2, 24, v2
	s_movk_i32 s15, 0x80
	v_and_or_b32 v6, v2, s15, v3
.LBB70_1074:
	s_or_b64 exec, exec, s[44:45]
.LBB70_1075:
	s_or_b64 exec, exec, s[40:41]
	global_store_byte v[4:5], v6, off
.LBB70_1076:
	s_mov_b64 s[40:41], -1
.LBB70_1077:
	s_mov_b64 s[42:43], 0
.LBB70_1078:
	s_and_b64 vcc, exec, s[42:43]
	s_cbranch_vccz .LBB70_1119
; %bb.1079:
	v_mov_b32_e32 v2, 22
	v_cmp_gt_i16_sdwa s[44:45], v18, v2 src0_sel:BYTE_0 src1_sel:DWORD
	s_mov_b64 s[42:43], -1
	s_and_b64 vcc, exec, s[44:45]
	s_cbranch_vccz .LBB70_1111
; %bb.1080:
	v_mov_b32_e32 v2, 24
	v_cmp_lt_i16_sdwa s[42:43], v18, v2 src0_sel:BYTE_0 src1_sel:DWORD
	s_mov_b64 s[40:41], -1
	s_and_b64 vcc, exec, s[42:43]
	s_cbranch_vccnz .LBB70_1100
; %bb.1081:
	v_cmp_gt_i16_sdwa s[42:43], v18, v2 src0_sel:BYTE_0 src1_sel:DWORD
	s_and_b64 vcc, exec, s[42:43]
	s_cbranch_vccz .LBB70_1089
; %bb.1082:
	v_cvt_f32_f64_e32 v2, v[0:1]
	v_and_b32_e32 v3, 0x7fffffff, v2
	s_mov_b32 s15, 0x47800000
	v_cmp_gt_u32_e32 vcc, s15, v3
	v_mov_b32_e32 v6, 0x80
	s_and_saveexec_b64 s[40:41], vcc
	s_cbranch_execz .LBB70_1088
; %bb.1083:
	s_mov_b32 s15, 0x37ffffff
	v_cmp_lt_u32_e32 vcc, s15, v3
	s_mov_b64 s[42:43], 0
                                        ; implicit-def: $vgpr3
	s_and_saveexec_b64 s[44:45], vcc
	s_xor_b64 s[44:45], exec, s[44:45]
	s_cbranch_execz .LBB70_2200
; %bb.1084:
	v_bfe_u32 v3, v2, 21, 1
	s_mov_b32 s15, 0x88fffff
	v_add3_u32 v3, v2, v3, s15
	s_mov_b64 s[42:43], exec
	v_lshrrev_b32_e32 v3, 21, v3
	s_or_saveexec_b64 s[44:45], s[44:45]
                                        ; implicit-def: $sgpr15
	s_xor_b64 exec, exec, s[44:45]
	s_cbranch_execnz .LBB70_2201
.LBB70_1085:
	s_or_b64 exec, exec, s[44:45]
	v_mov_b32_e32 v6, s15
	s_and_saveexec_b64 s[44:45], s[42:43]
.LBB70_1086:
	v_lshrrev_b32_e32 v2, 24, v2
	s_movk_i32 s15, 0x80
	v_and_or_b32 v6, v2, s15, v3
.LBB70_1087:
	s_or_b64 exec, exec, s[44:45]
.LBB70_1088:
	s_or_b64 exec, exec, s[40:41]
	s_mov_b64 s[40:41], 0
	global_store_byte v[4:5], v6, off
.LBB70_1089:
	s_and_b64 vcc, exec, s[40:41]
	s_cbranch_vccz .LBB70_1099
; %bb.1090:
	v_cvt_f32_f64_e32 v2, v[0:1]
	v_and_b32_e32 v6, 0x7fffffff, v2
	s_mov_b32 s15, 0x43f00000
	v_cmp_gt_u32_e32 vcc, s15, v6
                                        ; implicit-def: $vgpr3
	s_and_saveexec_b64 s[40:41], vcc
	s_xor_b64 s[40:41], exec, s[40:41]
	s_cbranch_execz .LBB70_1096
; %bb.1091:
	s_mov_b32 s15, 0x3c7fffff
	v_cmp_lt_u32_e32 vcc, s15, v6
                                        ; implicit-def: $vgpr3
	s_and_saveexec_b64 s[42:43], vcc
	s_xor_b64 s[42:43], exec, s[42:43]
; %bb.1092:
	v_bfe_u32 v3, v2, 20, 1
	s_mov_b32 s15, 0x407ffff
	v_add3_u32 v3, v2, v3, s15
	v_lshrrev_b32_e32 v6, 20, v3
	v_and_b32_e32 v3, 0xff00000, v3
	s_mov_b32 s15, 0x7f00000
	v_mov_b32_e32 v7, 0x7e
	v_cmp_ne_u32_e32 vcc, s15, v3
	v_cndmask_b32_e32 v3, v7, v6, vcc
; %bb.1093:
	s_andn2_saveexec_b64 s[42:43], s[42:43]
; %bb.1094:
	s_mov_b32 s15, 0x46800000
	v_add_f32_e64 v3, |v2|, s15
; %bb.1095:
	s_or_b64 exec, exec, s[42:43]
                                        ; implicit-def: $vgpr6
.LBB70_1096:
	s_andn2_saveexec_b64 s[40:41], s[40:41]
; %bb.1097:
	s_mov_b32 s15, 0x7f800000
	v_mov_b32_e32 v3, 0x7e
	v_mov_b32_e32 v7, 0x7f
	v_cmp_lt_u32_e32 vcc, s15, v6
	v_cndmask_b32_e32 v3, v3, v7, vcc
; %bb.1098:
	s_or_b64 exec, exec, s[40:41]
	v_lshrrev_b32_e32 v2, 24, v2
	s_movk_i32 s15, 0x80
	v_and_or_b32 v2, v2, s15, v3
	global_store_byte v[4:5], v2, off
.LBB70_1099:
	s_mov_b64 s[40:41], 0
.LBB70_1100:
	s_andn2_b64 vcc, exec, s[40:41]
	s_cbranch_vccnz .LBB70_1110
; %bb.1101:
	v_cvt_f32_f64_e32 v2, v[0:1]
	v_and_b32_e32 v6, 0x7fffffff, v2
	s_mov_b32 s15, 0x47800000
	v_cmp_gt_u32_e32 vcc, s15, v6
                                        ; implicit-def: $vgpr3
	s_and_saveexec_b64 s[40:41], vcc
	s_xor_b64 s[40:41], exec, s[40:41]
	s_cbranch_execz .LBB70_1107
; %bb.1102:
	s_mov_b32 s15, 0x387fffff
	v_cmp_lt_u32_e32 vcc, s15, v6
                                        ; implicit-def: $vgpr3
	s_and_saveexec_b64 s[42:43], vcc
	s_xor_b64 s[42:43], exec, s[42:43]
; %bb.1103:
	v_bfe_u32 v3, v2, 21, 1
	s_mov_b32 s15, 0x80fffff
	v_add3_u32 v3, v2, v3, s15
	v_lshrrev_b32_e32 v3, 21, v3
; %bb.1104:
	s_andn2_saveexec_b64 s[42:43], s[42:43]
; %bb.1105:
	s_mov_b32 s15, 0x43000000
	v_add_f32_e64 v3, |v2|, s15
; %bb.1106:
	s_or_b64 exec, exec, s[42:43]
                                        ; implicit-def: $vgpr6
.LBB70_1107:
	s_andn2_saveexec_b64 s[40:41], s[40:41]
; %bb.1108:
	s_mov_b32 s15, 0x7f800000
	v_mov_b32_e32 v3, 0x7c
	v_mov_b32_e32 v7, 0x7f
	v_cmp_lt_u32_e32 vcc, s15, v6
	v_cndmask_b32_e32 v3, v3, v7, vcc
; %bb.1109:
	s_or_b64 exec, exec, s[40:41]
	v_lshrrev_b32_e32 v2, 24, v2
	s_movk_i32 s15, 0x80
	v_and_or_b32 v2, v2, s15, v3
	global_store_byte v[4:5], v2, off
.LBB70_1110:
	s_mov_b64 s[42:43], 0
	s_mov_b64 s[40:41], -1
.LBB70_1111:
	s_andn2_b64 vcc, exec, s[42:43]
	s_cbranch_vccnz .LBB70_1119
; %bb.1112:
	v_mov_b32_e32 v2, 14
	v_cmp_gt_i16_sdwa s[44:45], v18, v2 src0_sel:BYTE_0 src1_sel:DWORD
	s_mov_b64 s[42:43], -1
	s_and_b64 vcc, exec, s[44:45]
	s_cbranch_vccz .LBB70_1116
; %bb.1113:
	v_mov_b32_e32 v2, 15
	v_cmp_eq_u16_sdwa s[42:43], v18, v2 src0_sel:BYTE_0 src1_sel:DWORD
	s_mov_b64 s[0:1], -1
	s_and_b64 vcc, exec, s[42:43]
	s_cbranch_vccz .LBB70_1115
; %bb.1114:
	v_cvt_f32_f64_e32 v2, v[0:1]
	v_bfe_u32 v3, v2, 16, 1
	s_movk_i32 s0, 0x7fff
	v_add3_u32 v3, v2, v3, s0
	v_lshrrev_b32_e32 v3, 16, v3
	v_mov_b32_e32 v6, 0x7fc0
	v_cmp_o_f32_e32 vcc, v2, v2
	v_cndmask_b32_e32 v2, v6, v3, vcc
	global_store_short v[4:5], v2, off
	s_mov_b64 s[40:41], -1
	s_mov_b64 s[0:1], 0
.LBB70_1115:
	s_mov_b64 s[42:43], 0
.LBB70_1116:
	s_and_b64 vcc, exec, s[42:43]
	s_cbranch_vccz .LBB70_1119
; %bb.1117:
	v_mov_b32_e32 v2, 11
	v_cmp_eq_u16_sdwa s[42:43], v18, v2 src0_sel:BYTE_0 src1_sel:DWORD
	s_mov_b64 s[0:1], -1
	s_and_b64 vcc, exec, s[42:43]
	s_cbranch_vccz .LBB70_1119
; %bb.1118:
	v_cmp_neq_f64_e32 vcc, 0, v[0:1]
	s_mov_b64 s[0:1], 0
	v_cndmask_b32_e64 v2, 0, 1, vcc
	s_mov_b64 s[40:41], -1
	global_store_byte v[4:5], v2, off
.LBB70_1119:
	s_mov_b64 s[42:43], 0
.LBB70_1120:
	s_and_b64 vcc, exec, s[42:43]
	s_cbranch_vccz .LBB70_1159
; %bb.1121:
	v_mov_b32_e32 v2, 5
	v_cmp_lt_i16_sdwa s[42:43], v18, v2 src0_sel:BYTE_0 src1_sel:DWORD
	s_mov_b64 s[40:41], -1
	s_and_b64 vcc, exec, s[42:43]
	s_cbranch_vccnz .LBB70_1142
; %bb.1122:
	v_mov_b32_e32 v2, 8
	v_cmp_lt_i16_sdwa s[42:43], v18, v2 src0_sel:BYTE_0 src1_sel:DWORD
	s_and_b64 vcc, exec, s[42:43]
	s_cbranch_vccnz .LBB70_1132
; %bb.1123:
	v_mov_b32_e32 v2, 9
	v_cmp_lt_i16_sdwa s[42:43], v18, v2 src0_sel:BYTE_0 src1_sel:DWORD
	s_and_b64 vcc, exec, s[42:43]
	s_cbranch_vccnz .LBB70_1129
; %bb.1124:
	v_cmp_gt_i16_sdwa s[42:43], v18, v2 src0_sel:BYTE_0 src1_sel:DWORD
	s_and_b64 vcc, exec, s[42:43]
	s_cbranch_vccz .LBB70_1126
; %bb.1125:
	v_mov_b32_e32 v2, 0
	v_mov_b32_e32 v3, v2
	s_mov_b64 s[40:41], 0
	global_store_dwordx4 v[4:5], v[0:3], off
.LBB70_1126:
	s_andn2_b64 vcc, exec, s[40:41]
	s_cbranch_vccnz .LBB70_1128
; %bb.1127:
	v_cvt_f32_f64_e32 v2, v[0:1]
	v_mov_b32_e32 v3, 0
	global_store_dwordx2 v[4:5], v[2:3], off
.LBB70_1128:
	s_mov_b64 s[40:41], 0
.LBB70_1129:
	s_andn2_b64 vcc, exec, s[40:41]
	s_cbranch_vccnz .LBB70_1131
; %bb.1130:
	v_cvt_f32_f64_e32 v2, v[0:1]
	v_cvt_f16_f32_e32 v2, v2
	global_store_dword v[4:5], v2, off
.LBB70_1131:
	s_mov_b64 s[40:41], 0
.LBB70_1132:
	s_andn2_b64 vcc, exec, s[40:41]
	s_cbranch_vccnz .LBB70_1141
; %bb.1133:
	v_mov_b32_e32 v2, 6
	v_cmp_lt_i16_sdwa s[42:43], v18, v2 src0_sel:BYTE_0 src1_sel:DWORD
	s_mov_b64 s[40:41], -1
	s_and_b64 vcc, exec, s[42:43]
	s_cbranch_vccnz .LBB70_1139
; %bb.1134:
	v_cmp_gt_i16_sdwa s[42:43], v18, v2 src0_sel:BYTE_0 src1_sel:DWORD
	s_and_b64 vcc, exec, s[42:43]
	s_cbranch_vccz .LBB70_1136
; %bb.1135:
	s_mov_b64 s[40:41], 0
	global_store_dwordx2 v[4:5], v[0:1], off
.LBB70_1136:
	s_andn2_b64 vcc, exec, s[40:41]
	s_cbranch_vccnz .LBB70_1138
; %bb.1137:
	v_cvt_f32_f64_e32 v2, v[0:1]
	global_store_dword v[4:5], v2, off
.LBB70_1138:
	s_mov_b64 s[40:41], 0
.LBB70_1139:
	s_andn2_b64 vcc, exec, s[40:41]
	s_cbranch_vccnz .LBB70_1141
; %bb.1140:
	v_cvt_f32_f64_e32 v2, v[0:1]
	v_cvt_f16_f32_e32 v2, v2
	global_store_short v[4:5], v2, off
.LBB70_1141:
	s_mov_b64 s[40:41], 0
.LBB70_1142:
	s_andn2_b64 vcc, exec, s[40:41]
	s_cbranch_vccnz .LBB70_1158
; %bb.1143:
	v_mov_b32_e32 v2, 2
	v_cmp_lt_i16_sdwa s[42:43], v18, v2 src0_sel:BYTE_0 src1_sel:DWORD
	s_mov_b64 s[40:41], -1
	s_and_b64 vcc, exec, s[42:43]
	s_cbranch_vccnz .LBB70_1153
; %bb.1144:
	v_mov_b32_e32 v2, 3
	v_cmp_lt_i16_sdwa s[42:43], v18, v2 src0_sel:BYTE_0 src1_sel:DWORD
	s_and_b64 vcc, exec, s[42:43]
	s_cbranch_vccnz .LBB70_1150
; %bb.1145:
	v_cmp_gt_i16_sdwa s[42:43], v18, v2 src0_sel:BYTE_0 src1_sel:DWORD
	s_and_b64 vcc, exec, s[42:43]
	s_cbranch_vccz .LBB70_1147
; %bb.1146:
	v_trunc_f64_e32 v[2:3], v[0:1]
	s_movk_i32 s15, 0xffe0
	v_ldexp_f64 v[6:7], v[2:3], s15
	v_floor_f64_e32 v[6:7], v[6:7]
	v_fmac_f64_e32 v[2:3], 0xc1f00000, v[6:7]
	v_cvt_i32_f64_e32 v9, v[6:7]
	v_cvt_u32_f64_e32 v8, v[2:3]
	s_mov_b64 s[40:41], 0
	global_store_dwordx2 v[4:5], v[8:9], off
.LBB70_1147:
	s_andn2_b64 vcc, exec, s[40:41]
	s_cbranch_vccnz .LBB70_1149
; %bb.1148:
	v_cvt_i32_f64_e32 v2, v[0:1]
	global_store_dword v[4:5], v2, off
.LBB70_1149:
	s_mov_b64 s[40:41], 0
.LBB70_1150:
	s_andn2_b64 vcc, exec, s[40:41]
	s_cbranch_vccnz .LBB70_1152
; %bb.1151:
	v_cvt_i32_f64_e32 v2, v[0:1]
	global_store_short v[4:5], v2, off
.LBB70_1152:
	s_mov_b64 s[40:41], 0
.LBB70_1153:
	s_andn2_b64 vcc, exec, s[40:41]
	s_cbranch_vccnz .LBB70_1158
; %bb.1154:
	v_mov_b32_e32 v2, 0
	v_cmp_gt_i16_sdwa s[42:43], v18, v2 src0_sel:BYTE_0 src1_sel:DWORD
	s_mov_b64 s[40:41], -1
	s_and_b64 vcc, exec, s[42:43]
	s_cbranch_vccz .LBB70_1156
; %bb.1155:
	v_cvt_i32_f64_e32 v2, v[0:1]
	s_mov_b64 s[40:41], 0
	global_store_byte v[4:5], v2, off
.LBB70_1156:
	s_andn2_b64 vcc, exec, s[40:41]
	s_cbranch_vccnz .LBB70_1158
; %bb.1157:
	v_trunc_f64_e32 v[0:1], v[0:1]
	s_movk_i32 s15, 0xffe0
	v_ldexp_f64 v[2:3], v[0:1], s15
	v_floor_f64_e32 v[2:3], v[2:3]
	v_fmac_f64_e32 v[0:1], 0xc1f00000, v[2:3]
	v_cvt_u32_f64_e32 v0, v[0:1]
	global_store_byte v[4:5], v0, off
.LBB70_1158:
	s_mov_b64 s[40:41], -1
.LBB70_1159:
	s_andn2_b64 vcc, exec, s[40:41]
	s_cbranch_vccnz .LBB70_1172
; %bb.1160:
	v_add_u32_e32 v19, 0x80, v19
	s_mov_b64 s[42:43], -1
.LBB70_1161:
	s_andn2_b64 s[40:41], s[28:29], exec
	s_and_b64 s[0:1], s[0:1], exec
	s_or_b64 s[40:41], s[40:41], s[0:1]
	s_andn2_b64 s[0:1], s[26:27], exec
	s_and_b64 s[38:39], s[38:39], exec
	s_or_b64 s[38:39], s[0:1], s[38:39]
	;; [unrolled: 3-line block ×3, first 2 shown]
	s_orn2_b64 s[46:47], s[42:43], exec
.LBB70_1162:
	s_or_b64 exec, exec, s[34:35]
	s_mov_b64 s[42:43], 0
	s_mov_b64 s[36:37], 0
	;; [unrolled: 1-line block ×3, first 2 shown]
                                        ; implicit-def: $vgpr4
                                        ; implicit-def: $vgpr2_vgpr3
                                        ; implicit-def: $vgpr0_vgpr1
	s_and_saveexec_b64 s[34:35], s[46:47]
	s_cbranch_execz .LBB70_1246
; %bb.1163:
	v_cmp_gt_i32_e32 vcc, s33, v19
	s_mov_b64 s[46:47], 0
	s_mov_b64 s[48:49], s[0:1]
	;; [unrolled: 1-line block ×4, first 2 shown]
                                        ; implicit-def: $vgpr4
                                        ; implicit-def: $vgpr2_vgpr3
                                        ; implicit-def: $vgpr0_vgpr1
	s_and_saveexec_b64 s[36:37], vcc
	s_cbranch_execz .LBB70_1245
; %bb.1164:
	s_waitcnt vmcnt(0)
	v_mul_lo_u32 v0, v19, s13
	v_ashrrev_i32_e32 v1, 31, v0
	v_mov_b32_e32 v3, s11
	v_add_co_u32_e32 v2, vcc, s10, v0
	v_addc_co_u32_e32 v3, vcc, v3, v1, vcc
	v_and_b32_e32 v4, 0xff, v16
	v_cmp_gt_i16_e32 vcc, 11, v4
	s_cbranch_vccnz .LBB70_1171
; %bb.1165:
	v_cmp_lt_i16_e32 vcc, 25, v4
	s_cbranch_vccz .LBB70_1173
; %bb.1166:
	v_cmp_lt_i16_e32 vcc, 28, v4
	s_cbranch_vccz .LBB70_1174
	;; [unrolled: 3-line block ×4, first 2 shown]
; %bb.1169:
	v_cmp_eq_u16_e32 vcc, 46, v4
	s_mov_b64 s[48:49], 0
	s_cbranch_vccz .LBB70_1179
; %bb.1170:
	global_load_dword v0, v[2:3], off
	s_mov_b64 s[46:47], -1
	s_waitcnt vmcnt(0)
	v_lshlrev_b32_e32 v0, 16, v0
	v_cvt_f64_f32_e32 v[0:1], v0
	s_branch .LBB70_1181
.LBB70_1171:
	s_mov_b64 s[48:49], -1
                                        ; implicit-def: $vgpr0_vgpr1
	s_mov_b64 s[42:43], s[0:1]
	s_branch .LBB70_1244
.LBB70_1172:
	s_mov_b64 s[42:43], 0
	s_branch .LBB70_914
.LBB70_1173:
	s_mov_b64 s[48:49], -1
	s_mov_b64 s[42:43], s[0:1]
                                        ; implicit-def: $vgpr0_vgpr1
	s_branch .LBB70_1210
.LBB70_1174:
	s_mov_b64 s[48:49], -1
	s_mov_b64 s[42:43], s[0:1]
                                        ; implicit-def: $vgpr0_vgpr1
	s_branch .LBB70_1191
.LBB70_1175:
	s_mov_b64 s[48:49], -1
	s_mov_b64 s[42:43], s[0:1]
                                        ; implicit-def: $vgpr0_vgpr1
	s_branch .LBB70_1186
.LBB70_1176:
	s_mov_b64 s[48:49], -1
	s_mov_b64 s[42:43], s[0:1]
	s_branch .LBB70_1180
.LBB70_1177:
	s_or_saveexec_b64 s[44:45], s[44:45]
                                        ; implicit-def: $sgpr15
	s_xor_b64 exec, exec, s[44:45]
	s_cbranch_execz .LBB70_1072
.LBB70_1178:
	s_mov_b32 s15, 0x46000000
	v_add_f32_e64 v3, |v2|, s15
	v_and_b32_e32 v3, 0xff, v3
	v_cmp_ne_u32_e32 vcc, 0, v3
	s_andn2_b64 s[42:43], s[42:43], exec
	s_and_b64 s[46:47], vcc, exec
	s_mov_b32 s15, 0
	s_or_b64 s[42:43], s[42:43], s[46:47]
	s_or_b64 exec, exec, s[44:45]
	v_mov_b32_e32 v6, s15
	s_and_saveexec_b64 s[44:45], s[42:43]
	s_cbranch_execnz .LBB70_1073
	s_branch .LBB70_1074
.LBB70_1179:
	s_mov_b64 s[42:43], -1
.LBB70_1180:
                                        ; implicit-def: $vgpr0_vgpr1
.LBB70_1181:
	s_and_b64 vcc, exec, s[48:49]
	s_cbranch_vccz .LBB70_1185
; %bb.1182:
	v_cmp_eq_u16_e32 vcc, 44, v4
	s_cbranch_vccz .LBB70_1184
; %bb.1183:
	global_load_ubyte v5, v[2:3], off
	s_movk_i32 s15, 0xff
	v_bfrev_b32_e32 v6, 4
	v_mov_b32_e32 v7, 0x7ff80000
	v_bfrev_b32_e32 v8, 28
	s_mov_b64 s[42:43], 0
	s_mov_b64 s[46:47], -1
	s_waitcnt vmcnt(0)
	v_lshlrev_b32_e32 v0, 23, v5
	v_cvt_f64_f32_e32 v[0:1], v0
	v_cmp_ne_u32_e32 vcc, s15, v5
	v_cndmask_b32_e32 v0, v6, v0, vcc
	v_cndmask_b32_e32 v1, v7, v1, vcc
	v_cmp_ne_u32_e32 vcc, 0, v5
	v_cndmask_b32_e32 v1, v8, v1, vcc
	v_cndmask_b32_e32 v0, 0, v0, vcc
	s_branch .LBB70_1185
.LBB70_1184:
	s_mov_b64 s[42:43], -1
                                        ; implicit-def: $vgpr0_vgpr1
.LBB70_1185:
	s_mov_b64 s[48:49], 0
.LBB70_1186:
	s_and_b64 vcc, exec, s[48:49]
	s_cbranch_vccz .LBB70_1190
; %bb.1187:
	v_cmp_eq_u16_e32 vcc, 29, v4
	s_cbranch_vccz .LBB70_1189
; %bb.1188:
	global_load_dwordx2 v[0:1], v[2:3], off
	s_mov_b64 s[42:43], 0
	s_mov_b64 s[46:47], -1
	s_mov_b64 s[48:49], 0
	s_waitcnt vmcnt(0)
	v_cvt_f64_u32_e32 v[6:7], v1
	v_cvt_f64_u32_e32 v[0:1], v0
	v_ldexp_f64 v[6:7], v[6:7], 32
	v_add_f64 v[0:1], v[6:7], v[0:1]
	s_branch .LBB70_1191
.LBB70_1189:
	s_mov_b64 s[42:43], -1
                                        ; implicit-def: $vgpr0_vgpr1
.LBB70_1190:
	s_mov_b64 s[48:49], 0
.LBB70_1191:
	s_and_b64 vcc, exec, s[48:49]
	s_cbranch_vccz .LBB70_1209
; %bb.1192:
	v_cmp_gt_i16_e32 vcc, 27, v4
	s_cbranch_vccnz .LBB70_1195
; %bb.1193:
	v_cmp_lt_i16_e32 vcc, 27, v4
	s_cbranch_vccz .LBB70_1196
; %bb.1194:
	global_load_dword v0, v[2:3], off
	s_mov_b64 s[46:47], 0
	s_waitcnt vmcnt(0)
	v_cvt_f64_u32_e32 v[0:1], v0
	s_branch .LBB70_1197
.LBB70_1195:
	s_mov_b64 s[46:47], -1
                                        ; implicit-def: $vgpr0_vgpr1
	s_branch .LBB70_1200
.LBB70_1196:
	s_mov_b64 s[46:47], -1
                                        ; implicit-def: $vgpr0_vgpr1
.LBB70_1197:
	s_andn2_b64 vcc, exec, s[46:47]
	s_cbranch_vccnz .LBB70_1199
; %bb.1198:
	global_load_ushort v0, v[2:3], off
	s_waitcnt vmcnt(0)
	v_cvt_f64_u32_e32 v[0:1], v0
.LBB70_1199:
	s_mov_b64 s[46:47], 0
.LBB70_1200:
	s_andn2_b64 vcc, exec, s[46:47]
	s_cbranch_vccnz .LBB70_1208
; %bb.1201:
	global_load_ubyte v5, v[2:3], off
	s_movk_i32 s15, 0x7f
	s_mov_b64 s[46:47], 0
                                        ; implicit-def: $sgpr48_sgpr49
	s_waitcnt vmcnt(0)
	v_cmp_lt_i16_e32 vcc, s15, v5
	s_and_saveexec_b64 s[50:51], vcc
	s_xor_b64 s[50:51], exec, s[50:51]
	s_cbranch_execz .LBB70_1222
; %bb.1202:
	s_movk_i32 s15, 0x80
	v_cmp_eq_u16_e32 vcc, s15, v5
	s_mov_b64 s[52:53], -1
                                        ; implicit-def: $sgpr48_sgpr49
	s_and_saveexec_b64 s[46:47], vcc
; %bb.1203:
	s_mov_b32 s49, 0x7ff80000
	s_brev_b32 s48, 4
	s_xor_b64 s[52:53], exec, -1
; %bb.1204:
	s_or_b64 exec, exec, s[46:47]
	s_and_b64 s[46:47], s[52:53], exec
	s_or_saveexec_b64 s[50:51], s[50:51]
	v_pk_mov_b32 v[0:1], s[48:49], s[48:49] op_sel:[0,1]
	s_xor_b64 exec, exec, s[50:51]
	s_cbranch_execnz .LBB70_1223
.LBB70_1205:
	s_or_b64 exec, exec, s[50:51]
	s_and_saveexec_b64 s[48:49], s[46:47]
	s_cbranch_execz .LBB70_1207
.LBB70_1206:
	v_and_b32_e32 v1, 0xffff, v5
	v_lshlrev_b32_e32 v0, 24, v5
	v_and_b32_e32 v5, 7, v1
	v_ffbh_u32_e32 v7, v5
	v_min_u32_e32 v7, 32, v7
	v_subrev_u32_e32 v8, 28, v7
	v_bfe_u32 v6, v1, 3, 4
	v_lshlrev_b32_e32 v1, v8, v1
	v_sub_u32_e32 v7, 29, v7
	v_and_b32_e32 v1, 7, v1
	v_cmp_eq_u32_e32 vcc, 0, v6
	v_cndmask_b32_e32 v6, v6, v7, vcc
	v_cndmask_b32_e32 v1, v5, v1, vcc
	v_mov_b32_e32 v5, 0x3b800000
	v_lshlrev_b32_e32 v1, 20, v1
	v_and_b32_e32 v0, 0x80000000, v0
	v_lshl_add_u32 v5, v6, 23, v5
	v_or3_b32 v0, v0, v5, v1
	v_cvt_f64_f32_e32 v[0:1], v0
.LBB70_1207:
	s_or_b64 exec, exec, s[48:49]
.LBB70_1208:
	s_mov_b64 s[46:47], -1
.LBB70_1209:
	s_mov_b64 s[48:49], 0
.LBB70_1210:
	s_and_b64 vcc, exec, s[48:49]
	s_cbranch_vccz .LBB70_1243
; %bb.1211:
	v_cmp_lt_i16_e32 vcc, 22, v4
	s_cbranch_vccz .LBB70_1221
; %bb.1212:
	v_cmp_gt_i16_e32 vcc, 24, v4
	s_cbranch_vccnz .LBB70_1224
; %bb.1213:
	v_cmp_lt_i16_e32 vcc, 24, v4
	s_cbranch_vccz .LBB70_1225
; %bb.1214:
	global_load_ubyte v5, v[2:3], off
	s_movk_i32 s15, 0x7f
                                        ; implicit-def: $sgpr46_sgpr47
	s_waitcnt vmcnt(0)
	v_cmp_lt_i16_e32 vcc, s15, v5
	s_and_saveexec_b64 s[48:49], vcc
	s_xor_b64 s[48:49], exec, s[48:49]
	s_cbranch_execz .LBB70_1237
; %bb.1215:
	s_movk_i32 s15, 0x80
	v_cmp_eq_u16_e32 vcc, s15, v5
	s_mov_b64 s[50:51], -1
                                        ; implicit-def: $sgpr46_sgpr47
	s_and_saveexec_b64 s[44:45], vcc
; %bb.1216:
	s_mov_b32 s47, 0x7ff80000
	s_brev_b32 s46, 4
	s_xor_b64 s[50:51], exec, -1
; %bb.1217:
	s_or_b64 exec, exec, s[44:45]
	s_and_b64 s[44:45], s[50:51], exec
	s_or_saveexec_b64 s[48:49], s[48:49]
	v_pk_mov_b32 v[0:1], s[46:47], s[46:47] op_sel:[0,1]
	s_xor_b64 exec, exec, s[48:49]
	s_cbranch_execnz .LBB70_1238
.LBB70_1218:
	s_or_b64 exec, exec, s[48:49]
	s_and_saveexec_b64 s[46:47], s[44:45]
	s_cbranch_execz .LBB70_1220
.LBB70_1219:
	v_and_b32_e32 v1, 0xffff, v5
	v_lshlrev_b32_e32 v0, 24, v5
	v_and_b32_e32 v5, 3, v1
	v_ffbh_u32_e32 v7, v5
	v_min_u32_e32 v7, 32, v7
	v_subrev_u32_e32 v8, 29, v7
	v_bfe_u32 v6, v1, 2, 5
	v_lshlrev_b32_e32 v1, v8, v1
	v_sub_u32_e32 v7, 30, v7
	v_and_b32_e32 v1, 3, v1
	v_cmp_eq_u32_e32 vcc, 0, v6
	v_cndmask_b32_e32 v6, v6, v7, vcc
	v_cndmask_b32_e32 v1, v5, v1, vcc
	v_mov_b32_e32 v5, 0x37800000
	v_lshlrev_b32_e32 v1, 21, v1
	v_and_b32_e32 v0, 0x80000000, v0
	v_lshl_add_u32 v5, v6, 23, v5
	v_or3_b32 v0, v0, v5, v1
	v_cvt_f64_f32_e32 v[0:1], v0
.LBB70_1220:
	s_or_b64 exec, exec, s[46:47]
	s_mov_b64 s[44:45], 0
	s_branch .LBB70_1226
.LBB70_1221:
	s_mov_b64 s[44:45], -1
                                        ; implicit-def: $vgpr0_vgpr1
	s_branch .LBB70_1232
.LBB70_1222:
	s_or_saveexec_b64 s[50:51], s[50:51]
	v_pk_mov_b32 v[0:1], s[48:49], s[48:49] op_sel:[0,1]
	s_xor_b64 exec, exec, s[50:51]
	s_cbranch_execz .LBB70_1205
.LBB70_1223:
	v_cmp_ne_u16_e32 vcc, 0, v5
	s_andn2_b64 s[46:47], s[46:47], exec
	s_and_b64 s[48:49], vcc, exec
	v_pk_mov_b32 v[0:1], 0, 0
	s_or_b64 s[46:47], s[46:47], s[48:49]
	s_or_b64 exec, exec, s[50:51]
	s_and_saveexec_b64 s[48:49], s[46:47]
	s_cbranch_execnz .LBB70_1206
	s_branch .LBB70_1207
.LBB70_1224:
	s_mov_b64 s[44:45], -1
                                        ; implicit-def: $vgpr0_vgpr1
	s_branch .LBB70_1229
.LBB70_1225:
	s_mov_b64 s[44:45], -1
                                        ; implicit-def: $vgpr0_vgpr1
.LBB70_1226:
	s_and_b64 vcc, exec, s[44:45]
	s_cbranch_vccz .LBB70_1228
; %bb.1227:
	global_load_ubyte v0, v[2:3], off
	s_mov_b32 s15, 0x7f800000
	s_waitcnt vmcnt(0)
	v_lshlrev_b32_e32 v0, 24, v0
	v_and_b32_e32 v1, 0x7f000000, v0
	v_ffbh_u32_e32 v5, v1
	v_min_u32_e32 v5, 32, v5
	v_sub_u32_e64 v5, v5, 4 clamp
	v_lshlrev_b32_e32 v7, v5, v1
	v_lshlrev_b32_e32 v5, 23, v5
	v_lshrrev_b32_e32 v7, 4, v7
	v_add_u32_e32 v6, 0x1000000, v1
	v_sub_u32_e32 v5, v7, v5
	v_ashrrev_i32_e32 v6, 8, v6
	v_add_u32_e32 v5, 0x3c000000, v5
	v_and_or_b32 v5, v6, s15, v5
	v_cmp_ne_u32_e32 vcc, 0, v1
	v_cndmask_b32_e32 v1, 0, v5, vcc
	s_brev_b32 s15, 1
	v_and_or_b32 v0, v0, s15, v1
	v_cvt_f64_f32_e32 v[0:1], v0
.LBB70_1228:
	s_mov_b64 s[44:45], 0
.LBB70_1229:
	s_andn2_b64 vcc, exec, s[44:45]
	s_cbranch_vccnz .LBB70_1231
; %bb.1230:
	global_load_ubyte v0, v[2:3], off
	s_movk_i32 s15, 0x7f00
	s_brev_b32 s33, 16
	s_waitcnt vmcnt(0)
	v_lshlrev_b16_e32 v1, 8, v0
	v_lshlrev_b32_e32 v0, 25, v0
	v_lshrrev_b32_e32 v5, 4, v0
	v_and_or_b32 v6, v1, s15, 0.5
	v_or_b32_e32 v5, 0x70000000, v5
	v_add_f32_e32 v6, -0.5, v6
	v_mul_f32_e32 v5, 0x7800000, v5
	v_cmp_gt_u32_e32 vcc, s33, v0
	v_bfe_i32 v1, v1, 0, 16
	v_cndmask_b32_e32 v0, v5, v6, vcc
	s_brev_b32 s15, 1
	v_and_or_b32 v0, v1, s15, v0
	v_cvt_f64_f32_e32 v[0:1], v0
.LBB70_1231:
	s_mov_b64 s[44:45], 0
	s_mov_b64 s[46:47], -1
.LBB70_1232:
	s_andn2_b64 vcc, exec, s[44:45]
	s_mov_b64 s[44:45], 0
	s_cbranch_vccnz .LBB70_1243
; %bb.1233:
	v_cmp_lt_i16_e32 vcc, 14, v4
	s_cbranch_vccz .LBB70_1236
; %bb.1234:
	v_cmp_eq_u16_e32 vcc, 15, v4
	s_cbranch_vccz .LBB70_1239
; %bb.1235:
	global_load_ushort v0, v[2:3], off
	s_mov_b64 s[42:43], 0
	s_mov_b64 s[46:47], -1
	s_waitcnt vmcnt(0)
	v_lshlrev_b32_e32 v0, 16, v0
	v_cvt_f64_f32_e32 v[0:1], v0
	s_branch .LBB70_1240
.LBB70_1236:
	s_mov_b64 s[48:49], -1
                                        ; implicit-def: $vgpr0_vgpr1
	s_branch .LBB70_1241
.LBB70_1237:
	s_or_saveexec_b64 s[48:49], s[48:49]
	v_pk_mov_b32 v[0:1], s[46:47], s[46:47] op_sel:[0,1]
	s_xor_b64 exec, exec, s[48:49]
	s_cbranch_execz .LBB70_1218
.LBB70_1238:
	v_cmp_ne_u16_e32 vcc, 0, v5
	s_andn2_b64 s[44:45], s[44:45], exec
	s_and_b64 s[46:47], vcc, exec
	v_pk_mov_b32 v[0:1], 0, 0
	s_or_b64 s[44:45], s[44:45], s[46:47]
	s_or_b64 exec, exec, s[48:49]
	s_and_saveexec_b64 s[46:47], s[44:45]
	s_cbranch_execnz .LBB70_1219
	s_branch .LBB70_1220
.LBB70_1239:
	s_mov_b64 s[42:43], -1
                                        ; implicit-def: $vgpr0_vgpr1
.LBB70_1240:
	s_mov_b64 s[48:49], 0
.LBB70_1241:
	s_and_b64 vcc, exec, s[48:49]
	s_cbranch_vccz .LBB70_1243
; %bb.1242:
	v_cmp_ne_u16_e32 vcc, 11, v4
	s_andn2_b64 s[42:43], s[42:43], exec
	s_and_b64 s[48:49], vcc, exec
	s_mov_b64 s[44:45], -1
	s_or_b64 s[42:43], s[42:43], s[48:49]
                                        ; implicit-def: $vgpr0_vgpr1
.LBB70_1243:
	s_mov_b64 s[48:49], 0
.LBB70_1244:
	s_and_b64 s[52:53], s[46:47], exec
	s_and_b64 s[46:47], s[44:45], exec
	s_andn2_b64 s[44:45], s[0:1], exec
	s_and_b64 s[42:43], s[42:43], exec
	s_and_b64 s[50:51], s[48:49], exec
	s_or_b64 s[48:49], s[44:45], s[42:43]
.LBB70_1245:
	s_or_b64 exec, exec, s[36:37]
	s_and_b64 s[42:43], s[46:47], exec
	s_andn2_b64 s[0:1], s[0:1], exec
	s_and_b64 s[46:47], s[48:49], exec
	s_and_b64 s[44:45], s[52:53], exec
	;; [unrolled: 1-line block ×3, first 2 shown]
	s_or_b64 s[0:1], s[0:1], s[46:47]
.LBB70_1246:
	s_or_b64 exec, exec, s[34:35]
	s_andn2_b64 s[28:29], s[28:29], exec
	s_and_b64 s[34:35], s[40:41], exec
	s_or_b64 s[28:29], s[28:29], s[34:35]
	s_andn2_b64 s[26:27], s[26:27], exec
	s_and_b64 s[34:35], s[38:39], exec
	s_andn2_b64 s[24:25], s[24:25], exec
	s_and_b64 s[0:1], s[0:1], exec
	s_or_b64 s[26:27], s[26:27], s[34:35]
	s_and_b64 s[38:39], s[44:45], exec
	s_and_b64 s[36:37], s[36:37], exec
	;; [unrolled: 1-line block ×3, first 2 shown]
	s_or_b64 s[24:25], s[24:25], s[0:1]
.LBB70_1247:
	s_or_b64 exec, exec, s[30:31]
	s_andn2_b64 s[0:1], s[6:7], exec
	s_and_b64 s[6:7], s[28:29], exec
	s_or_b64 s[6:7], s[0:1], s[6:7]
	s_andn2_b64 s[0:1], s[18:19], exec
	s_and_b64 s[18:19], s[26:27], exec
	s_or_b64 s[18:19], s[0:1], s[18:19]
	s_andn2_b64 s[0:1], s[20:21], exec
	s_and_b64 s[20:21], s[24:25], exec
	s_and_b64 s[28:29], s[38:39], exec
	;; [unrolled: 1-line block ×4, first 2 shown]
	s_or_b64 s[20:21], s[0:1], s[20:21]
	s_or_b64 exec, exec, s[22:23]
	s_mov_b64 s[22:23], 0
	s_and_saveexec_b64 s[0:1], s[20:21]
	s_cbranch_execz .LBB70_393
.LBB70_1248:
	s_mov_b64 s[22:23], exec
	s_andn2_b64 s[26:27], s[26:27], exec
	s_trap 2
                                        ; implicit-def: $vgpr0_vgpr1
	s_or_b64 exec, exec, s[0:1]
	s_and_saveexec_b64 s[0:1], s[26:27]
	s_xor_b64 s[0:1], exec, s[0:1]
	s_cbranch_execnz .LBB70_394
.LBB70_1249:
	s_or_b64 exec, exec, s[0:1]
	s_and_saveexec_b64 s[0:1], s[30:31]
	s_cbranch_execz .LBB70_1295
.LBB70_1250:
	s_waitcnt vmcnt(0)
	v_cmp_gt_i16_e32 vcc, 5, v4
	s_cbranch_vccnz .LBB70_1255
; %bb.1251:
	v_cmp_gt_i16_e32 vcc, 8, v4
	s_cbranch_vccnz .LBB70_1256
; %bb.1252:
	;; [unrolled: 3-line block ×3, first 2 shown]
	v_cmp_lt_i16_e32 vcc, 9, v4
	s_cbranch_vccz .LBB70_1258
; %bb.1254:
	global_load_dwordx2 v[0:1], v[2:3], off
	s_mov_b64 s[20:21], 0
	s_branch .LBB70_1259
.LBB70_1255:
                                        ; implicit-def: $vgpr0_vgpr1
	s_branch .LBB70_1276
.LBB70_1256:
                                        ; implicit-def: $vgpr0_vgpr1
	s_branch .LBB70_1265
.LBB70_1257:
	s_mov_b64 s[20:21], -1
                                        ; implicit-def: $vgpr0_vgpr1
	s_branch .LBB70_1262
.LBB70_1258:
	s_mov_b64 s[20:21], -1
                                        ; implicit-def: $vgpr0_vgpr1
.LBB70_1259:
	s_andn2_b64 vcc, exec, s[20:21]
	s_cbranch_vccnz .LBB70_1261
; %bb.1260:
	global_load_dword v0, v[2:3], off
	s_waitcnt vmcnt(0)
	v_cvt_f64_f32_e32 v[0:1], v0
.LBB70_1261:
	s_mov_b64 s[20:21], 0
.LBB70_1262:
	s_andn2_b64 vcc, exec, s[20:21]
	s_cbranch_vccnz .LBB70_1264
; %bb.1263:
	global_load_dword v0, v[2:3], off
	s_waitcnt vmcnt(0)
	v_cvt_f32_f16_e32 v0, v0
	v_cvt_f64_f32_e32 v[0:1], v0
.LBB70_1264:
	s_cbranch_execnz .LBB70_1275
.LBB70_1265:
	v_cmp_gt_i16_e32 vcc, 6, v4
	s_cbranch_vccnz .LBB70_1268
; %bb.1266:
	v_cmp_lt_i16_e32 vcc, 6, v4
	s_cbranch_vccz .LBB70_1269
; %bb.1267:
	global_load_dwordx2 v[0:1], v[2:3], off
	s_mov_b64 s[20:21], 0
	s_branch .LBB70_1270
.LBB70_1268:
	s_mov_b64 s[20:21], -1
                                        ; implicit-def: $vgpr0_vgpr1
	s_branch .LBB70_1273
.LBB70_1269:
	s_mov_b64 s[20:21], -1
                                        ; implicit-def: $vgpr0_vgpr1
.LBB70_1270:
	s_andn2_b64 vcc, exec, s[20:21]
	s_cbranch_vccnz .LBB70_1272
; %bb.1271:
	global_load_dword v0, v[2:3], off
	s_waitcnt vmcnt(0)
	v_cvt_f64_f32_e32 v[0:1], v0
.LBB70_1272:
	s_mov_b64 s[20:21], 0
.LBB70_1273:
	s_andn2_b64 vcc, exec, s[20:21]
	s_cbranch_vccnz .LBB70_1275
; %bb.1274:
	global_load_ushort v0, v[2:3], off
	s_waitcnt vmcnt(0)
	v_cvt_f32_f16_e32 v0, v0
	v_cvt_f64_f32_e32 v[0:1], v0
.LBB70_1275:
	s_cbranch_execnz .LBB70_1294
.LBB70_1276:
	v_cmp_gt_i16_e32 vcc, 2, v4
	s_cbranch_vccnz .LBB70_1280
; %bb.1277:
	v_cmp_gt_i16_e32 vcc, 3, v4
	s_cbranch_vccnz .LBB70_1281
; %bb.1278:
	v_cmp_lt_i16_e32 vcc, 3, v4
	s_cbranch_vccz .LBB70_1282
; %bb.1279:
	global_load_dwordx2 v[0:1], v[2:3], off
	s_mov_b64 s[20:21], 0
	s_waitcnt vmcnt(0)
	v_cvt_f64_i32_e32 v[6:7], v1
	v_cvt_f64_u32_e32 v[0:1], v0
	v_ldexp_f64 v[6:7], v[6:7], 32
	v_add_f64 v[0:1], v[6:7], v[0:1]
	s_branch .LBB70_1283
.LBB70_1280:
                                        ; implicit-def: $vgpr0_vgpr1
	s_branch .LBB70_1289
.LBB70_1281:
	s_mov_b64 s[20:21], -1
                                        ; implicit-def: $vgpr0_vgpr1
	s_branch .LBB70_1286
.LBB70_1282:
	s_mov_b64 s[20:21], -1
                                        ; implicit-def: $vgpr0_vgpr1
.LBB70_1283:
	s_andn2_b64 vcc, exec, s[20:21]
	s_cbranch_vccnz .LBB70_1285
; %bb.1284:
	global_load_dword v0, v[2:3], off
	s_waitcnt vmcnt(0)
	v_cvt_f64_i32_e32 v[0:1], v0
.LBB70_1285:
	s_mov_b64 s[20:21], 0
.LBB70_1286:
	s_andn2_b64 vcc, exec, s[20:21]
	s_cbranch_vccnz .LBB70_1288
; %bb.1287:
	global_load_sshort v0, v[2:3], off
	s_waitcnt vmcnt(0)
	v_cvt_f64_i32_e32 v[0:1], v0
.LBB70_1288:
	s_cbranch_execnz .LBB70_1294
.LBB70_1289:
	v_cmp_lt_i16_e32 vcc, 0, v4
	s_cbranch_vccz .LBB70_1291
; %bb.1290:
	global_load_sbyte v0, v[2:3], off
	s_mov_b64 s[20:21], 0
	s_waitcnt vmcnt(0)
	v_cvt_f64_i32_e32 v[0:1], v0
	s_branch .LBB70_1292
.LBB70_1291:
	s_mov_b64 s[20:21], -1
                                        ; implicit-def: $vgpr0_vgpr1
.LBB70_1292:
	s_andn2_b64 vcc, exec, s[20:21]
	s_cbranch_vccnz .LBB70_1294
; %bb.1293:
	global_load_ubyte v0, v[2:3], off
	s_waitcnt vmcnt(0)
	v_cvt_f64_u32_e32 v[0:1], v0
.LBB70_1294:
	s_or_b64 s[28:29], s[28:29], exec
.LBB70_1295:
	s_or_b64 exec, exec, s[0:1]
	s_mov_b64 s[24:25], 0
	s_mov_b64 s[30:31], 0
	;; [unrolled: 1-line block ×3, first 2 shown]
                                        ; implicit-def: $vgpr4
                                        ; implicit-def: $vgpr2_vgpr3
                                        ; implicit-def: $vgpr6_vgpr7
	s_and_saveexec_b64 s[0:1], s[28:29]
	s_cbranch_execz .LBB70_1303
; %bb.1296:
	v_mul_lo_u32 v2, v19, s14
	v_ashrrev_i32_e32 v3, 31, v2
	s_waitcnt vmcnt(0)
	v_mov_b32_e32 v4, s3
	v_add_co_u32_e32 v2, vcc, s2, v2
	v_addc_co_u32_e32 v3, vcc, v4, v3, vcc
	v_and_b32_e32 v4, 0xff, v20
	v_cmp_gt_i16_e32 vcc, 11, v4
	s_cbranch_vccnz .LBB70_1306
; %bb.1297:
	v_cmp_lt_i16_e32 vcc, 25, v4
	s_cbranch_vccz .LBB70_1307
; %bb.1298:
	v_cmp_lt_i16_e32 vcc, 28, v4
	s_cbranch_vccz .LBB70_1308
	;; [unrolled: 3-line block ×4, first 2 shown]
; %bb.1301:
	v_cmp_eq_u16_e32 vcc, 46, v4
	s_mov_b64 s[28:29], 0
	s_cbranch_vccz .LBB70_1311
; %bb.1302:
	global_load_dword v5, v[2:3], off
	s_mov_b64 s[20:21], 0
	s_mov_b64 s[26:27], -1
	s_waitcnt vmcnt(0)
	v_lshlrev_b32_e32 v5, 16, v5
	v_cvt_f64_f32_e32 v[6:7], v5
	s_branch .LBB70_1313
.LBB70_1303:
	s_or_b64 exec, exec, s[0:1]
	s_and_saveexec_b64 s[0:1], s[18:19]
	s_cbranch_execnz .LBB70_1376
.LBB70_1304:
	s_or_b64 exec, exec, s[0:1]
	s_and_saveexec_b64 s[0:1], s[24:25]
	s_xor_b64 s[0:1], exec, s[0:1]
	s_cbranch_execz .LBB70_1377
.LBB70_1305:
	global_load_ubyte v5, v[2:3], off
	v_mov_b32_e32 v6, 0x3ff00000
	s_or_b64 s[26:27], s[26:27], exec
	s_waitcnt vmcnt(0)
	v_cmp_ne_u16_e32 vcc, 0, v5
	v_cndmask_b32_e32 v7, 0, v6, vcc
	s_or_b64 exec, exec, s[0:1]
	s_and_saveexec_b64 s[0:1], s[30:31]
	s_cbranch_execz .LBB70_1423
	s_branch .LBB70_1378
.LBB70_1306:
	s_mov_b64 s[28:29], -1
                                        ; implicit-def: $vgpr6_vgpr7
	s_mov_b64 s[20:21], s[18:19]
	s_branch .LBB70_1375
.LBB70_1307:
	s_mov_b64 s[20:21], s[18:19]
                                        ; implicit-def: $vgpr6_vgpr7
	s_cbranch_execnz .LBB70_1342
	s_branch .LBB70_1374
.LBB70_1308:
	s_mov_b64 s[28:29], -1
	s_mov_b64 s[20:21], s[18:19]
                                        ; implicit-def: $vgpr6_vgpr7
	s_branch .LBB70_1323
.LBB70_1309:
	s_mov_b64 s[28:29], -1
	s_mov_b64 s[20:21], s[18:19]
                                        ; implicit-def: $vgpr6_vgpr7
	s_branch .LBB70_1318
.LBB70_1310:
	s_mov_b64 s[28:29], -1
	s_mov_b64 s[20:21], s[18:19]
	s_branch .LBB70_1312
.LBB70_1311:
	s_mov_b64 s[20:21], -1
.LBB70_1312:
                                        ; implicit-def: $vgpr6_vgpr7
.LBB70_1313:
	s_and_b64 vcc, exec, s[28:29]
	s_cbranch_vccz .LBB70_1317
; %bb.1314:
	v_cmp_eq_u16_e32 vcc, 44, v4
	s_cbranch_vccz .LBB70_1316
; %bb.1315:
	global_load_ubyte v5, v[2:3], off
	s_movk_i32 s15, 0xff
	v_mov_b32_e32 v8, 0x7ff80000
	v_bfrev_b32_e32 v9, 28
	s_mov_b64 s[20:21], 0
	s_mov_b64 s[26:27], -1
	s_waitcnt vmcnt(0)
	v_lshlrev_b32_e32 v6, 23, v5
	v_cvt_f64_f32_e32 v[6:7], v6
	v_cmp_ne_u32_e32 vcc, s15, v5
	v_cndmask_b32_e32 v6, v8, v7, vcc
	v_cmp_ne_u32_e32 vcc, 0, v5
	v_cndmask_b32_e32 v7, v9, v6, vcc
	s_branch .LBB70_1317
.LBB70_1316:
	s_mov_b64 s[20:21], -1
                                        ; implicit-def: $vgpr6_vgpr7
.LBB70_1317:
	s_mov_b64 s[28:29], 0
.LBB70_1318:
	s_and_b64 vcc, exec, s[28:29]
	s_cbranch_vccz .LBB70_1322
; %bb.1319:
	v_cmp_eq_u16_e32 vcc, 29, v4
	s_cbranch_vccz .LBB70_1321
; %bb.1320:
	global_load_dwordx2 v[6:7], v[2:3], off
	s_mov_b64 s[20:21], 0
	s_mov_b64 s[26:27], -1
	s_mov_b64 s[28:29], 0
	s_waitcnt vmcnt(0)
	v_cvt_f64_u32_e32 v[8:9], v7
	v_cvt_f64_u32_e32 v[6:7], v6
	v_ldexp_f64 v[8:9], v[8:9], 32
	v_add_f64 v[6:7], v[8:9], v[6:7]
	s_branch .LBB70_1323
.LBB70_1321:
	s_mov_b64 s[20:21], -1
                                        ; implicit-def: $vgpr6_vgpr7
.LBB70_1322:
	s_mov_b64 s[28:29], 0
.LBB70_1323:
	s_and_b64 vcc, exec, s[28:29]
	s_cbranch_vccz .LBB70_1341
; %bb.1324:
	v_cmp_gt_i16_e32 vcc, 27, v4
	s_cbranch_vccnz .LBB70_1327
; %bb.1325:
	v_cmp_lt_i16_e32 vcc, 27, v4
	s_cbranch_vccz .LBB70_1328
; %bb.1326:
	global_load_dword v5, v[2:3], off
	s_mov_b64 s[26:27], 0
	s_waitcnt vmcnt(0)
	v_cvt_f64_u32_e32 v[6:7], v5
	s_branch .LBB70_1329
.LBB70_1327:
	s_mov_b64 s[26:27], -1
                                        ; implicit-def: $vgpr6_vgpr7
	s_branch .LBB70_1332
.LBB70_1328:
	s_mov_b64 s[26:27], -1
                                        ; implicit-def: $vgpr6_vgpr7
.LBB70_1329:
	s_andn2_b64 vcc, exec, s[26:27]
	s_cbranch_vccnz .LBB70_1331
; %bb.1330:
	global_load_ushort v5, v[2:3], off
	s_waitcnt vmcnt(0)
	v_cvt_f64_u32_e32 v[6:7], v5
.LBB70_1331:
	s_mov_b64 s[26:27], 0
.LBB70_1332:
	s_andn2_b64 vcc, exec, s[26:27]
	s_cbranch_vccnz .LBB70_1340
; %bb.1333:
	global_load_ubyte v5, v[2:3], off
	s_movk_i32 s15, 0x7f
	s_mov_b64 s[26:27], 0
                                        ; implicit-def: $sgpr28_sgpr29
	s_waitcnt vmcnt(0)
	v_cmp_lt_i16_e32 vcc, s15, v5
	s_and_saveexec_b64 s[30:31], vcc
	s_xor_b64 s[30:31], exec, s[30:31]
	s_cbranch_execz .LBB70_1353
; %bb.1334:
	s_movk_i32 s15, 0x80
	v_cmp_eq_u16_e32 vcc, s15, v5
	s_mov_b64 s[34:35], -1
                                        ; implicit-def: $sgpr28_sgpr29
	s_and_saveexec_b64 s[26:27], vcc
; %bb.1335:
	s_mov_b32 s29, 0x7ff80000
	s_brev_b32 s28, 4
	s_xor_b64 s[34:35], exec, -1
; %bb.1336:
	s_or_b64 exec, exec, s[26:27]
	s_and_b64 s[26:27], s[34:35], exec
	s_or_saveexec_b64 s[30:31], s[30:31]
	v_pk_mov_b32 v[6:7], s[28:29], s[28:29] op_sel:[0,1]
	s_xor_b64 exec, exec, s[30:31]
	s_cbranch_execnz .LBB70_1354
.LBB70_1337:
	s_or_b64 exec, exec, s[30:31]
	s_and_saveexec_b64 s[28:29], s[26:27]
	s_cbranch_execz .LBB70_1339
.LBB70_1338:
	v_lshlrev_b32_e32 v6, 24, v5
	v_and_b32_e32 v5, 0xffff, v5
	v_and_b32_e32 v7, 7, v5
	v_ffbh_u32_e32 v9, v7
	v_min_u32_e32 v9, 32, v9
	v_subrev_u32_e32 v10, 28, v9
	v_bfe_u32 v8, v5, 3, 4
	v_lshlrev_b32_e32 v5, v10, v5
	v_sub_u32_e32 v9, 29, v9
	v_and_b32_e32 v5, 7, v5
	v_cmp_eq_u32_e32 vcc, 0, v8
	v_cndmask_b32_e32 v8, v8, v9, vcc
	v_cndmask_b32_e32 v5, v7, v5, vcc
	v_mov_b32_e32 v7, 0x3b800000
	v_lshlrev_b32_e32 v5, 20, v5
	v_and_b32_e32 v6, 0x80000000, v6
	v_lshl_add_u32 v7, v8, 23, v7
	v_or3_b32 v5, v6, v7, v5
	v_cvt_f64_f32_e32 v[6:7], v5
.LBB70_1339:
	s_or_b64 exec, exec, s[28:29]
.LBB70_1340:
	s_mov_b64 s[26:27], -1
.LBB70_1341:
	s_branch .LBB70_1374
.LBB70_1342:
	v_cmp_lt_i16_e32 vcc, 22, v4
	s_cbranch_vccz .LBB70_1352
; %bb.1343:
	v_cmp_gt_i16_e32 vcc, 24, v4
	s_cbranch_vccnz .LBB70_1355
; %bb.1344:
	v_cmp_lt_i16_e32 vcc, 24, v4
	s_cbranch_vccz .LBB70_1356
; %bb.1345:
	global_load_ubyte v5, v[2:3], off
	s_movk_i32 s15, 0x7f
                                        ; implicit-def: $sgpr26_sgpr27
	s_waitcnt vmcnt(0)
	v_cmp_lt_i16_e32 vcc, s15, v5
	s_and_saveexec_b64 s[28:29], vcc
	s_xor_b64 s[28:29], exec, s[28:29]
	s_cbranch_execz .LBB70_1368
; %bb.1346:
	s_movk_i32 s15, 0x80
	v_cmp_eq_u16_e32 vcc, s15, v5
	s_mov_b64 s[30:31], -1
                                        ; implicit-def: $sgpr26_sgpr27
	s_and_saveexec_b64 s[24:25], vcc
; %bb.1347:
	s_mov_b32 s27, 0x7ff80000
	s_brev_b32 s26, 4
	s_xor_b64 s[30:31], exec, -1
; %bb.1348:
	s_or_b64 exec, exec, s[24:25]
	s_and_b64 s[24:25], s[30:31], exec
	s_or_saveexec_b64 s[28:29], s[28:29]
	v_pk_mov_b32 v[6:7], s[26:27], s[26:27] op_sel:[0,1]
	s_xor_b64 exec, exec, s[28:29]
	s_cbranch_execnz .LBB70_1369
.LBB70_1349:
	s_or_b64 exec, exec, s[28:29]
	s_and_saveexec_b64 s[26:27], s[24:25]
	s_cbranch_execz .LBB70_1351
.LBB70_1350:
	v_lshlrev_b32_e32 v6, 24, v5
	v_and_b32_e32 v5, 0xffff, v5
	v_and_b32_e32 v7, 3, v5
	v_ffbh_u32_e32 v9, v7
	v_min_u32_e32 v9, 32, v9
	v_subrev_u32_e32 v10, 29, v9
	v_bfe_u32 v8, v5, 2, 5
	v_lshlrev_b32_e32 v5, v10, v5
	v_sub_u32_e32 v9, 30, v9
	v_and_b32_e32 v5, 3, v5
	v_cmp_eq_u32_e32 vcc, 0, v8
	v_cndmask_b32_e32 v8, v8, v9, vcc
	v_cndmask_b32_e32 v5, v7, v5, vcc
	v_mov_b32_e32 v7, 0x37800000
	v_lshlrev_b32_e32 v5, 21, v5
	v_and_b32_e32 v6, 0x80000000, v6
	v_lshl_add_u32 v7, v8, 23, v7
	v_or3_b32 v5, v6, v7, v5
	v_cvt_f64_f32_e32 v[6:7], v5
.LBB70_1351:
	s_or_b64 exec, exec, s[26:27]
	s_mov_b64 s[24:25], 0
	s_branch .LBB70_1357
.LBB70_1352:
	s_mov_b64 s[24:25], -1
                                        ; implicit-def: $vgpr6_vgpr7
	s_branch .LBB70_1363
.LBB70_1353:
	s_or_saveexec_b64 s[30:31], s[30:31]
	v_pk_mov_b32 v[6:7], s[28:29], s[28:29] op_sel:[0,1]
	s_xor_b64 exec, exec, s[30:31]
	s_cbranch_execz .LBB70_1337
.LBB70_1354:
	v_cmp_ne_u16_e32 vcc, 0, v5
	s_andn2_b64 s[26:27], s[26:27], exec
	s_and_b64 s[28:29], vcc, exec
	v_pk_mov_b32 v[6:7], 0, 0
	s_or_b64 s[26:27], s[26:27], s[28:29]
	s_or_b64 exec, exec, s[30:31]
	s_and_saveexec_b64 s[28:29], s[26:27]
	s_cbranch_execnz .LBB70_1338
	s_branch .LBB70_1339
.LBB70_1355:
	s_mov_b64 s[24:25], -1
                                        ; implicit-def: $vgpr6_vgpr7
	s_branch .LBB70_1360
.LBB70_1356:
	s_mov_b64 s[24:25], -1
                                        ; implicit-def: $vgpr6_vgpr7
.LBB70_1357:
	s_and_b64 vcc, exec, s[24:25]
	s_cbranch_vccz .LBB70_1359
; %bb.1358:
	global_load_ubyte v5, v[2:3], off
	s_mov_b32 s15, 0x7f800000
	s_waitcnt vmcnt(0)
	v_lshlrev_b32_e32 v5, 24, v5
	v_and_b32_e32 v6, 0x7f000000, v5
	v_ffbh_u32_e32 v7, v6
	v_min_u32_e32 v7, 32, v7
	v_sub_u32_e64 v7, v7, 4 clamp
	v_lshlrev_b32_e32 v9, v7, v6
	v_lshlrev_b32_e32 v7, 23, v7
	v_lshrrev_b32_e32 v9, 4, v9
	v_add_u32_e32 v8, 0x1000000, v6
	v_sub_u32_e32 v7, v9, v7
	v_ashrrev_i32_e32 v8, 8, v8
	v_add_u32_e32 v7, 0x3c000000, v7
	v_and_or_b32 v7, v8, s15, v7
	v_cmp_ne_u32_e32 vcc, 0, v6
	v_cndmask_b32_e32 v6, 0, v7, vcc
	s_brev_b32 s15, 1
	v_and_or_b32 v5, v5, s15, v6
	v_cvt_f64_f32_e32 v[6:7], v5
.LBB70_1359:
	s_mov_b64 s[24:25], 0
.LBB70_1360:
	s_andn2_b64 vcc, exec, s[24:25]
	s_cbranch_vccnz .LBB70_1362
; %bb.1361:
	global_load_ubyte v5, v[2:3], off
	s_movk_i32 s15, 0x7f00
	s_brev_b32 s24, 16
	s_waitcnt vmcnt(0)
	v_lshlrev_b16_e32 v6, 8, v5
	v_lshlrev_b32_e32 v5, 25, v5
	v_lshrrev_b32_e32 v7, 4, v5
	v_and_or_b32 v8, v6, s15, 0.5
	v_or_b32_e32 v7, 0x70000000, v7
	v_add_f32_e32 v8, -0.5, v8
	v_mul_f32_e32 v7, 0x7800000, v7
	v_cmp_gt_u32_e32 vcc, s24, v5
	v_bfe_i32 v6, v6, 0, 16
	v_cndmask_b32_e32 v5, v7, v8, vcc
	s_brev_b32 s15, 1
	v_and_or_b32 v5, v6, s15, v5
	v_cvt_f64_f32_e32 v[6:7], v5
.LBB70_1362:
	s_mov_b64 s[24:25], 0
	s_mov_b64 s[26:27], -1
.LBB70_1363:
	s_andn2_b64 vcc, exec, s[24:25]
	s_mov_b64 s[24:25], 0
	s_cbranch_vccnz .LBB70_1374
; %bb.1364:
	v_cmp_lt_i16_e32 vcc, 14, v4
	s_cbranch_vccz .LBB70_1367
; %bb.1365:
	v_cmp_eq_u16_e32 vcc, 15, v4
	s_cbranch_vccz .LBB70_1370
; %bb.1366:
	global_load_ushort v5, v[2:3], off
	s_mov_b64 s[20:21], 0
	s_mov_b64 s[26:27], -1
	s_waitcnt vmcnt(0)
	v_lshlrev_b32_e32 v5, 16, v5
	v_cvt_f64_f32_e32 v[6:7], v5
	s_branch .LBB70_1371
.LBB70_1367:
	s_mov_b64 s[28:29], -1
                                        ; implicit-def: $vgpr6_vgpr7
	s_branch .LBB70_1372
.LBB70_1368:
	s_or_saveexec_b64 s[28:29], s[28:29]
	v_pk_mov_b32 v[6:7], s[26:27], s[26:27] op_sel:[0,1]
	s_xor_b64 exec, exec, s[28:29]
	s_cbranch_execz .LBB70_1349
.LBB70_1369:
	v_cmp_ne_u16_e32 vcc, 0, v5
	s_andn2_b64 s[24:25], s[24:25], exec
	s_and_b64 s[26:27], vcc, exec
	v_pk_mov_b32 v[6:7], 0, 0
	s_or_b64 s[24:25], s[24:25], s[26:27]
	s_or_b64 exec, exec, s[28:29]
	s_and_saveexec_b64 s[26:27], s[24:25]
	s_cbranch_execnz .LBB70_1350
	s_branch .LBB70_1351
.LBB70_1370:
	s_mov_b64 s[20:21], -1
                                        ; implicit-def: $vgpr6_vgpr7
.LBB70_1371:
	s_mov_b64 s[28:29], 0
.LBB70_1372:
	s_and_b64 vcc, exec, s[28:29]
	s_cbranch_vccz .LBB70_1374
; %bb.1373:
	v_cmp_ne_u16_e32 vcc, 11, v4
	s_andn2_b64 s[20:21], s[20:21], exec
	s_and_b64 s[28:29], vcc, exec
	s_mov_b64 s[24:25], -1
	s_or_b64 s[20:21], s[20:21], s[28:29]
                                        ; implicit-def: $vgpr6_vgpr7
.LBB70_1374:
	s_mov_b64 s[28:29], 0
.LBB70_1375:
	s_andn2_b64 s[18:19], s[18:19], exec
	s_and_b64 s[20:21], s[20:21], exec
	s_and_b64 s[26:27], s[26:27], exec
	;; [unrolled: 1-line block ×4, first 2 shown]
	s_or_b64 s[18:19], s[18:19], s[20:21]
	s_or_b64 exec, exec, s[0:1]
	s_and_saveexec_b64 s[0:1], s[18:19]
	s_cbranch_execz .LBB70_1304
.LBB70_1376:
	s_or_b64 s[22:23], s[22:23], exec
	s_andn2_b64 s[24:25], s[24:25], exec
	s_trap 2
                                        ; implicit-def: $vgpr6_vgpr7
	s_or_b64 exec, exec, s[0:1]
	s_and_saveexec_b64 s[0:1], s[24:25]
	s_xor_b64 s[0:1], exec, s[0:1]
	s_cbranch_execnz .LBB70_1305
.LBB70_1377:
	s_or_b64 exec, exec, s[0:1]
	s_and_saveexec_b64 s[0:1], s[30:31]
	s_cbranch_execz .LBB70_1423
.LBB70_1378:
	s_waitcnt vmcnt(0)
	v_cmp_gt_i16_e32 vcc, 5, v4
	s_cbranch_vccnz .LBB70_1383
; %bb.1379:
	v_cmp_gt_i16_e32 vcc, 8, v4
	s_cbranch_vccnz .LBB70_1384
; %bb.1380:
	;; [unrolled: 3-line block ×3, first 2 shown]
	v_cmp_lt_i16_e32 vcc, 9, v4
	s_cbranch_vccz .LBB70_1386
; %bb.1382:
	global_load_dwordx2 v[6:7], v[2:3], off
	s_mov_b64 s[18:19], 0
	s_branch .LBB70_1387
.LBB70_1383:
                                        ; implicit-def: $vgpr6_vgpr7
	s_branch .LBB70_1404
.LBB70_1384:
                                        ; implicit-def: $vgpr6_vgpr7
	s_branch .LBB70_1393
.LBB70_1385:
	s_mov_b64 s[18:19], -1
                                        ; implicit-def: $vgpr6_vgpr7
	s_branch .LBB70_1390
.LBB70_1386:
	s_mov_b64 s[18:19], -1
                                        ; implicit-def: $vgpr6_vgpr7
.LBB70_1387:
	s_andn2_b64 vcc, exec, s[18:19]
	s_cbranch_vccnz .LBB70_1389
; %bb.1388:
	global_load_dword v5, v[2:3], off
	s_waitcnt vmcnt(0)
	v_cvt_f64_f32_e32 v[6:7], v5
.LBB70_1389:
	s_mov_b64 s[18:19], 0
.LBB70_1390:
	s_andn2_b64 vcc, exec, s[18:19]
	s_cbranch_vccnz .LBB70_1392
; %bb.1391:
	global_load_dword v5, v[2:3], off
	s_waitcnt vmcnt(0)
	v_cvt_f32_f16_e32 v5, v5
	v_cvt_f64_f32_e32 v[6:7], v5
.LBB70_1392:
	s_cbranch_execnz .LBB70_1403
.LBB70_1393:
	v_cmp_gt_i16_e32 vcc, 6, v4
	s_cbranch_vccnz .LBB70_1396
; %bb.1394:
	v_cmp_lt_i16_e32 vcc, 6, v4
	s_cbranch_vccz .LBB70_1397
; %bb.1395:
	global_load_dwordx2 v[6:7], v[2:3], off
	s_mov_b64 s[18:19], 0
	s_branch .LBB70_1398
.LBB70_1396:
	s_mov_b64 s[18:19], -1
                                        ; implicit-def: $vgpr6_vgpr7
	s_branch .LBB70_1401
.LBB70_1397:
	s_mov_b64 s[18:19], -1
                                        ; implicit-def: $vgpr6_vgpr7
.LBB70_1398:
	s_andn2_b64 vcc, exec, s[18:19]
	s_cbranch_vccnz .LBB70_1400
; %bb.1399:
	global_load_dword v5, v[2:3], off
	s_waitcnt vmcnt(0)
	v_cvt_f64_f32_e32 v[6:7], v5
.LBB70_1400:
	s_mov_b64 s[18:19], 0
.LBB70_1401:
	s_andn2_b64 vcc, exec, s[18:19]
	s_cbranch_vccnz .LBB70_1403
; %bb.1402:
	global_load_ushort v5, v[2:3], off
	s_waitcnt vmcnt(0)
	v_cvt_f32_f16_e32 v5, v5
	v_cvt_f64_f32_e32 v[6:7], v5
.LBB70_1403:
	s_cbranch_execnz .LBB70_1422
.LBB70_1404:
	v_cmp_gt_i16_e32 vcc, 2, v4
	s_cbranch_vccnz .LBB70_1408
; %bb.1405:
	v_cmp_gt_i16_e32 vcc, 3, v4
	s_cbranch_vccnz .LBB70_1409
; %bb.1406:
	v_cmp_lt_i16_e32 vcc, 3, v4
	s_cbranch_vccz .LBB70_1410
; %bb.1407:
	global_load_dwordx2 v[6:7], v[2:3], off
	s_mov_b64 s[18:19], 0
	s_waitcnt vmcnt(0)
	v_cvt_f64_i32_e32 v[8:9], v7
	v_cvt_f64_u32_e32 v[6:7], v6
	v_ldexp_f64 v[8:9], v[8:9], 32
	v_add_f64 v[6:7], v[8:9], v[6:7]
	s_branch .LBB70_1411
.LBB70_1408:
                                        ; implicit-def: $vgpr6_vgpr7
	s_branch .LBB70_1417
.LBB70_1409:
	s_mov_b64 s[18:19], -1
                                        ; implicit-def: $vgpr6_vgpr7
	s_branch .LBB70_1414
.LBB70_1410:
	s_mov_b64 s[18:19], -1
                                        ; implicit-def: $vgpr6_vgpr7
.LBB70_1411:
	s_andn2_b64 vcc, exec, s[18:19]
	s_cbranch_vccnz .LBB70_1413
; %bb.1412:
	global_load_dword v5, v[2:3], off
	s_waitcnt vmcnt(0)
	v_cvt_f64_i32_e32 v[6:7], v5
.LBB70_1413:
	s_mov_b64 s[18:19], 0
.LBB70_1414:
	s_andn2_b64 vcc, exec, s[18:19]
	s_cbranch_vccnz .LBB70_1416
; %bb.1415:
	global_load_sshort v5, v[2:3], off
	s_waitcnt vmcnt(0)
	v_cvt_f64_i32_e32 v[6:7], v5
.LBB70_1416:
	s_cbranch_execnz .LBB70_1422
.LBB70_1417:
	v_cmp_lt_i16_e32 vcc, 0, v4
	s_cbranch_vccz .LBB70_1419
; %bb.1418:
	global_load_sbyte v4, v[2:3], off
	s_mov_b64 s[18:19], 0
	s_waitcnt vmcnt(0)
	v_cvt_f64_i32_e32 v[6:7], v4
	s_branch .LBB70_1420
.LBB70_1419:
	s_mov_b64 s[18:19], -1
                                        ; implicit-def: $vgpr6_vgpr7
.LBB70_1420:
	s_andn2_b64 vcc, exec, s[18:19]
	s_cbranch_vccnz .LBB70_1422
; %bb.1421:
	global_load_ubyte v2, v[2:3], off
	s_waitcnt vmcnt(0)
	v_cvt_f64_u32_e32 v[6:7], v2
.LBB70_1422:
	s_or_b64 s[26:27], s[26:27], exec
.LBB70_1423:
	s_or_b64 exec, exec, s[0:1]
	s_mov_b64 s[24:25], 0
	s_mov_b64 s[20:21], 0
                                        ; implicit-def: $vgpr6
                                        ; implicit-def: $vgpr4_vgpr5
	s_and_saveexec_b64 s[18:19], s[26:27]
	s_cbranch_execz .LBB70_1498
; %bb.1424:
	v_mul_lo_u32 v2, v19, s12
	v_ashrrev_i32_e32 v3, 31, v2
	s_waitcnt vmcnt(0)
	v_mov_b32_e32 v5, s9
	v_add_co_u32_e32 v4, vcc, s8, v2
	v_addc_co_u32_e32 v5, vcc, v5, v3, vcc
	v_and_b32_e32 v6, 0xff, v18
	s_brev_b32 s0, -2
	v_cmp_gt_i16_e32 vcc, 11, v6
	v_bfi_b32 v1, s0, v1, v7
	s_cbranch_vccnz .LBB70_1501
; %bb.1425:
	v_cmp_lt_i16_e32 vcc, 25, v6
	s_mov_b64 s[24:25], -1
	s_mov_b64 s[0:1], s[6:7]
	s_cbranch_vccz .LBB70_1458
; %bb.1426:
	v_cmp_lt_i16_e32 vcc, 28, v6
	s_mov_b64 s[20:21], -1
	s_mov_b64 s[0:1], s[6:7]
	s_cbranch_vccz .LBB70_1442
; %bb.1427:
	v_cmp_lt_i16_e32 vcc, 43, v6
	s_mov_b64 s[0:1], s[6:7]
	s_cbranch_vccz .LBB70_1438
; %bb.1428:
	v_cmp_lt_i16_e32 vcc, 45, v6
	s_mov_b64 s[0:1], s[6:7]
	s_cbranch_vccz .LBB70_1432
; %bb.1429:
	v_cmp_eq_u16_e32 vcc, 46, v6
	s_mov_b64 s[0:1], -1
	s_cbranch_vccz .LBB70_1431
; %bb.1430:
	v_cvt_f32_f64_e32 v2, v[0:1]
	v_bfe_u32 v3, v2, 16, 1
	s_movk_i32 s0, 0x7fff
	v_add3_u32 v3, v2, v3, s0
	v_lshrrev_b32_e32 v3, 16, v3
	v_mov_b32_e32 v7, 0x7fc0
	v_cmp_o_f32_e32 vcc, v2, v2
	v_cndmask_b32_e32 v2, v7, v3, vcc
	global_store_dword v[4:5], v2, off
	s_mov_b64 s[0:1], 0
.LBB70_1431:
	s_mov_b64 s[20:21], 0
.LBB70_1432:
	s_and_b64 vcc, exec, s[20:21]
	s_cbranch_vccz .LBB70_1437
; %bb.1433:
	v_cmp_eq_u16_e32 vcc, 44, v6
	s_mov_b64 s[0:1], -1
	s_cbranch_vccz .LBB70_1437
; %bb.1434:
	v_cvt_f32_f64_e32 v2, v[0:1]
	v_bfe_u32 v3, v2, 23, 8
	s_movk_i32 s0, 0xff
	v_cmp_ne_u32_e32 vcc, s0, v3
	v_mov_b32_e32 v7, 0xff
	s_and_saveexec_b64 s[20:21], vcc
; %bb.1435:
	s_mov_b32 s0, 0x3fffff
	v_lshrrev_b32_e32 v7, 23, v2
	v_and_b32_e32 v8, 0x400000, v2
	v_and_or_b32 v2, v2, s0, v3
	v_cmp_ne_u32_e32 vcc, 0, v8
	v_cmp_ne_u32_e64 s[0:1], 0, v2
	s_and_b64 s[0:1], vcc, s[0:1]
	v_cndmask_b32_e64 v2, 0, 1, s[0:1]
	v_add_u32_e32 v7, v7, v2
; %bb.1436:
	s_or_b64 exec, exec, s[20:21]
	s_mov_b64 s[0:1], 0
	global_store_byte v[4:5], v7, off
.LBB70_1437:
	s_mov_b64 s[20:21], 0
.LBB70_1438:
	s_and_b64 vcc, exec, s[20:21]
	s_cbranch_vccz .LBB70_1441
; %bb.1439:
	v_cmp_eq_u16_e32 vcc, 29, v6
	s_mov_b64 s[0:1], -1
	s_cbranch_vccz .LBB70_1441
; %bb.1440:
	v_trunc_f64_e32 v[2:3], v[0:1]
	s_movk_i32 s0, 0xffe0
	v_ldexp_f64 v[8:9], v[2:3], s0
	v_floor_f64_e32 v[8:9], v[8:9]
	v_fmac_f64_e32 v[2:3], 0xc1f00000, v[8:9]
	v_cvt_u32_f64_e32 v11, v[8:9]
	v_cvt_u32_f64_e32 v10, v[2:3]
	global_store_dwordx2 v[4:5], v[10:11], off
	s_mov_b64 s[0:1], 0
.LBB70_1441:
	s_mov_b64 s[20:21], 0
.LBB70_1442:
	s_and_b64 vcc, exec, s[20:21]
	s_cbranch_vccz .LBB70_1457
; %bb.1443:
	v_cmp_gt_i16_e32 vcc, 27, v6
	s_mov_b64 s[20:21], -1
	s_cbranch_vccnz .LBB70_1449
; %bb.1444:
	v_cmp_lt_i16_e32 vcc, 27, v6
	v_cvt_u32_f64_e32 v2, v[0:1]
	s_cbranch_vccz .LBB70_1446
; %bb.1445:
	s_mov_b64 s[20:21], 0
	global_store_dword v[4:5], v2, off
.LBB70_1446:
	s_andn2_b64 vcc, exec, s[20:21]
	s_cbranch_vccnz .LBB70_1448
; %bb.1447:
	global_store_short v[4:5], v2, off
.LBB70_1448:
	s_mov_b64 s[20:21], 0
.LBB70_1449:
	s_andn2_b64 vcc, exec, s[20:21]
	s_cbranch_vccnz .LBB70_1457
; %bb.1450:
	v_cvt_f32_f64_e32 v2, v[0:1]
	v_and_b32_e32 v3, 0x7fffffff, v2
	s_mov_b32 s15, 0x43800000
	v_cmp_gt_u32_e32 vcc, s15, v3
	v_mov_b32_e32 v7, 0x80
	s_and_saveexec_b64 s[20:21], vcc
	s_cbranch_execz .LBB70_1456
; %bb.1451:
	s_mov_b32 s15, 0x3bffffff
	v_cmp_lt_u32_e32 vcc, s15, v3
	s_mov_b64 s[24:25], 0
                                        ; implicit-def: $vgpr3
	s_and_saveexec_b64 s[26:27], vcc
	s_xor_b64 s[26:27], exec, s[26:27]
	s_cbranch_execz .LBB70_1558
; %bb.1452:
	v_bfe_u32 v3, v2, 20, 1
	s_mov_b32 s15, 0x487ffff
	v_add3_u32 v3, v2, v3, s15
	s_mov_b64 s[24:25], exec
	v_lshrrev_b32_e32 v3, 20, v3
	s_or_saveexec_b64 s[26:27], s[26:27]
                                        ; implicit-def: $sgpr15
	s_xor_b64 exec, exec, s[26:27]
	s_cbranch_execnz .LBB70_1559
.LBB70_1453:
	s_or_b64 exec, exec, s[26:27]
	v_mov_b32_e32 v7, s15
	s_and_saveexec_b64 s[26:27], s[24:25]
.LBB70_1454:
	v_lshrrev_b32_e32 v2, 24, v2
	s_movk_i32 s15, 0x80
	v_and_or_b32 v7, v2, s15, v3
.LBB70_1455:
	s_or_b64 exec, exec, s[26:27]
.LBB70_1456:
	s_or_b64 exec, exec, s[20:21]
	global_store_byte v[4:5], v7, off
.LBB70_1457:
	s_mov_b64 s[24:25], 0
.LBB70_1458:
	s_mov_b64 s[20:21], 0
	s_and_b64 vcc, exec, s[24:25]
	s_cbranch_vccz .LBB70_1502
; %bb.1459:
	v_cmp_lt_i16_e32 vcc, 22, v6
	s_mov_b64 s[24:25], -1
	s_cbranch_vccz .LBB70_1491
; %bb.1460:
	v_cmp_gt_i16_e32 vcc, 24, v6
	s_cbranch_vccnz .LBB70_1480
; %bb.1461:
	v_cmp_lt_i16_e32 vcc, 24, v6
	s_cbranch_vccz .LBB70_1469
; %bb.1462:
	v_cvt_f32_f64_e32 v2, v[0:1]
	v_and_b32_e32 v3, 0x7fffffff, v2
	s_mov_b32 s15, 0x47800000
	v_cmp_gt_u32_e32 vcc, s15, v3
	v_mov_b32_e32 v7, 0x80
	s_and_saveexec_b64 s[24:25], vcc
	s_cbranch_execz .LBB70_1468
; %bb.1463:
	s_mov_b32 s15, 0x37ffffff
	v_cmp_lt_u32_e32 vcc, s15, v3
	s_mov_b64 s[26:27], 0
                                        ; implicit-def: $vgpr3
	s_and_saveexec_b64 s[28:29], vcc
	s_xor_b64 s[28:29], exec, s[28:29]
	s_cbranch_execz .LBB70_1683
; %bb.1464:
	v_bfe_u32 v3, v2, 21, 1
	s_mov_b32 s15, 0x88fffff
	v_add3_u32 v3, v2, v3, s15
	s_mov_b64 s[26:27], exec
	v_lshrrev_b32_e32 v3, 21, v3
	s_or_saveexec_b64 s[28:29], s[28:29]
                                        ; implicit-def: $sgpr15
	s_xor_b64 exec, exec, s[28:29]
	s_cbranch_execnz .LBB70_1684
.LBB70_1465:
	s_or_b64 exec, exec, s[28:29]
	v_mov_b32_e32 v7, s15
	s_and_saveexec_b64 s[28:29], s[26:27]
.LBB70_1466:
	v_lshrrev_b32_e32 v2, 24, v2
	s_movk_i32 s15, 0x80
	v_and_or_b32 v7, v2, s15, v3
.LBB70_1467:
	s_or_b64 exec, exec, s[28:29]
.LBB70_1468:
	s_or_b64 exec, exec, s[24:25]
	s_mov_b64 s[24:25], 0
	global_store_byte v[4:5], v7, off
.LBB70_1469:
	s_and_b64 vcc, exec, s[24:25]
	s_cbranch_vccz .LBB70_1479
; %bb.1470:
	v_cvt_f32_f64_e32 v2, v[0:1]
	v_and_b32_e32 v7, 0x7fffffff, v2
	s_mov_b32 s15, 0x43f00000
	v_cmp_gt_u32_e32 vcc, s15, v7
                                        ; implicit-def: $vgpr3
	s_and_saveexec_b64 s[24:25], vcc
	s_xor_b64 s[24:25], exec, s[24:25]
	s_cbranch_execz .LBB70_1476
; %bb.1471:
	s_mov_b32 s15, 0x3c7fffff
	v_cmp_lt_u32_e32 vcc, s15, v7
                                        ; implicit-def: $vgpr3
	s_and_saveexec_b64 s[26:27], vcc
	s_xor_b64 s[26:27], exec, s[26:27]
; %bb.1472:
	v_bfe_u32 v3, v2, 20, 1
	s_mov_b32 s15, 0x407ffff
	v_add3_u32 v3, v2, v3, s15
	v_lshrrev_b32_e32 v7, 20, v3
	v_and_b32_e32 v3, 0xff00000, v3
	s_mov_b32 s15, 0x7f00000
	v_mov_b32_e32 v8, 0x7e
	v_cmp_ne_u32_e32 vcc, s15, v3
	v_cndmask_b32_e32 v3, v8, v7, vcc
; %bb.1473:
	s_andn2_saveexec_b64 s[26:27], s[26:27]
; %bb.1474:
	s_mov_b32 s15, 0x46800000
	v_add_f32_e64 v3, |v2|, s15
; %bb.1475:
	s_or_b64 exec, exec, s[26:27]
                                        ; implicit-def: $vgpr7
.LBB70_1476:
	s_andn2_saveexec_b64 s[24:25], s[24:25]
; %bb.1477:
	s_mov_b32 s15, 0x7f800000
	v_mov_b32_e32 v3, 0x7e
	v_mov_b32_e32 v8, 0x7f
	v_cmp_lt_u32_e32 vcc, s15, v7
	v_cndmask_b32_e32 v3, v3, v8, vcc
; %bb.1478:
	s_or_b64 exec, exec, s[24:25]
	v_lshrrev_b32_e32 v2, 24, v2
	s_movk_i32 s15, 0x80
	v_and_or_b32 v2, v2, s15, v3
	global_store_byte v[4:5], v2, off
.LBB70_1479:
	s_mov_b64 s[24:25], 0
.LBB70_1480:
	s_andn2_b64 vcc, exec, s[24:25]
	s_cbranch_vccnz .LBB70_1490
; %bb.1481:
	v_cvt_f32_f64_e32 v2, v[0:1]
	v_and_b32_e32 v7, 0x7fffffff, v2
	s_mov_b32 s15, 0x47800000
	v_cmp_gt_u32_e32 vcc, s15, v7
                                        ; implicit-def: $vgpr3
	s_and_saveexec_b64 s[24:25], vcc
	s_xor_b64 s[24:25], exec, s[24:25]
	s_cbranch_execz .LBB70_1487
; %bb.1482:
	s_mov_b32 s15, 0x387fffff
	v_cmp_lt_u32_e32 vcc, s15, v7
                                        ; implicit-def: $vgpr3
	s_and_saveexec_b64 s[26:27], vcc
	s_xor_b64 s[26:27], exec, s[26:27]
; %bb.1483:
	v_bfe_u32 v3, v2, 21, 1
	s_mov_b32 s15, 0x80fffff
	v_add3_u32 v3, v2, v3, s15
	v_lshrrev_b32_e32 v3, 21, v3
; %bb.1484:
	s_andn2_saveexec_b64 s[26:27], s[26:27]
; %bb.1485:
	s_mov_b32 s15, 0x43000000
	v_add_f32_e64 v3, |v2|, s15
; %bb.1486:
	s_or_b64 exec, exec, s[26:27]
                                        ; implicit-def: $vgpr7
.LBB70_1487:
	s_andn2_saveexec_b64 s[24:25], s[24:25]
; %bb.1488:
	s_mov_b32 s15, 0x7f800000
	v_mov_b32_e32 v3, 0x7c
	v_mov_b32_e32 v8, 0x7f
	v_cmp_lt_u32_e32 vcc, s15, v7
	v_cndmask_b32_e32 v3, v3, v8, vcc
; %bb.1489:
	s_or_b64 exec, exec, s[24:25]
	v_lshrrev_b32_e32 v2, 24, v2
	s_movk_i32 s15, 0x80
	v_and_or_b32 v2, v2, s15, v3
	global_store_byte v[4:5], v2, off
.LBB70_1490:
	s_mov_b64 s[24:25], 0
.LBB70_1491:
	s_andn2_b64 vcc, exec, s[24:25]
	s_mov_b64 s[24:25], 0
	s_cbranch_vccnz .LBB70_1503
; %bb.1492:
	v_cmp_lt_i16_e32 vcc, 14, v6
	s_mov_b64 s[26:27], -1
	s_cbranch_vccz .LBB70_1496
; %bb.1493:
	v_cmp_eq_u16_e32 vcc, 15, v6
	s_mov_b64 s[0:1], -1
	s_cbranch_vccz .LBB70_1495
; %bb.1494:
	v_cvt_f32_f64_e32 v2, v[0:1]
	v_bfe_u32 v3, v2, 16, 1
	s_movk_i32 s0, 0x7fff
	v_add3_u32 v3, v2, v3, s0
	v_lshrrev_b32_e32 v3, 16, v3
	v_mov_b32_e32 v7, 0x7fc0
	v_cmp_o_f32_e32 vcc, v2, v2
	v_cndmask_b32_e32 v2, v7, v3, vcc
	global_store_short v[4:5], v2, off
	s_mov_b64 s[0:1], 0
.LBB70_1495:
	s_mov_b64 s[26:27], 0
.LBB70_1496:
	s_and_b64 vcc, exec, s[26:27]
	s_cbranch_vccz .LBB70_1503
; %bb.1497:
	v_cmp_ne_u16_e32 vcc, 11, v6
	s_andn2_b64 s[0:1], s[0:1], exec
	s_and_b64 s[26:27], vcc, exec
	s_mov_b64 s[24:25], -1
	s_or_b64 s[0:1], s[0:1], s[26:27]
	s_branch .LBB70_1503
.LBB70_1498:
	s_or_b64 exec, exec, s[18:19]
	s_and_saveexec_b64 s[0:1], s[6:7]
	s_cbranch_execnz .LBB70_1504
.LBB70_1499:
	s_or_b64 exec, exec, s[0:1]
	s_and_saveexec_b64 s[0:1], s[24:25]
	s_xor_b64 s[0:1], exec, s[0:1]
	s_cbranch_execz .LBB70_1505
.LBB70_1500:
	s_waitcnt vmcnt(0)
	v_cmp_neq_f64_e32 vcc, 0, v[0:1]
	v_cndmask_b32_e64 v2, 0, 1, vcc
	global_store_byte v[4:5], v2, off
	s_or_b64 exec, exec, s[0:1]
	s_and_saveexec_b64 s[0:1], s[20:21]
	s_xor_b64 s[0:1], exec, s[0:1]
	s_cbranch_execz .LBB70_1543
	s_branch .LBB70_1506
.LBB70_1501:
	s_mov_b64 s[20:21], -1
	s_mov_b64 s[0:1], s[6:7]
	s_branch .LBB70_1503
.LBB70_1502:
	s_mov_b64 s[24:25], 0
.LBB70_1503:
	s_andn2_b64 s[6:7], s[6:7], exec
	s_and_b64 s[0:1], s[0:1], exec
	s_and_b64 s[20:21], s[20:21], exec
	;; [unrolled: 1-line block ×3, first 2 shown]
	s_or_b64 s[6:7], s[6:7], s[0:1]
	s_or_b64 exec, exec, s[18:19]
	s_and_saveexec_b64 s[0:1], s[6:7]
	s_cbranch_execz .LBB70_1499
.LBB70_1504:
	s_or_b64 s[22:23], s[22:23], exec
	s_andn2_b64 s[24:25], s[24:25], exec
	s_trap 2
	s_or_b64 exec, exec, s[0:1]
	s_and_saveexec_b64 s[0:1], s[24:25]
	s_xor_b64 s[0:1], exec, s[0:1]
	s_cbranch_execnz .LBB70_1500
.LBB70_1505:
	s_or_b64 exec, exec, s[0:1]
	s_and_saveexec_b64 s[0:1], s[20:21]
	s_xor_b64 s[0:1], exec, s[0:1]
	s_cbranch_execz .LBB70_1543
.LBB70_1506:
	s_waitcnt vmcnt(0)
	v_cmp_gt_i16_e32 vcc, 5, v6
	s_mov_b64 s[6:7], -1
	s_cbranch_vccnz .LBB70_1527
; %bb.1507:
	v_cmp_gt_i16_e32 vcc, 8, v6
	s_cbranch_vccnz .LBB70_1517
; %bb.1508:
	v_cmp_gt_i16_e32 vcc, 9, v6
	s_cbranch_vccnz .LBB70_1514
; %bb.1509:
	v_cmp_lt_i16_e32 vcc, 9, v6
	s_cbranch_vccz .LBB70_1511
; %bb.1510:
	v_mov_b32_e32 v2, 0
	v_mov_b32_e32 v3, v2
	s_mov_b64 s[6:7], 0
	global_store_dwordx4 v[4:5], v[0:3], off
.LBB70_1511:
	s_andn2_b64 vcc, exec, s[6:7]
	s_cbranch_vccnz .LBB70_1513
; %bb.1512:
	v_cvt_f32_f64_e32 v2, v[0:1]
	v_mov_b32_e32 v3, 0
	global_store_dwordx2 v[4:5], v[2:3], off
.LBB70_1513:
	s_mov_b64 s[6:7], 0
.LBB70_1514:
	s_andn2_b64 vcc, exec, s[6:7]
	s_cbranch_vccnz .LBB70_1516
; %bb.1515:
	v_cvt_f32_f64_e32 v2, v[0:1]
	v_cvt_f16_f32_e32 v2, v2
	global_store_dword v[4:5], v2, off
.LBB70_1516:
	s_mov_b64 s[6:7], 0
.LBB70_1517:
	s_andn2_b64 vcc, exec, s[6:7]
	s_cbranch_vccnz .LBB70_1526
; %bb.1518:
	v_cmp_gt_i16_e32 vcc, 6, v6
	s_mov_b64 s[6:7], -1
	s_cbranch_vccnz .LBB70_1524
; %bb.1519:
	v_cmp_lt_i16_e32 vcc, 6, v6
	s_cbranch_vccz .LBB70_1521
; %bb.1520:
	s_mov_b64 s[6:7], 0
	global_store_dwordx2 v[4:5], v[0:1], off
.LBB70_1521:
	s_andn2_b64 vcc, exec, s[6:7]
	s_cbranch_vccnz .LBB70_1523
; %bb.1522:
	v_cvt_f32_f64_e32 v2, v[0:1]
	global_store_dword v[4:5], v2, off
.LBB70_1523:
	s_mov_b64 s[6:7], 0
.LBB70_1524:
	s_andn2_b64 vcc, exec, s[6:7]
	s_cbranch_vccnz .LBB70_1526
; %bb.1525:
	v_cvt_f32_f64_e32 v2, v[0:1]
	v_cvt_f16_f32_e32 v2, v2
	global_store_short v[4:5], v2, off
.LBB70_1526:
	s_mov_b64 s[6:7], 0
.LBB70_1527:
	s_andn2_b64 vcc, exec, s[6:7]
	s_cbranch_vccnz .LBB70_1543
; %bb.1528:
	v_cmp_gt_i16_e32 vcc, 2, v6
	s_mov_b64 s[6:7], -1
	s_cbranch_vccnz .LBB70_1538
; %bb.1529:
	v_cmp_gt_i16_e32 vcc, 3, v6
	s_cbranch_vccnz .LBB70_1535
; %bb.1530:
	v_cmp_lt_i16_e32 vcc, 3, v6
	s_cbranch_vccz .LBB70_1532
; %bb.1531:
	v_trunc_f64_e32 v[2:3], v[0:1]
	s_movk_i32 s6, 0xffe0
	v_ldexp_f64 v[8:9], v[2:3], s6
	v_floor_f64_e32 v[8:9], v[8:9]
	v_fmac_f64_e32 v[2:3], 0xc1f00000, v[8:9]
	v_cvt_i32_f64_e32 v11, v[8:9]
	v_cvt_u32_f64_e32 v10, v[2:3]
	s_mov_b64 s[6:7], 0
	global_store_dwordx2 v[4:5], v[10:11], off
.LBB70_1532:
	s_andn2_b64 vcc, exec, s[6:7]
	s_cbranch_vccnz .LBB70_1534
; %bb.1533:
	v_cvt_i32_f64_e32 v2, v[0:1]
	global_store_dword v[4:5], v2, off
.LBB70_1534:
	s_mov_b64 s[6:7], 0
.LBB70_1535:
	s_andn2_b64 vcc, exec, s[6:7]
	s_cbranch_vccnz .LBB70_1537
; %bb.1536:
	v_cvt_i32_f64_e32 v2, v[0:1]
	global_store_short v[4:5], v2, off
.LBB70_1537:
	s_mov_b64 s[6:7], 0
.LBB70_1538:
	s_andn2_b64 vcc, exec, s[6:7]
	s_cbranch_vccnz .LBB70_1543
; %bb.1539:
	v_cmp_lt_i16_e32 vcc, 0, v6
	s_mov_b64 s[6:7], -1
	s_cbranch_vccz .LBB70_1541
; %bb.1540:
	v_cvt_i32_f64_e32 v2, v[0:1]
	s_mov_b64 s[6:7], 0
	global_store_byte v[4:5], v2, off
.LBB70_1541:
	s_andn2_b64 vcc, exec, s[6:7]
	s_cbranch_vccnz .LBB70_1543
; %bb.1542:
	v_trunc_f64_e32 v[0:1], v[0:1]
	s_movk_i32 s6, 0xffe0
	v_ldexp_f64 v[2:3], v[0:1], s6
	v_floor_f64_e32 v[2:3], v[2:3]
	v_fmac_f64_e32 v[0:1], 0xc1f00000, v[2:3]
	v_cvt_u32_f64_e32 v0, v[0:1]
	global_store_byte v[4:5], v0, off
.LBB70_1543:
	s_or_b64 exec, exec, s[0:1]
	s_and_b64 s[6:7], s[22:23], exec
                                        ; implicit-def: $vgpr19
                                        ; implicit-def: $vgpr16
                                        ; implicit-def: $vgpr20
                                        ; implicit-def: $vgpr18
.LBB70_1544:
	s_or_saveexec_b64 s[4:5], s[4:5]
	s_mov_b64 s[0:1], 0
                                        ; implicit-def: $vgpr2
                                        ; implicit-def: $vgpr0_vgpr1
                                        ; implicit-def: $vgpr12_vgpr13
	s_xor_b64 exec, exec, s[4:5]
	s_cbranch_execz .LBB70_3034
; %bb.1545:
	s_waitcnt vmcnt(0)
	v_mul_lo_u32 v6, s13, v19
	v_ashrrev_i32_e32 v0, 31, v6
	v_mov_b32_e32 v1, s11
	v_add_co_u32_e32 v2, vcc, s10, v6
	v_addc_co_u32_e32 v3, vcc, v1, v0, vcc
	v_mov_b32_e32 v0, 11
	v_cmp_lt_i16_sdwa s[0:1], v16, v0 src0_sel:BYTE_0 src1_sel:DWORD
	s_and_b64 vcc, exec, s[0:1]
	s_cbranch_vccnz .LBB70_1552
; %bb.1546:
	v_mov_b32_e32 v0, 25
	v_cmp_gt_i16_sdwa s[0:1], v16, v0 src0_sel:BYTE_0 src1_sel:DWORD
	s_and_b64 vcc, exec, s[0:1]
	s_cbranch_vccz .LBB70_1554
; %bb.1547:
	v_mov_b32_e32 v0, 28
	v_cmp_gt_i16_sdwa s[0:1], v16, v0 src0_sel:BYTE_0 src1_sel:DWORD
	s_and_b64 vcc, exec, s[0:1]
	s_cbranch_vccz .LBB70_1555
; %bb.1548:
	v_mov_b32_e32 v0, 43
	v_cmp_gt_i16_sdwa s[0:1], v16, v0 src0_sel:BYTE_0 src1_sel:DWORD
	s_and_b64 vcc, exec, s[0:1]
	s_cbranch_vccz .LBB70_1556
; %bb.1549:
	v_mov_b32_e32 v0, 45
	v_cmp_gt_i16_sdwa s[0:1], v16, v0 src0_sel:BYTE_0 src1_sel:DWORD
	s_and_b64 vcc, exec, s[0:1]
	s_cbranch_vccz .LBB70_1557
; %bb.1550:
	v_mov_b32_e32 v0, 46
	v_cmp_eq_u16_sdwa s[0:1], v16, v0 src0_sel:BYTE_0 src1_sel:DWORD
	s_mov_b64 s[18:19], 0
	s_and_b64 vcc, exec, s[0:1]
	s_cbranch_vccz .LBB70_1560
; %bb.1551:
	global_load_dword v0, v[2:3], off
	s_mov_b64 s[0:1], 0
	s_mov_b64 s[20:21], -1
	s_waitcnt vmcnt(0)
	v_lshlrev_b32_e32 v0, 16, v0
	v_cvt_f64_f32_e32 v[0:1], v0
	s_branch .LBB70_1561
.LBB70_1552:
	s_mov_b64 s[20:21], 0
                                        ; implicit-def: $vgpr0_vgpr1
	s_mov_b64 s[18:19], s[6:7]
	s_cbranch_execnz .LBB70_1624
.LBB70_1553:
	s_andn2_b64 vcc, exec, s[20:21]
                                        ; implicit-def: $vgpr14_vgpr15
	s_cbranch_vccz .LBB70_1669
	s_branch .LBB70_3032
.LBB70_1554:
	s_mov_b64 s[20:21], 0
	s_mov_b64 s[0:1], 0
                                        ; implicit-def: $vgpr0_vgpr1
	s_cbranch_execnz .LBB70_1589
	s_branch .LBB70_1620
.LBB70_1555:
	s_mov_b64 s[18:19], -1
	s_mov_b64 s[20:21], 0
	s_mov_b64 s[0:1], 0
                                        ; implicit-def: $vgpr0_vgpr1
	s_branch .LBB70_1570
.LBB70_1556:
	s_mov_b64 s[20:21], 0
	s_mov_b64 s[0:1], 0
                                        ; implicit-def: $vgpr0_vgpr1
	s_cbranch_execnz .LBB70_1566
	s_branch .LBB70_1569
.LBB70_1557:
	s_mov_b64 s[18:19], -1
	s_mov_b64 s[20:21], 0
	s_mov_b64 s[0:1], 0
                                        ; implicit-def: $vgpr0_vgpr1
	s_branch .LBB70_1561
.LBB70_1558:
	s_or_saveexec_b64 s[26:27], s[26:27]
                                        ; implicit-def: $sgpr15
	s_xor_b64 exec, exec, s[26:27]
	s_cbranch_execz .LBB70_1453
.LBB70_1559:
	s_mov_b32 s15, 0x46000000
	v_add_f32_e64 v3, |v2|, s15
	v_and_b32_e32 v3, 0xff, v3
	v_cmp_ne_u32_e32 vcc, 0, v3
	s_andn2_b64 s[24:25], s[24:25], exec
	s_and_b64 s[28:29], vcc, exec
	s_mov_b32 s15, 0
	s_or_b64 s[24:25], s[24:25], s[28:29]
	s_or_b64 exec, exec, s[26:27]
	v_mov_b32_e32 v7, s15
	s_and_saveexec_b64 s[26:27], s[24:25]
	s_cbranch_execnz .LBB70_1454
	s_branch .LBB70_1455
.LBB70_1560:
	s_mov_b64 s[0:1], -1
                                        ; implicit-def: $vgpr0_vgpr1
	s_mov_b64 s[20:21], 0
.LBB70_1561:
	s_and_b64 vcc, exec, s[18:19]
	s_cbranch_vccz .LBB70_1564
; %bb.1562:
	v_mov_b32_e32 v0, 44
	v_cmp_eq_u16_sdwa s[0:1], v16, v0 src0_sel:BYTE_0 src1_sel:DWORD
	s_and_b64 vcc, exec, s[0:1]
	s_cbranch_vccz .LBB70_1565
; %bb.1563:
	global_load_ubyte v4, v[2:3], off
	s_movk_i32 s15, 0xff
	v_bfrev_b32_e32 v5, 4
	v_mov_b32_e32 v7, 0x7ff80000
	v_bfrev_b32_e32 v8, 28
	s_mov_b64 s[0:1], 0
	s_mov_b64 s[20:21], -1
	s_waitcnt vmcnt(0)
	v_lshlrev_b32_e32 v0, 23, v4
	v_cvt_f64_f32_e32 v[0:1], v0
	v_cmp_ne_u32_e32 vcc, s15, v4
	v_cndmask_b32_e32 v0, v5, v0, vcc
	v_cndmask_b32_e32 v1, v7, v1, vcc
	v_cmp_ne_u32_e32 vcc, 0, v4
	v_cndmask_b32_e32 v1, v8, v1, vcc
	v_cndmask_b32_e32 v0, 0, v0, vcc
.LBB70_1564:
	s_branch .LBB70_1569
.LBB70_1565:
	s_mov_b64 s[0:1], -1
                                        ; implicit-def: $vgpr0_vgpr1
	s_branch .LBB70_1569
.LBB70_1566:
	v_mov_b32_e32 v0, 29
	v_cmp_eq_u16_sdwa s[0:1], v16, v0 src0_sel:BYTE_0 src1_sel:DWORD
	s_and_b64 vcc, exec, s[0:1]
	s_cbranch_vccz .LBB70_1568
; %bb.1567:
	global_load_dwordx2 v[0:1], v[2:3], off
	s_mov_b64 s[0:1], 0
	s_mov_b64 s[20:21], -1
	s_mov_b64 s[18:19], 0
	s_waitcnt vmcnt(0)
	v_cvt_f64_u32_e32 v[4:5], v1
	v_cvt_f64_u32_e32 v[0:1], v0
	v_ldexp_f64 v[4:5], v[4:5], 32
	v_add_f64 v[0:1], v[4:5], v[0:1]
	s_branch .LBB70_1570
.LBB70_1568:
	s_mov_b64 s[0:1], -1
                                        ; implicit-def: $vgpr0_vgpr1
.LBB70_1569:
	s_mov_b64 s[18:19], 0
.LBB70_1570:
	s_and_b64 vcc, exec, s[18:19]
	s_cbranch_vccz .LBB70_1588
; %bb.1571:
	v_mov_b32_e32 v0, 27
	v_cmp_lt_i16_sdwa s[18:19], v16, v0 src0_sel:BYTE_0 src1_sel:DWORD
	s_and_b64 vcc, exec, s[18:19]
	s_cbranch_vccnz .LBB70_1574
; %bb.1572:
	v_cmp_gt_i16_sdwa s[18:19], v16, v0 src0_sel:BYTE_0 src1_sel:DWORD
	s_and_b64 vcc, exec, s[18:19]
	s_cbranch_vccz .LBB70_1575
; %bb.1573:
	global_load_dword v0, v[2:3], off
	s_mov_b64 s[18:19], 0
	s_waitcnt vmcnt(0)
	v_cvt_f64_u32_e32 v[0:1], v0
	s_branch .LBB70_1576
.LBB70_1574:
	s_mov_b64 s[18:19], -1
                                        ; implicit-def: $vgpr0_vgpr1
	s_branch .LBB70_1579
.LBB70_1575:
	s_mov_b64 s[18:19], -1
                                        ; implicit-def: $vgpr0_vgpr1
.LBB70_1576:
	s_andn2_b64 vcc, exec, s[18:19]
	s_cbranch_vccnz .LBB70_1578
; %bb.1577:
	global_load_ushort v0, v[2:3], off
	s_waitcnt vmcnt(0)
	v_cvt_f64_u32_e32 v[0:1], v0
.LBB70_1578:
	s_mov_b64 s[18:19], 0
.LBB70_1579:
	s_andn2_b64 vcc, exec, s[18:19]
	s_cbranch_vccnz .LBB70_1587
; %bb.1580:
	global_load_ubyte v4, v[2:3], off
	s_movk_i32 s15, 0x7f
	s_mov_b64 s[18:19], 0
                                        ; implicit-def: $sgpr20_sgpr21
	s_waitcnt vmcnt(0)
	v_cmp_lt_i16_e32 vcc, s15, v4
	s_and_saveexec_b64 s[22:23], vcc
	s_xor_b64 s[22:23], exec, s[22:23]
	s_cbranch_execz .LBB70_1600
; %bb.1581:
	s_movk_i32 s15, 0x80
	v_cmp_eq_u16_e32 vcc, s15, v4
	s_mov_b64 s[24:25], -1
                                        ; implicit-def: $sgpr20_sgpr21
	s_and_saveexec_b64 s[18:19], vcc
; %bb.1582:
	s_mov_b32 s21, 0x7ff80000
	s_brev_b32 s20, 4
	s_xor_b64 s[24:25], exec, -1
; %bb.1583:
	s_or_b64 exec, exec, s[18:19]
	s_and_b64 s[18:19], s[24:25], exec
	s_or_saveexec_b64 s[22:23], s[22:23]
	v_pk_mov_b32 v[0:1], s[20:21], s[20:21] op_sel:[0,1]
	s_xor_b64 exec, exec, s[22:23]
	s_cbranch_execnz .LBB70_1601
.LBB70_1584:
	s_or_b64 exec, exec, s[22:23]
	s_and_saveexec_b64 s[20:21], s[18:19]
	s_cbranch_execz .LBB70_1586
.LBB70_1585:
	v_and_b32_e32 v1, 0xffff, v4
	v_lshlrev_b32_e32 v0, 24, v4
	v_and_b32_e32 v4, 7, v1
	v_ffbh_u32_e32 v7, v4
	v_min_u32_e32 v7, 32, v7
	v_subrev_u32_e32 v8, 28, v7
	v_bfe_u32 v5, v1, 3, 4
	v_lshlrev_b32_e32 v1, v8, v1
	v_sub_u32_e32 v7, 29, v7
	v_and_b32_e32 v1, 7, v1
	v_cmp_eq_u32_e32 vcc, 0, v5
	v_cndmask_b32_e32 v5, v5, v7, vcc
	v_cndmask_b32_e32 v1, v4, v1, vcc
	v_mov_b32_e32 v4, 0x3b800000
	v_lshlrev_b32_e32 v1, 20, v1
	v_and_b32_e32 v0, 0x80000000, v0
	v_lshl_add_u32 v4, v5, 23, v4
	v_or3_b32 v0, v0, v4, v1
	v_cvt_f64_f32_e32 v[0:1], v0
.LBB70_1586:
	s_or_b64 exec, exec, s[20:21]
.LBB70_1587:
	s_mov_b64 s[20:21], -1
.LBB70_1588:
	s_branch .LBB70_1620
.LBB70_1589:
	v_mov_b32_e32 v0, 22
	v_cmp_gt_i16_sdwa s[16:17], v16, v0 src0_sel:BYTE_0 src1_sel:DWORD
	s_and_b64 vcc, exec, s[16:17]
	s_cbranch_vccz .LBB70_1599
; %bb.1590:
	v_mov_b32_e32 v0, 24
	v_cmp_lt_i16_sdwa s[16:17], v16, v0 src0_sel:BYTE_0 src1_sel:DWORD
	s_and_b64 vcc, exec, s[16:17]
	s_cbranch_vccnz .LBB70_1602
; %bb.1591:
	v_cmp_gt_i16_sdwa s[16:17], v16, v0 src0_sel:BYTE_0 src1_sel:DWORD
	s_and_b64 vcc, exec, s[16:17]
	s_cbranch_vccz .LBB70_1603
; %bb.1592:
	global_load_ubyte v4, v[2:3], off
	s_movk_i32 s15, 0x7f
	s_mov_b64 s[16:17], 0
                                        ; implicit-def: $sgpr18_sgpr19
	s_waitcnt vmcnt(0)
	v_cmp_lt_i16_e32 vcc, s15, v4
	s_and_saveexec_b64 s[20:21], vcc
	s_xor_b64 s[20:21], exec, s[20:21]
	s_cbranch_execz .LBB70_1614
; %bb.1593:
	s_movk_i32 s15, 0x80
	v_cmp_eq_u16_e32 vcc, s15, v4
	s_mov_b64 s[22:23], -1
                                        ; implicit-def: $sgpr18_sgpr19
	s_and_saveexec_b64 s[16:17], vcc
; %bb.1594:
	s_mov_b32 s19, 0x7ff80000
	s_brev_b32 s18, 4
	s_xor_b64 s[22:23], exec, -1
; %bb.1595:
	s_or_b64 exec, exec, s[16:17]
	s_and_b64 s[16:17], s[22:23], exec
	s_or_saveexec_b64 s[20:21], s[20:21]
	v_pk_mov_b32 v[0:1], s[18:19], s[18:19] op_sel:[0,1]
	s_xor_b64 exec, exec, s[20:21]
	s_cbranch_execnz .LBB70_1615
.LBB70_1596:
	s_or_b64 exec, exec, s[20:21]
	s_and_saveexec_b64 s[18:19], s[16:17]
	s_cbranch_execz .LBB70_1598
.LBB70_1597:
	v_and_b32_e32 v1, 0xffff, v4
	v_lshlrev_b32_e32 v0, 24, v4
	v_and_b32_e32 v4, 3, v1
	v_ffbh_u32_e32 v7, v4
	v_min_u32_e32 v7, 32, v7
	v_subrev_u32_e32 v8, 29, v7
	v_bfe_u32 v5, v1, 2, 5
	v_lshlrev_b32_e32 v1, v8, v1
	v_sub_u32_e32 v7, 30, v7
	v_and_b32_e32 v1, 3, v1
	v_cmp_eq_u32_e32 vcc, 0, v5
	v_cndmask_b32_e32 v5, v5, v7, vcc
	v_cndmask_b32_e32 v1, v4, v1, vcc
	v_mov_b32_e32 v4, 0x37800000
	v_lshlrev_b32_e32 v1, 21, v1
	v_and_b32_e32 v0, 0x80000000, v0
	v_lshl_add_u32 v4, v5, 23, v4
	v_or3_b32 v0, v0, v4, v1
	v_cvt_f64_f32_e32 v[0:1], v0
.LBB70_1598:
	s_or_b64 exec, exec, s[18:19]
	s_mov_b64 s[16:17], 0
	s_branch .LBB70_1604
.LBB70_1599:
                                        ; implicit-def: $vgpr0_vgpr1
	s_mov_b64 s[16:17], 0
	s_branch .LBB70_1610
.LBB70_1600:
	s_or_saveexec_b64 s[22:23], s[22:23]
	v_pk_mov_b32 v[0:1], s[20:21], s[20:21] op_sel:[0,1]
	s_xor_b64 exec, exec, s[22:23]
	s_cbranch_execz .LBB70_1584
.LBB70_1601:
	v_cmp_ne_u16_e32 vcc, 0, v4
	s_andn2_b64 s[18:19], s[18:19], exec
	s_and_b64 s[20:21], vcc, exec
	v_pk_mov_b32 v[0:1], 0, 0
	s_or_b64 s[18:19], s[18:19], s[20:21]
	s_or_b64 exec, exec, s[22:23]
	s_and_saveexec_b64 s[20:21], s[18:19]
	s_cbranch_execnz .LBB70_1585
	s_branch .LBB70_1586
.LBB70_1602:
	s_mov_b64 s[16:17], -1
                                        ; implicit-def: $vgpr0_vgpr1
	s_branch .LBB70_1607
.LBB70_1603:
	s_mov_b64 s[16:17], -1
                                        ; implicit-def: $vgpr0_vgpr1
.LBB70_1604:
	s_and_b64 vcc, exec, s[16:17]
	s_cbranch_vccz .LBB70_1606
; %bb.1605:
	global_load_ubyte v0, v[2:3], off
	s_mov_b32 s15, 0x7f800000
	s_waitcnt vmcnt(0)
	v_lshlrev_b32_e32 v0, 24, v0
	v_and_b32_e32 v1, 0x7f000000, v0
	v_ffbh_u32_e32 v4, v1
	v_min_u32_e32 v4, 32, v4
	v_sub_u32_e64 v4, v4, 4 clamp
	v_lshlrev_b32_e32 v7, v4, v1
	v_lshlrev_b32_e32 v4, 23, v4
	v_lshrrev_b32_e32 v7, 4, v7
	v_add_u32_e32 v5, 0x1000000, v1
	v_sub_u32_e32 v4, v7, v4
	v_ashrrev_i32_e32 v5, 8, v5
	v_add_u32_e32 v4, 0x3c000000, v4
	v_and_or_b32 v4, v5, s15, v4
	v_cmp_ne_u32_e32 vcc, 0, v1
	v_cndmask_b32_e32 v1, 0, v4, vcc
	s_brev_b32 s15, 1
	v_and_or_b32 v0, v0, s15, v1
	v_cvt_f64_f32_e32 v[0:1], v0
.LBB70_1606:
	s_mov_b64 s[16:17], 0
.LBB70_1607:
	s_andn2_b64 vcc, exec, s[16:17]
	s_cbranch_vccnz .LBB70_1609
; %bb.1608:
	global_load_ubyte v0, v[2:3], off
	s_movk_i32 s15, 0x7f00
	s_brev_b32 s16, 16
	s_waitcnt vmcnt(0)
	v_lshlrev_b16_e32 v1, 8, v0
	v_lshlrev_b32_e32 v0, 25, v0
	v_lshrrev_b32_e32 v4, 4, v0
	v_and_or_b32 v5, v1, s15, 0.5
	v_or_b32_e32 v4, 0x70000000, v4
	v_add_f32_e32 v5, -0.5, v5
	v_mul_f32_e32 v4, 0x7800000, v4
	v_cmp_gt_u32_e32 vcc, s16, v0
	v_bfe_i32 v1, v1, 0, 16
	v_cndmask_b32_e32 v0, v4, v5, vcc
	s_brev_b32 s15, 1
	v_and_or_b32 v0, v1, s15, v0
	v_cvt_f64_f32_e32 v[0:1], v0
.LBB70_1609:
	s_mov_b64 s[20:21], -1
	s_mov_b64 s[16:17], 0
	s_cbranch_execnz .LBB70_1620
.LBB70_1610:
	v_mov_b32_e32 v0, 14
	v_cmp_gt_i16_sdwa s[16:17], v16, v0 src0_sel:BYTE_0 src1_sel:DWORD
	s_and_b64 vcc, exec, s[16:17]
	s_cbranch_vccz .LBB70_1613
; %bb.1611:
	v_mov_b32_e32 v0, 15
	v_cmp_eq_u16_sdwa s[0:1], v16, v0 src0_sel:BYTE_0 src1_sel:DWORD
	s_and_b64 vcc, exec, s[0:1]
	s_cbranch_vccz .LBB70_1616
; %bb.1612:
	global_load_ushort v0, v[2:3], off
	s_mov_b64 s[0:1], 0
	s_mov_b64 s[20:21], -1
	s_waitcnt vmcnt(0)
	v_lshlrev_b32_e32 v0, 16, v0
	v_cvt_f64_f32_e32 v[0:1], v0
	s_branch .LBB70_1617
.LBB70_1613:
	s_mov_b64 s[18:19], -1
                                        ; implicit-def: $vgpr0_vgpr1
	s_branch .LBB70_1618
.LBB70_1614:
	s_or_saveexec_b64 s[20:21], s[20:21]
	v_pk_mov_b32 v[0:1], s[18:19], s[18:19] op_sel:[0,1]
	s_xor_b64 exec, exec, s[20:21]
	s_cbranch_execz .LBB70_1596
.LBB70_1615:
	v_cmp_ne_u16_e32 vcc, 0, v4
	s_andn2_b64 s[16:17], s[16:17], exec
	s_and_b64 s[18:19], vcc, exec
	v_pk_mov_b32 v[0:1], 0, 0
	s_or_b64 s[16:17], s[16:17], s[18:19]
	s_or_b64 exec, exec, s[20:21]
	s_and_saveexec_b64 s[18:19], s[16:17]
	s_cbranch_execnz .LBB70_1597
	s_branch .LBB70_1598
.LBB70_1616:
	s_mov_b64 s[0:1], -1
                                        ; implicit-def: $vgpr0_vgpr1
.LBB70_1617:
	s_mov_b64 s[18:19], 0
.LBB70_1618:
	s_mov_b64 s[16:17], 0
	s_and_b64 vcc, exec, s[18:19]
	s_cbranch_vccz .LBB70_1620
; %bb.1619:
	v_mov_b32_e32 v0, 11
	v_cmp_ne_u16_sdwa s[0:1], v16, v0 src0_sel:BYTE_0 src1_sel:DWORD
	s_mov_b64 s[16:17], -1
                                        ; implicit-def: $vgpr0_vgpr1
.LBB70_1620:
	s_and_b64 vcc, exec, s[0:1]
	s_mov_b64 s[18:19], s[6:7]
	s_cbranch_vccnz .LBB70_1681
; %bb.1621:
	s_andn2_b64 vcc, exec, s[16:17]
	s_cbranch_vccnz .LBB70_1623
.LBB70_1622:
	global_load_ubyte v1, v[2:3], off
	v_mov_b32_e32 v4, 0x3ff00000
	v_mov_b32_e32 v0, 0
	s_mov_b64 s[20:21], -1
	s_waitcnt vmcnt(0)
	v_cmp_ne_u16_e32 vcc, 0, v1
	v_cndmask_b32_e32 v1, 0, v4, vcc
.LBB70_1623:
	s_branch .LBB70_1553
.LBB70_1624:
	v_mov_b32_e32 v0, 5
	v_cmp_lt_i16_sdwa s[0:1], v16, v0 src0_sel:BYTE_0 src1_sel:DWORD
	s_and_b64 vcc, exec, s[0:1]
	s_cbranch_vccnz .LBB70_1629
; %bb.1625:
	v_mov_b32_e32 v0, 8
	v_cmp_lt_i16_sdwa s[0:1], v16, v0 src0_sel:BYTE_0 src1_sel:DWORD
	s_and_b64 vcc, exec, s[0:1]
	s_cbranch_vccnz .LBB70_1630
; %bb.1626:
	;; [unrolled: 5-line block ×3, first 2 shown]
	v_cmp_gt_i16_sdwa s[0:1], v16, v0 src0_sel:BYTE_0 src1_sel:DWORD
	s_and_b64 vcc, exec, s[0:1]
	s_cbranch_vccz .LBB70_1632
; %bb.1628:
	global_load_dwordx2 v[0:1], v[2:3], off
	s_mov_b64 s[0:1], 0
	s_branch .LBB70_1633
.LBB70_1629:
                                        ; implicit-def: $vgpr0_vgpr1
	s_branch .LBB70_1650
.LBB70_1630:
                                        ; implicit-def: $vgpr0_vgpr1
	s_branch .LBB70_1639
.LBB70_1631:
	s_mov_b64 s[0:1], -1
                                        ; implicit-def: $vgpr0_vgpr1
	s_branch .LBB70_1636
.LBB70_1632:
	s_mov_b64 s[0:1], -1
                                        ; implicit-def: $vgpr0_vgpr1
.LBB70_1633:
	s_andn2_b64 vcc, exec, s[0:1]
	s_cbranch_vccnz .LBB70_1635
; %bb.1634:
	global_load_dword v0, v[2:3], off
	s_waitcnt vmcnt(0)
	v_cvt_f64_f32_e32 v[0:1], v0
.LBB70_1635:
	s_mov_b64 s[0:1], 0
.LBB70_1636:
	s_andn2_b64 vcc, exec, s[0:1]
	s_cbranch_vccnz .LBB70_1638
; %bb.1637:
	global_load_dword v0, v[2:3], off
	s_waitcnt vmcnt(0)
	v_cvt_f32_f16_e32 v0, v0
	v_cvt_f64_f32_e32 v[0:1], v0
.LBB70_1638:
	s_cbranch_execnz .LBB70_1649
.LBB70_1639:
	s_waitcnt vmcnt(0)
	v_mov_b32_e32 v0, 6
	v_cmp_lt_i16_sdwa s[0:1], v16, v0 src0_sel:BYTE_0 src1_sel:DWORD
	s_and_b64 vcc, exec, s[0:1]
	s_cbranch_vccnz .LBB70_1642
; %bb.1640:
	v_cmp_gt_i16_sdwa s[0:1], v16, v0 src0_sel:BYTE_0 src1_sel:DWORD
	s_and_b64 vcc, exec, s[0:1]
	s_cbranch_vccz .LBB70_1643
; %bb.1641:
	global_load_dwordx2 v[0:1], v[2:3], off
	s_mov_b64 s[0:1], 0
	s_branch .LBB70_1644
.LBB70_1642:
	s_mov_b64 s[0:1], -1
                                        ; implicit-def: $vgpr0_vgpr1
	s_branch .LBB70_1647
.LBB70_1643:
	s_mov_b64 s[0:1], -1
                                        ; implicit-def: $vgpr0_vgpr1
.LBB70_1644:
	s_andn2_b64 vcc, exec, s[0:1]
	s_cbranch_vccnz .LBB70_1646
; %bb.1645:
	global_load_dword v0, v[2:3], off
	s_waitcnt vmcnt(0)
	v_cvt_f64_f32_e32 v[0:1], v0
.LBB70_1646:
	s_mov_b64 s[0:1], 0
.LBB70_1647:
	s_andn2_b64 vcc, exec, s[0:1]
	s_cbranch_vccnz .LBB70_1649
; %bb.1648:
	global_load_ushort v0, v[2:3], off
	s_waitcnt vmcnt(0)
	v_cvt_f32_f16_e32 v0, v0
	v_cvt_f64_f32_e32 v[0:1], v0
.LBB70_1649:
	s_cbranch_execnz .LBB70_1668
.LBB70_1650:
	s_waitcnt vmcnt(0)
	v_mov_b32_e32 v0, 2
	v_cmp_lt_i16_sdwa s[0:1], v16, v0 src0_sel:BYTE_0 src1_sel:DWORD
	s_and_b64 vcc, exec, s[0:1]
	s_cbranch_vccnz .LBB70_1654
; %bb.1651:
	v_mov_b32_e32 v0, 3
	v_cmp_lt_i16_sdwa s[0:1], v16, v0 src0_sel:BYTE_0 src1_sel:DWORD
	s_and_b64 vcc, exec, s[0:1]
	s_cbranch_vccnz .LBB70_1655
; %bb.1652:
	v_cmp_gt_i16_sdwa s[0:1], v16, v0 src0_sel:BYTE_0 src1_sel:DWORD
	s_and_b64 vcc, exec, s[0:1]
	s_cbranch_vccz .LBB70_1656
; %bb.1653:
	global_load_dwordx2 v[0:1], v[2:3], off
	s_mov_b64 s[0:1], 0
	s_waitcnt vmcnt(0)
	v_cvt_f64_i32_e32 v[4:5], v1
	v_cvt_f64_u32_e32 v[0:1], v0
	v_ldexp_f64 v[4:5], v[4:5], 32
	v_add_f64 v[0:1], v[4:5], v[0:1]
	s_branch .LBB70_1657
.LBB70_1654:
                                        ; implicit-def: $vgpr0_vgpr1
	s_branch .LBB70_1663
.LBB70_1655:
	s_mov_b64 s[0:1], -1
                                        ; implicit-def: $vgpr0_vgpr1
	s_branch .LBB70_1660
.LBB70_1656:
	s_mov_b64 s[0:1], -1
                                        ; implicit-def: $vgpr0_vgpr1
.LBB70_1657:
	s_andn2_b64 vcc, exec, s[0:1]
	s_cbranch_vccnz .LBB70_1659
; %bb.1658:
	global_load_dword v0, v[2:3], off
	s_waitcnt vmcnt(0)
	v_cvt_f64_i32_e32 v[0:1], v0
.LBB70_1659:
	s_mov_b64 s[0:1], 0
.LBB70_1660:
	s_andn2_b64 vcc, exec, s[0:1]
	s_cbranch_vccnz .LBB70_1662
; %bb.1661:
	global_load_sshort v0, v[2:3], off
	s_waitcnt vmcnt(0)
	v_cvt_f64_i32_e32 v[0:1], v0
.LBB70_1662:
	s_cbranch_execnz .LBB70_1668
.LBB70_1663:
	v_mov_b32_e32 v0, 0
	v_cmp_gt_i16_sdwa s[0:1], v16, v0 src0_sel:BYTE_0 src1_sel:DWORD
	s_and_b64 vcc, exec, s[0:1]
	s_cbranch_vccz .LBB70_1665
; %bb.1664:
	global_load_sbyte v0, v[2:3], off
	s_mov_b64 s[0:1], 0
	s_waitcnt vmcnt(0)
	v_cvt_f64_i32_e32 v[0:1], v0
	s_branch .LBB70_1666
.LBB70_1665:
	s_mov_b64 s[0:1], -1
                                        ; implicit-def: $vgpr0_vgpr1
.LBB70_1666:
	s_andn2_b64 vcc, exec, s[0:1]
	s_cbranch_vccnz .LBB70_1668
; %bb.1667:
	global_load_ubyte v0, v[2:3], off
	s_waitcnt vmcnt(0)
	v_cvt_f64_u32_e32 v[0:1], v0
.LBB70_1668:
                                        ; implicit-def: $vgpr14_vgpr15
.LBB70_1669:
	v_mul_lo_u32 v8, s14, v19
	v_ashrrev_i32_e32 v2, 31, v8
	v_mov_b32_e32 v3, s3
	v_add_co_u32_e32 v4, vcc, s2, v8
	v_addc_co_u32_e32 v5, vcc, v3, v2, vcc
	v_mov_b32_e32 v2, 11
	v_cmp_lt_i16_sdwa s[0:1], v20, v2 src0_sel:BYTE_0 src1_sel:DWORD
	s_and_b64 vcc, exec, s[0:1]
	s_cbranch_vccnz .LBB70_1676
; %bb.1670:
	v_mov_b32_e32 v2, 25
	v_cmp_gt_i16_sdwa s[0:1], v20, v2 src0_sel:BYTE_0 src1_sel:DWORD
	s_mov_b64 s[16:17], 0
	s_and_b64 vcc, exec, s[0:1]
	s_cbranch_vccz .LBB70_1678
; %bb.1671:
	v_mov_b32_e32 v2, 28
	v_cmp_gt_i16_sdwa s[0:1], v20, v2 src0_sel:BYTE_0 src1_sel:DWORD
	s_and_b64 vcc, exec, s[0:1]
	s_cbranch_vccz .LBB70_1679
; %bb.1672:
	v_mov_b32_e32 v2, 43
	v_cmp_gt_i16_sdwa s[0:1], v20, v2 src0_sel:BYTE_0 src1_sel:DWORD
	;; [unrolled: 5-line block ×3, first 2 shown]
	s_and_b64 vcc, exec, s[0:1]
	s_cbranch_vccz .LBB70_1682
; %bb.1674:
	v_mov_b32_e32 v2, 46
	v_cmp_eq_u16_sdwa s[0:1], v20, v2 src0_sel:BYTE_0 src1_sel:DWORD
	s_mov_b64 s[22:23], 0
	s_and_b64 vcc, exec, s[0:1]
	s_cbranch_vccz .LBB70_1685
; %bb.1675:
	global_load_dword v2, v[4:5], off
	s_mov_b64 s[0:1], 0
	s_mov_b64 s[20:21], -1
	s_waitcnt vmcnt(0)
	v_lshlrev_b32_e32 v2, 16, v2
	v_cvt_f64_f32_e32 v[2:3], v2
	s_branch .LBB70_1686
.LBB70_1676:
	s_mov_b64 s[20:21], 0
                                        ; implicit-def: $vgpr2_vgpr3
	s_cbranch_execnz .LBB70_1751
.LBB70_1677:
	s_andn2_b64 vcc, exec, s[20:21]
	s_cbranch_vccnz .LBB70_3032
	s_branch .LBB70_1798
.LBB70_1678:
	s_mov_b64 s[20:21], 0
	s_mov_b64 s[0:1], 0
                                        ; implicit-def: $vgpr2_vgpr3
	s_cbranch_execnz .LBB70_1715
	s_branch .LBB70_1747
.LBB70_1679:
	s_mov_b64 s[22:23], -1
	s_mov_b64 s[20:21], 0
	s_mov_b64 s[0:1], 0
                                        ; implicit-def: $vgpr2_vgpr3
	s_branch .LBB70_1696
.LBB70_1680:
	s_mov_b64 s[22:23], -1
	s_mov_b64 s[20:21], 0
	s_mov_b64 s[0:1], 0
                                        ; implicit-def: $vgpr2_vgpr3
	s_branch .LBB70_1691
.LBB70_1681:
	s_or_b64 s[18:19], s[6:7], exec
	s_trap 2
                                        ; implicit-def: $vgpr0_vgpr1
	s_cbranch_execz .LBB70_1622
	s_branch .LBB70_1623
.LBB70_1682:
	s_mov_b64 s[22:23], -1
	s_mov_b64 s[20:21], 0
	s_mov_b64 s[0:1], 0
                                        ; implicit-def: $vgpr2_vgpr3
	s_branch .LBB70_1686
.LBB70_1683:
	s_or_saveexec_b64 s[28:29], s[28:29]
                                        ; implicit-def: $sgpr15
	s_xor_b64 exec, exec, s[28:29]
	s_cbranch_execz .LBB70_1465
.LBB70_1684:
	s_mov_b32 s15, 0x42800000
	v_add_f32_e64 v3, |v2|, s15
	v_and_b32_e32 v3, 0xff, v3
	v_cmp_ne_u32_e32 vcc, 0, v3
	s_andn2_b64 s[26:27], s[26:27], exec
	s_and_b64 s[30:31], vcc, exec
	s_mov_b32 s15, 0
	s_or_b64 s[26:27], s[26:27], s[30:31]
	s_or_b64 exec, exec, s[28:29]
	v_mov_b32_e32 v7, s15
	s_and_saveexec_b64 s[28:29], s[26:27]
	s_cbranch_execnz .LBB70_1466
	s_branch .LBB70_1467
.LBB70_1685:
	s_mov_b64 s[0:1], -1
                                        ; implicit-def: $vgpr2_vgpr3
	s_mov_b64 s[20:21], 0
.LBB70_1686:
	s_and_b64 vcc, exec, s[22:23]
	s_cbranch_vccz .LBB70_1690
; %bb.1687:
	v_mov_b32_e32 v2, 44
	v_cmp_eq_u16_sdwa s[0:1], v20, v2 src0_sel:BYTE_0 src1_sel:DWORD
	s_and_b64 vcc, exec, s[0:1]
	s_cbranch_vccz .LBB70_1689
; %bb.1688:
	global_load_ubyte v7, v[4:5], off
	s_movk_i32 s15, 0xff
	v_mov_b32_e32 v9, 0x7ff80000
	v_bfrev_b32_e32 v10, 28
	s_mov_b64 s[0:1], 0
	s_mov_b64 s[20:21], -1
	s_waitcnt vmcnt(0)
	v_lshlrev_b32_e32 v2, 23, v7
	v_cvt_f64_f32_e32 v[2:3], v2
	v_cmp_ne_u32_e32 vcc, s15, v7
	v_cndmask_b32_e32 v2, v9, v3, vcc
	v_cmp_ne_u32_e32 vcc, 0, v7
	v_cndmask_b32_e32 v3, v10, v2, vcc
	s_branch .LBB70_1690
.LBB70_1689:
	s_mov_b64 s[0:1], -1
                                        ; implicit-def: $vgpr2_vgpr3
.LBB70_1690:
	s_mov_b64 s[22:23], 0
.LBB70_1691:
	s_and_b64 vcc, exec, s[22:23]
	s_cbranch_vccz .LBB70_1695
; %bb.1692:
	v_mov_b32_e32 v2, 29
	v_cmp_eq_u16_sdwa s[0:1], v20, v2 src0_sel:BYTE_0 src1_sel:DWORD
	s_and_b64 vcc, exec, s[0:1]
	s_cbranch_vccz .LBB70_1694
; %bb.1693:
	global_load_dwordx2 v[2:3], v[4:5], off
	s_mov_b64 s[0:1], 0
	s_mov_b64 s[20:21], -1
	s_mov_b64 s[22:23], 0
	s_waitcnt vmcnt(0)
	v_cvt_f64_u32_e32 v[10:11], v3
	v_cvt_f64_u32_e32 v[2:3], v2
	v_ldexp_f64 v[10:11], v[10:11], 32
	v_add_f64 v[2:3], v[10:11], v[2:3]
	s_branch .LBB70_1696
.LBB70_1694:
	s_mov_b64 s[0:1], -1
                                        ; implicit-def: $vgpr2_vgpr3
.LBB70_1695:
	s_mov_b64 s[22:23], 0
.LBB70_1696:
	s_and_b64 vcc, exec, s[22:23]
	s_cbranch_vccz .LBB70_1714
; %bb.1697:
	v_mov_b32_e32 v2, 27
	v_cmp_lt_i16_sdwa s[20:21], v20, v2 src0_sel:BYTE_0 src1_sel:DWORD
	s_and_b64 vcc, exec, s[20:21]
	s_cbranch_vccnz .LBB70_1700
; %bb.1698:
	v_cmp_gt_i16_sdwa s[20:21], v20, v2 src0_sel:BYTE_0 src1_sel:DWORD
	s_and_b64 vcc, exec, s[20:21]
	s_cbranch_vccz .LBB70_1701
; %bb.1699:
	global_load_dword v2, v[4:5], off
	s_mov_b64 s[20:21], 0
	s_waitcnt vmcnt(0)
	v_cvt_f64_u32_e32 v[2:3], v2
	s_branch .LBB70_1702
.LBB70_1700:
	s_mov_b64 s[20:21], -1
                                        ; implicit-def: $vgpr2_vgpr3
	s_branch .LBB70_1705
.LBB70_1701:
	s_mov_b64 s[20:21], -1
                                        ; implicit-def: $vgpr2_vgpr3
.LBB70_1702:
	s_andn2_b64 vcc, exec, s[20:21]
	s_cbranch_vccnz .LBB70_1704
; %bb.1703:
	global_load_ushort v2, v[4:5], off
	s_waitcnt vmcnt(0)
	v_cvt_f64_u32_e32 v[2:3], v2
.LBB70_1704:
	s_mov_b64 s[20:21], 0
.LBB70_1705:
	s_andn2_b64 vcc, exec, s[20:21]
	s_cbranch_vccnz .LBB70_1713
; %bb.1706:
	global_load_ubyte v7, v[4:5], off
	s_movk_i32 s15, 0x7f
	s_mov_b64 s[20:21], 0
                                        ; implicit-def: $sgpr22_sgpr23
	s_waitcnt vmcnt(0)
	v_cmp_lt_i16_e32 vcc, s15, v7
	s_and_saveexec_b64 s[24:25], vcc
	s_xor_b64 s[24:25], exec, s[24:25]
	s_cbranch_execz .LBB70_1726
; %bb.1707:
	s_movk_i32 s15, 0x80
	v_cmp_eq_u16_e32 vcc, s15, v7
	s_mov_b64 s[26:27], -1
                                        ; implicit-def: $sgpr22_sgpr23
	s_and_saveexec_b64 s[20:21], vcc
; %bb.1708:
	s_mov_b32 s23, 0x7ff80000
	s_brev_b32 s22, 4
	s_xor_b64 s[26:27], exec, -1
; %bb.1709:
	s_or_b64 exec, exec, s[20:21]
	s_and_b64 s[20:21], s[26:27], exec
	s_or_saveexec_b64 s[24:25], s[24:25]
	v_pk_mov_b32 v[2:3], s[22:23], s[22:23] op_sel:[0,1]
	s_xor_b64 exec, exec, s[24:25]
	s_cbranch_execnz .LBB70_1727
.LBB70_1710:
	s_or_b64 exec, exec, s[24:25]
	s_and_saveexec_b64 s[22:23], s[20:21]
	s_cbranch_execz .LBB70_1712
.LBB70_1711:
	v_and_b32_e32 v3, 0xffff, v7
	v_lshlrev_b32_e32 v2, 24, v7
	v_and_b32_e32 v7, 7, v3
	v_ffbh_u32_e32 v10, v7
	v_min_u32_e32 v10, 32, v10
	v_subrev_u32_e32 v11, 28, v10
	v_bfe_u32 v9, v3, 3, 4
	v_lshlrev_b32_e32 v3, v11, v3
	v_sub_u32_e32 v10, 29, v10
	v_and_b32_e32 v3, 7, v3
	v_cmp_eq_u32_e32 vcc, 0, v9
	v_cndmask_b32_e32 v9, v9, v10, vcc
	v_cndmask_b32_e32 v3, v7, v3, vcc
	v_mov_b32_e32 v7, 0x3b800000
	v_lshlrev_b32_e32 v3, 20, v3
	v_and_b32_e32 v2, 0x80000000, v2
	v_lshl_add_u32 v7, v9, 23, v7
	v_or3_b32 v2, v2, v7, v3
	v_cvt_f64_f32_e32 v[2:3], v2
.LBB70_1712:
	s_or_b64 exec, exec, s[22:23]
.LBB70_1713:
	s_mov_b64 s[20:21], -1
.LBB70_1714:
	s_branch .LBB70_1747
.LBB70_1715:
	v_mov_b32_e32 v2, 22
	v_cmp_gt_i16_sdwa s[16:17], v20, v2 src0_sel:BYTE_0 src1_sel:DWORD
	s_and_b64 vcc, exec, s[16:17]
	s_cbranch_vccz .LBB70_1725
; %bb.1716:
	v_mov_b32_e32 v2, 24
	v_cmp_lt_i16_sdwa s[16:17], v20, v2 src0_sel:BYTE_0 src1_sel:DWORD
	s_and_b64 vcc, exec, s[16:17]
	s_cbranch_vccnz .LBB70_1728
; %bb.1717:
	v_cmp_gt_i16_sdwa s[16:17], v20, v2 src0_sel:BYTE_0 src1_sel:DWORD
	s_and_b64 vcc, exec, s[16:17]
	s_cbranch_vccz .LBB70_1729
; %bb.1718:
	global_load_ubyte v7, v[4:5], off
	s_movk_i32 s15, 0x7f
	s_mov_b64 s[16:17], 0
                                        ; implicit-def: $sgpr20_sgpr21
	s_waitcnt vmcnt(0)
	v_cmp_lt_i16_e32 vcc, s15, v7
	s_and_saveexec_b64 s[22:23], vcc
	s_xor_b64 s[22:23], exec, s[22:23]
	s_cbranch_execz .LBB70_1741
; %bb.1719:
	s_movk_i32 s15, 0x80
	v_cmp_eq_u16_e32 vcc, s15, v7
	s_mov_b64 s[24:25], -1
                                        ; implicit-def: $sgpr20_sgpr21
	s_and_saveexec_b64 s[16:17], vcc
; %bb.1720:
	s_mov_b32 s21, 0x7ff80000
	s_brev_b32 s20, 4
	s_xor_b64 s[24:25], exec, -1
; %bb.1721:
	s_or_b64 exec, exec, s[16:17]
	s_and_b64 s[16:17], s[24:25], exec
	s_or_saveexec_b64 s[22:23], s[22:23]
	v_pk_mov_b32 v[2:3], s[20:21], s[20:21] op_sel:[0,1]
	s_xor_b64 exec, exec, s[22:23]
	s_cbranch_execnz .LBB70_1742
.LBB70_1722:
	s_or_b64 exec, exec, s[22:23]
	s_and_saveexec_b64 s[20:21], s[16:17]
	s_cbranch_execz .LBB70_1724
.LBB70_1723:
	v_and_b32_e32 v3, 0xffff, v7
	v_lshlrev_b32_e32 v2, 24, v7
	v_and_b32_e32 v7, 3, v3
	v_ffbh_u32_e32 v10, v7
	v_min_u32_e32 v10, 32, v10
	v_subrev_u32_e32 v11, 29, v10
	v_bfe_u32 v9, v3, 2, 5
	v_lshlrev_b32_e32 v3, v11, v3
	v_sub_u32_e32 v10, 30, v10
	v_and_b32_e32 v3, 3, v3
	v_cmp_eq_u32_e32 vcc, 0, v9
	v_cndmask_b32_e32 v9, v9, v10, vcc
	v_cndmask_b32_e32 v3, v7, v3, vcc
	v_mov_b32_e32 v7, 0x37800000
	v_lshlrev_b32_e32 v3, 21, v3
	v_and_b32_e32 v2, 0x80000000, v2
	v_lshl_add_u32 v7, v9, 23, v7
	v_or3_b32 v2, v2, v7, v3
	v_cvt_f64_f32_e32 v[2:3], v2
.LBB70_1724:
	s_or_b64 exec, exec, s[20:21]
	s_mov_b64 s[16:17], 0
	s_branch .LBB70_1730
.LBB70_1725:
	s_mov_b64 s[16:17], -1
                                        ; implicit-def: $vgpr2_vgpr3
	s_branch .LBB70_1736
.LBB70_1726:
	s_or_saveexec_b64 s[24:25], s[24:25]
	v_pk_mov_b32 v[2:3], s[22:23], s[22:23] op_sel:[0,1]
	s_xor_b64 exec, exec, s[24:25]
	s_cbranch_execz .LBB70_1710
.LBB70_1727:
	v_cmp_ne_u16_e32 vcc, 0, v7
	s_andn2_b64 s[20:21], s[20:21], exec
	s_and_b64 s[22:23], vcc, exec
	v_pk_mov_b32 v[2:3], 0, 0
	s_or_b64 s[20:21], s[20:21], s[22:23]
	s_or_b64 exec, exec, s[24:25]
	s_and_saveexec_b64 s[22:23], s[20:21]
	s_cbranch_execnz .LBB70_1711
	s_branch .LBB70_1712
.LBB70_1728:
	s_mov_b64 s[16:17], -1
                                        ; implicit-def: $vgpr2_vgpr3
	s_branch .LBB70_1733
.LBB70_1729:
	s_mov_b64 s[16:17], -1
                                        ; implicit-def: $vgpr2_vgpr3
.LBB70_1730:
	s_and_b64 vcc, exec, s[16:17]
	s_cbranch_vccz .LBB70_1732
; %bb.1731:
	global_load_ubyte v2, v[4:5], off
	s_mov_b32 s15, 0x7f800000
	s_waitcnt vmcnt(0)
	v_lshlrev_b32_e32 v2, 24, v2
	v_and_b32_e32 v3, 0x7f000000, v2
	v_ffbh_u32_e32 v7, v3
	v_min_u32_e32 v7, 32, v7
	v_sub_u32_e64 v7, v7, 4 clamp
	v_lshlrev_b32_e32 v10, v7, v3
	v_lshlrev_b32_e32 v7, 23, v7
	v_lshrrev_b32_e32 v10, 4, v10
	v_add_u32_e32 v9, 0x1000000, v3
	v_sub_u32_e32 v7, v10, v7
	v_ashrrev_i32_e32 v9, 8, v9
	v_add_u32_e32 v7, 0x3c000000, v7
	v_and_or_b32 v7, v9, s15, v7
	v_cmp_ne_u32_e32 vcc, 0, v3
	v_cndmask_b32_e32 v3, 0, v7, vcc
	s_brev_b32 s15, 1
	v_and_or_b32 v2, v2, s15, v3
	v_cvt_f64_f32_e32 v[2:3], v2
.LBB70_1732:
	s_mov_b64 s[16:17], 0
.LBB70_1733:
	s_andn2_b64 vcc, exec, s[16:17]
	s_cbranch_vccnz .LBB70_1735
; %bb.1734:
	global_load_ubyte v2, v[4:5], off
	s_movk_i32 s15, 0x7f00
	s_brev_b32 s16, 16
	s_waitcnt vmcnt(0)
	v_lshlrev_b16_e32 v3, 8, v2
	v_lshlrev_b32_e32 v2, 25, v2
	v_lshrrev_b32_e32 v7, 4, v2
	v_and_or_b32 v9, v3, s15, 0.5
	v_or_b32_e32 v7, 0x70000000, v7
	v_add_f32_e32 v9, -0.5, v9
	v_mul_f32_e32 v7, 0x7800000, v7
	v_cmp_gt_u32_e32 vcc, s16, v2
	v_bfe_i32 v3, v3, 0, 16
	v_cndmask_b32_e32 v2, v7, v9, vcc
	s_brev_b32 s15, 1
	v_and_or_b32 v2, v3, s15, v2
	v_cvt_f64_f32_e32 v[2:3], v2
.LBB70_1735:
	s_mov_b64 s[16:17], 0
	s_mov_b64 s[20:21], -1
.LBB70_1736:
	s_andn2_b64 vcc, exec, s[16:17]
	s_mov_b64 s[16:17], 0
	s_cbranch_vccnz .LBB70_1747
; %bb.1737:
	v_mov_b32_e32 v2, 14
	v_cmp_gt_i16_sdwa s[16:17], v20, v2 src0_sel:BYTE_0 src1_sel:DWORD
	s_and_b64 vcc, exec, s[16:17]
	s_cbranch_vccz .LBB70_1740
; %bb.1738:
	v_mov_b32_e32 v2, 15
	v_cmp_eq_u16_sdwa s[0:1], v20, v2 src0_sel:BYTE_0 src1_sel:DWORD
	s_and_b64 vcc, exec, s[0:1]
	s_cbranch_vccz .LBB70_1743
; %bb.1739:
	global_load_ushort v2, v[4:5], off
	s_mov_b64 s[0:1], 0
	s_mov_b64 s[20:21], -1
	s_waitcnt vmcnt(0)
	v_lshlrev_b32_e32 v2, 16, v2
	v_cvt_f64_f32_e32 v[2:3], v2
	s_branch .LBB70_1744
.LBB70_1740:
	s_mov_b64 s[22:23], -1
                                        ; implicit-def: $vgpr2_vgpr3
	s_branch .LBB70_1745
.LBB70_1741:
	s_or_saveexec_b64 s[22:23], s[22:23]
	v_pk_mov_b32 v[2:3], s[20:21], s[20:21] op_sel:[0,1]
	s_xor_b64 exec, exec, s[22:23]
	s_cbranch_execz .LBB70_1722
.LBB70_1742:
	v_cmp_ne_u16_e32 vcc, 0, v7
	s_andn2_b64 s[16:17], s[16:17], exec
	s_and_b64 s[20:21], vcc, exec
	v_pk_mov_b32 v[2:3], 0, 0
	s_or_b64 s[16:17], s[16:17], s[20:21]
	s_or_b64 exec, exec, s[22:23]
	s_and_saveexec_b64 s[20:21], s[16:17]
	s_cbranch_execnz .LBB70_1723
	s_branch .LBB70_1724
.LBB70_1743:
	s_mov_b64 s[0:1], -1
                                        ; implicit-def: $vgpr2_vgpr3
.LBB70_1744:
	s_mov_b64 s[22:23], 0
.LBB70_1745:
	s_mov_b64 s[16:17], 0
	s_and_b64 vcc, exec, s[22:23]
	s_cbranch_vccz .LBB70_1747
; %bb.1746:
	v_mov_b32_e32 v2, 11
	v_cmp_ne_u16_sdwa s[0:1], v20, v2 src0_sel:BYTE_0 src1_sel:DWORD
	s_mov_b64 s[16:17], -1
                                        ; implicit-def: $vgpr2_vgpr3
.LBB70_1747:
	s_and_b64 vcc, exec, s[0:1]
	s_cbranch_vccnz .LBB70_1810
; %bb.1748:
	s_andn2_b64 vcc, exec, s[16:17]
	s_cbranch_vccnz .LBB70_1750
.LBB70_1749:
	global_load_ubyte v2, v[4:5], off
	v_mov_b32_e32 v3, 0x3ff00000
	s_mov_b64 s[20:21], -1
	s_waitcnt vmcnt(0)
	v_cmp_ne_u16_e32 vcc, 0, v2
	v_cndmask_b32_e32 v3, 0, v3, vcc
.LBB70_1750:
	s_branch .LBB70_1677
.LBB70_1751:
	v_mov_b32_e32 v2, 5
	v_cmp_lt_i16_sdwa s[0:1], v20, v2 src0_sel:BYTE_0 src1_sel:DWORD
	s_and_b64 vcc, exec, s[0:1]
	s_cbranch_vccnz .LBB70_1756
; %bb.1752:
	v_mov_b32_e32 v2, 8
	v_cmp_lt_i16_sdwa s[0:1], v20, v2 src0_sel:BYTE_0 src1_sel:DWORD
	s_and_b64 vcc, exec, s[0:1]
	s_cbranch_vccnz .LBB70_1757
; %bb.1753:
	;; [unrolled: 5-line block ×3, first 2 shown]
	v_cmp_gt_i16_sdwa s[0:1], v20, v2 src0_sel:BYTE_0 src1_sel:DWORD
	s_and_b64 vcc, exec, s[0:1]
	s_cbranch_vccz .LBB70_1759
; %bb.1755:
	global_load_dwordx2 v[2:3], v[4:5], off
	s_mov_b64 s[0:1], 0
	s_branch .LBB70_1760
.LBB70_1756:
                                        ; implicit-def: $vgpr2_vgpr3
	s_branch .LBB70_1778
.LBB70_1757:
	s_mov_b64 s[0:1], -1
                                        ; implicit-def: $vgpr2_vgpr3
	s_branch .LBB70_1766
.LBB70_1758:
	s_mov_b64 s[0:1], -1
                                        ; implicit-def: $vgpr2_vgpr3
	s_branch .LBB70_1763
.LBB70_1759:
	s_mov_b64 s[0:1], -1
                                        ; implicit-def: $vgpr2_vgpr3
.LBB70_1760:
	s_andn2_b64 vcc, exec, s[0:1]
	s_cbranch_vccnz .LBB70_1762
; %bb.1761:
	global_load_dword v2, v[4:5], off
	s_waitcnt vmcnt(0)
	v_cvt_f64_f32_e32 v[2:3], v2
.LBB70_1762:
	s_mov_b64 s[0:1], 0
.LBB70_1763:
	s_andn2_b64 vcc, exec, s[0:1]
	s_cbranch_vccnz .LBB70_1765
; %bb.1764:
	global_load_dword v2, v[4:5], off
	s_waitcnt vmcnt(0)
	v_cvt_f32_f16_e32 v2, v2
	v_cvt_f64_f32_e32 v[2:3], v2
.LBB70_1765:
	s_mov_b64 s[0:1], 0
.LBB70_1766:
	s_andn2_b64 vcc, exec, s[0:1]
	s_cbranch_vccnz .LBB70_1777
; %bb.1767:
	s_waitcnt vmcnt(0)
	v_mov_b32_e32 v2, 6
	v_cmp_lt_i16_sdwa s[0:1], v20, v2 src0_sel:BYTE_0 src1_sel:DWORD
	s_and_b64 vcc, exec, s[0:1]
	s_cbranch_vccnz .LBB70_1770
; %bb.1768:
	v_cmp_gt_i16_sdwa s[0:1], v20, v2 src0_sel:BYTE_0 src1_sel:DWORD
	s_and_b64 vcc, exec, s[0:1]
	s_cbranch_vccz .LBB70_1771
; %bb.1769:
	global_load_dwordx2 v[2:3], v[4:5], off
	s_mov_b64 s[0:1], 0
	s_branch .LBB70_1772
.LBB70_1770:
	s_mov_b64 s[0:1], -1
                                        ; implicit-def: $vgpr2_vgpr3
	s_branch .LBB70_1775
.LBB70_1771:
	s_mov_b64 s[0:1], -1
                                        ; implicit-def: $vgpr2_vgpr3
.LBB70_1772:
	s_andn2_b64 vcc, exec, s[0:1]
	s_cbranch_vccnz .LBB70_1774
; %bb.1773:
	global_load_dword v2, v[4:5], off
	s_waitcnt vmcnt(0)
	v_cvt_f64_f32_e32 v[2:3], v2
.LBB70_1774:
	s_mov_b64 s[0:1], 0
.LBB70_1775:
	s_andn2_b64 vcc, exec, s[0:1]
	s_cbranch_vccnz .LBB70_1777
; %bb.1776:
	global_load_ushort v2, v[4:5], off
	s_waitcnt vmcnt(0)
	v_cvt_f32_f16_e32 v2, v2
	v_cvt_f64_f32_e32 v[2:3], v2
.LBB70_1777:
	s_cbranch_execnz .LBB70_1797
.LBB70_1778:
	s_waitcnt vmcnt(0)
	v_mov_b32_e32 v2, 2
	v_cmp_lt_i16_sdwa s[0:1], v20, v2 src0_sel:BYTE_0 src1_sel:DWORD
	s_and_b64 vcc, exec, s[0:1]
	s_cbranch_vccnz .LBB70_1782
; %bb.1779:
	v_mov_b32_e32 v2, 3
	v_cmp_lt_i16_sdwa s[0:1], v20, v2 src0_sel:BYTE_0 src1_sel:DWORD
	s_and_b64 vcc, exec, s[0:1]
	s_cbranch_vccnz .LBB70_1783
; %bb.1780:
	v_cmp_gt_i16_sdwa s[0:1], v20, v2 src0_sel:BYTE_0 src1_sel:DWORD
	s_and_b64 vcc, exec, s[0:1]
	s_cbranch_vccz .LBB70_1784
; %bb.1781:
	global_load_dwordx2 v[2:3], v[4:5], off
	s_mov_b64 s[0:1], 0
	s_waitcnt vmcnt(0)
	v_cvt_f64_i32_e32 v[10:11], v3
	v_cvt_f64_u32_e32 v[2:3], v2
	v_ldexp_f64 v[10:11], v[10:11], 32
	v_add_f64 v[2:3], v[10:11], v[2:3]
	s_branch .LBB70_1785
.LBB70_1782:
	s_mov_b64 s[0:1], -1
                                        ; implicit-def: $vgpr2_vgpr3
	s_branch .LBB70_1791
.LBB70_1783:
	s_mov_b64 s[0:1], -1
                                        ; implicit-def: $vgpr2_vgpr3
	s_branch .LBB70_1788
.LBB70_1784:
	s_mov_b64 s[0:1], -1
                                        ; implicit-def: $vgpr2_vgpr3
.LBB70_1785:
	s_andn2_b64 vcc, exec, s[0:1]
	s_cbranch_vccnz .LBB70_1787
; %bb.1786:
	global_load_dword v2, v[4:5], off
	s_waitcnt vmcnt(0)
	v_cvt_f64_i32_e32 v[2:3], v2
.LBB70_1787:
	s_mov_b64 s[0:1], 0
.LBB70_1788:
	s_andn2_b64 vcc, exec, s[0:1]
	s_cbranch_vccnz .LBB70_1790
; %bb.1789:
	global_load_sshort v2, v[4:5], off
	s_waitcnt vmcnt(0)
	v_cvt_f64_i32_e32 v[2:3], v2
.LBB70_1790:
	s_mov_b64 s[0:1], 0
.LBB70_1791:
	s_andn2_b64 vcc, exec, s[0:1]
	s_cbranch_vccnz .LBB70_1797
; %bb.1792:
	v_mov_b32_e32 v2, 0
	v_cmp_gt_i16_sdwa s[0:1], v20, v2 src0_sel:BYTE_0 src1_sel:DWORD
	s_and_b64 vcc, exec, s[0:1]
	s_cbranch_vccz .LBB70_1794
; %bb.1793:
	global_load_sbyte v2, v[4:5], off
	s_mov_b64 s[0:1], 0
	s_waitcnt vmcnt(0)
	v_cvt_f64_i32_e32 v[2:3], v2
	s_branch .LBB70_1795
.LBB70_1794:
	s_mov_b64 s[0:1], -1
                                        ; implicit-def: $vgpr2_vgpr3
.LBB70_1795:
	s_andn2_b64 vcc, exec, s[0:1]
	s_cbranch_vccnz .LBB70_1797
; %bb.1796:
	global_load_ubyte v2, v[4:5], off
	s_waitcnt vmcnt(0)
	v_cvt_f64_u32_e32 v[2:3], v2
.LBB70_1797:
.LBB70_1798:
	s_lshl_b32 s13, s13, 7
	s_waitcnt vmcnt(0)
	v_add_u32_e32 v2, s13, v6
	v_ashrrev_i32_e32 v4, 31, v2
	v_mov_b32_e32 v5, s11
	v_add_co_u32_e32 v6, vcc, s10, v2
	v_addc_co_u32_e32 v7, vcc, v5, v4, vcc
	v_mov_b32_e32 v4, 11
	v_cmp_lt_i16_sdwa s[0:1], v16, v4 src0_sel:BYTE_0 src1_sel:DWORD
	s_and_b64 vcc, exec, s[0:1]
	s_cbranch_vccnz .LBB70_1805
; %bb.1799:
	v_mov_b32_e32 v4, 25
	v_cmp_gt_i16_sdwa s[0:1], v16, v4 src0_sel:BYTE_0 src1_sel:DWORD
	s_mov_b64 s[16:17], 0
	s_and_b64 vcc, exec, s[0:1]
	s_cbranch_vccz .LBB70_1807
; %bb.1800:
	v_mov_b32_e32 v4, 28
	v_cmp_gt_i16_sdwa s[0:1], v16, v4 src0_sel:BYTE_0 src1_sel:DWORD
	s_and_b64 vcc, exec, s[0:1]
	s_cbranch_vccz .LBB70_1808
; %bb.1801:
	v_mov_b32_e32 v4, 43
	v_cmp_gt_i16_sdwa s[0:1], v16, v4 src0_sel:BYTE_0 src1_sel:DWORD
	;; [unrolled: 5-line block ×3, first 2 shown]
	s_and_b64 vcc, exec, s[0:1]
	s_cbranch_vccz .LBB70_1811
; %bb.1803:
	v_mov_b32_e32 v4, 46
	v_cmp_eq_u16_sdwa s[0:1], v16, v4 src0_sel:BYTE_0 src1_sel:DWORD
	s_mov_b64 s[22:23], 0
	s_and_b64 vcc, exec, s[0:1]
	s_cbranch_vccz .LBB70_1812
; %bb.1804:
	global_load_dword v4, v[6:7], off
	s_mov_b64 s[0:1], 0
	s_mov_b64 s[20:21], -1
	s_waitcnt vmcnt(0)
	v_lshlrev_b32_e32 v4, 16, v4
	v_cvt_f64_f32_e32 v[4:5], v4
	s_branch .LBB70_1813
.LBB70_1805:
	s_mov_b64 s[20:21], 0
                                        ; implicit-def: $vgpr4_vgpr5
	s_cbranch_execnz .LBB70_1879
.LBB70_1806:
	s_andn2_b64 vcc, exec, s[20:21]
	s_cbranch_vccnz .LBB70_3032
	s_branch .LBB70_1927
.LBB70_1807:
	s_mov_b64 s[22:23], -1
	s_mov_b64 s[20:21], 0
	s_mov_b64 s[0:1], 0
                                        ; implicit-def: $vgpr4_vgpr5
	s_branch .LBB70_1842
.LBB70_1808:
	s_mov_b64 s[22:23], -1
	s_mov_b64 s[20:21], 0
	s_mov_b64 s[0:1], 0
                                        ; implicit-def: $vgpr4_vgpr5
	s_branch .LBB70_1823
.LBB70_1809:
	s_mov_b64 s[22:23], -1
	s_mov_b64 s[20:21], 0
	s_mov_b64 s[0:1], 0
                                        ; implicit-def: $vgpr4_vgpr5
	s_branch .LBB70_1818
.LBB70_1810:
	s_trap 2
	s_or_b64 s[18:19], s[18:19], exec
                                        ; implicit-def: $vgpr2_vgpr3
	s_cbranch_execz .LBB70_1749
	s_branch .LBB70_1750
.LBB70_1811:
	s_mov_b64 s[22:23], -1
	s_mov_b64 s[20:21], 0
	s_mov_b64 s[0:1], 0
                                        ; implicit-def: $vgpr4_vgpr5
	s_branch .LBB70_1813
.LBB70_1812:
	s_mov_b64 s[0:1], -1
                                        ; implicit-def: $vgpr4_vgpr5
	s_mov_b64 s[20:21], 0
.LBB70_1813:
	s_and_b64 vcc, exec, s[22:23]
	s_cbranch_vccz .LBB70_1817
; %bb.1814:
	v_mov_b32_e32 v4, 44
	v_cmp_eq_u16_sdwa s[0:1], v16, v4 src0_sel:BYTE_0 src1_sel:DWORD
	s_and_b64 vcc, exec, s[0:1]
	s_cbranch_vccz .LBB70_1816
; %bb.1815:
	global_load_ubyte v9, v[6:7], off
	s_movk_i32 s15, 0xff
	v_bfrev_b32_e32 v10, 4
	v_mov_b32_e32 v11, 0x7ff80000
	v_bfrev_b32_e32 v12, 28
	s_mov_b64 s[0:1], 0
	s_mov_b64 s[20:21], -1
	s_waitcnt vmcnt(0)
	v_lshlrev_b32_e32 v4, 23, v9
	v_cvt_f64_f32_e32 v[4:5], v4
	v_cmp_ne_u32_e32 vcc, s15, v9
	v_cndmask_b32_e32 v4, v10, v4, vcc
	v_cndmask_b32_e32 v5, v11, v5, vcc
	v_cmp_ne_u32_e32 vcc, 0, v9
	v_cndmask_b32_e32 v5, v12, v5, vcc
	v_cndmask_b32_e32 v4, 0, v4, vcc
	s_branch .LBB70_1817
.LBB70_1816:
	s_mov_b64 s[0:1], -1
                                        ; implicit-def: $vgpr4_vgpr5
.LBB70_1817:
	s_mov_b64 s[22:23], 0
.LBB70_1818:
	s_and_b64 vcc, exec, s[22:23]
	s_cbranch_vccz .LBB70_1822
; %bb.1819:
	v_mov_b32_e32 v4, 29
	v_cmp_eq_u16_sdwa s[0:1], v16, v4 src0_sel:BYTE_0 src1_sel:DWORD
	s_and_b64 vcc, exec, s[0:1]
	s_cbranch_vccz .LBB70_1821
; %bb.1820:
	global_load_dwordx2 v[4:5], v[6:7], off
	s_mov_b64 s[0:1], 0
	s_mov_b64 s[20:21], -1
	s_mov_b64 s[22:23], 0
	s_waitcnt vmcnt(0)
	v_cvt_f64_u32_e32 v[10:11], v5
	v_cvt_f64_u32_e32 v[4:5], v4
	v_ldexp_f64 v[10:11], v[10:11], 32
	v_add_f64 v[4:5], v[10:11], v[4:5]
	s_branch .LBB70_1823
.LBB70_1821:
	s_mov_b64 s[0:1], -1
                                        ; implicit-def: $vgpr4_vgpr5
.LBB70_1822:
	s_mov_b64 s[22:23], 0
.LBB70_1823:
	s_and_b64 vcc, exec, s[22:23]
	s_cbranch_vccz .LBB70_1841
; %bb.1824:
	v_mov_b32_e32 v4, 27
	v_cmp_lt_i16_sdwa s[20:21], v16, v4 src0_sel:BYTE_0 src1_sel:DWORD
	s_and_b64 vcc, exec, s[20:21]
	s_cbranch_vccnz .LBB70_1827
; %bb.1825:
	v_cmp_gt_i16_sdwa s[20:21], v16, v4 src0_sel:BYTE_0 src1_sel:DWORD
	s_and_b64 vcc, exec, s[20:21]
	s_cbranch_vccz .LBB70_1828
; %bb.1826:
	global_load_dword v4, v[6:7], off
	s_mov_b64 s[20:21], 0
	s_waitcnt vmcnt(0)
	v_cvt_f64_u32_e32 v[4:5], v4
	s_branch .LBB70_1829
.LBB70_1827:
	s_mov_b64 s[20:21], -1
                                        ; implicit-def: $vgpr4_vgpr5
	s_branch .LBB70_1832
.LBB70_1828:
	s_mov_b64 s[20:21], -1
                                        ; implicit-def: $vgpr4_vgpr5
.LBB70_1829:
	s_andn2_b64 vcc, exec, s[20:21]
	s_cbranch_vccnz .LBB70_1831
; %bb.1830:
	global_load_ushort v4, v[6:7], off
	s_waitcnt vmcnt(0)
	v_cvt_f64_u32_e32 v[4:5], v4
.LBB70_1831:
	s_mov_b64 s[20:21], 0
.LBB70_1832:
	s_andn2_b64 vcc, exec, s[20:21]
	s_cbranch_vccnz .LBB70_1840
; %bb.1833:
	global_load_ubyte v9, v[6:7], off
	s_movk_i32 s15, 0x7f
	s_mov_b64 s[20:21], 0
                                        ; implicit-def: $sgpr22_sgpr23
	s_waitcnt vmcnt(0)
	v_cmp_lt_i16_e32 vcc, s15, v9
	s_and_saveexec_b64 s[24:25], vcc
	s_xor_b64 s[24:25], exec, s[24:25]
	s_cbranch_execz .LBB70_1854
; %bb.1834:
	s_movk_i32 s15, 0x80
	v_cmp_eq_u16_e32 vcc, s15, v9
	s_mov_b64 s[26:27], -1
                                        ; implicit-def: $sgpr22_sgpr23
	s_and_saveexec_b64 s[20:21], vcc
; %bb.1835:
	s_mov_b32 s23, 0x7ff80000
	s_brev_b32 s22, 4
	s_xor_b64 s[26:27], exec, -1
; %bb.1836:
	s_or_b64 exec, exec, s[20:21]
	s_and_b64 s[20:21], s[26:27], exec
	s_or_saveexec_b64 s[24:25], s[24:25]
	v_pk_mov_b32 v[4:5], s[22:23], s[22:23] op_sel:[0,1]
	s_xor_b64 exec, exec, s[24:25]
	s_cbranch_execnz .LBB70_1855
.LBB70_1837:
	s_or_b64 exec, exec, s[24:25]
	s_and_saveexec_b64 s[22:23], s[20:21]
	s_cbranch_execz .LBB70_1839
.LBB70_1838:
	v_and_b32_e32 v5, 0xffff, v9
	v_lshlrev_b32_e32 v4, 24, v9
	v_and_b32_e32 v9, 7, v5
	v_ffbh_u32_e32 v11, v9
	v_min_u32_e32 v11, 32, v11
	v_subrev_u32_e32 v12, 28, v11
	v_bfe_u32 v10, v5, 3, 4
	v_lshlrev_b32_e32 v5, v12, v5
	v_sub_u32_e32 v11, 29, v11
	v_and_b32_e32 v5, 7, v5
	v_cmp_eq_u32_e32 vcc, 0, v10
	v_cndmask_b32_e32 v10, v10, v11, vcc
	v_cndmask_b32_e32 v5, v9, v5, vcc
	v_mov_b32_e32 v9, 0x3b800000
	v_lshlrev_b32_e32 v5, 20, v5
	v_and_b32_e32 v4, 0x80000000, v4
	v_lshl_add_u32 v9, v10, 23, v9
	v_or3_b32 v4, v4, v9, v5
	v_cvt_f64_f32_e32 v[4:5], v4
.LBB70_1839:
	s_or_b64 exec, exec, s[22:23]
.LBB70_1840:
	s_mov_b64 s[20:21], -1
.LBB70_1841:
	s_mov_b64 s[22:23], 0
.LBB70_1842:
	s_and_b64 vcc, exec, s[22:23]
	s_cbranch_vccz .LBB70_1875
; %bb.1843:
	v_mov_b32_e32 v4, 22
	v_cmp_gt_i16_sdwa s[16:17], v16, v4 src0_sel:BYTE_0 src1_sel:DWORD
	s_and_b64 vcc, exec, s[16:17]
	s_cbranch_vccz .LBB70_1853
; %bb.1844:
	v_mov_b32_e32 v4, 24
	v_cmp_lt_i16_sdwa s[16:17], v16, v4 src0_sel:BYTE_0 src1_sel:DWORD
	s_and_b64 vcc, exec, s[16:17]
	s_cbranch_vccnz .LBB70_1856
; %bb.1845:
	v_cmp_gt_i16_sdwa s[16:17], v16, v4 src0_sel:BYTE_0 src1_sel:DWORD
	s_and_b64 vcc, exec, s[16:17]
	s_cbranch_vccz .LBB70_1857
; %bb.1846:
	global_load_ubyte v9, v[6:7], off
	s_movk_i32 s15, 0x7f
	s_mov_b64 s[16:17], 0
                                        ; implicit-def: $sgpr20_sgpr21
	s_waitcnt vmcnt(0)
	v_cmp_lt_i16_e32 vcc, s15, v9
	s_and_saveexec_b64 s[22:23], vcc
	s_xor_b64 s[22:23], exec, s[22:23]
	s_cbranch_execz .LBB70_1869
; %bb.1847:
	s_movk_i32 s15, 0x80
	v_cmp_eq_u16_e32 vcc, s15, v9
	s_mov_b64 s[24:25], -1
                                        ; implicit-def: $sgpr20_sgpr21
	s_and_saveexec_b64 s[16:17], vcc
; %bb.1848:
	s_mov_b32 s21, 0x7ff80000
	s_brev_b32 s20, 4
	s_xor_b64 s[24:25], exec, -1
; %bb.1849:
	s_or_b64 exec, exec, s[16:17]
	s_and_b64 s[16:17], s[24:25], exec
	s_or_saveexec_b64 s[22:23], s[22:23]
	v_pk_mov_b32 v[4:5], s[20:21], s[20:21] op_sel:[0,1]
	s_xor_b64 exec, exec, s[22:23]
	s_cbranch_execnz .LBB70_1870
.LBB70_1850:
	s_or_b64 exec, exec, s[22:23]
	s_and_saveexec_b64 s[20:21], s[16:17]
	s_cbranch_execz .LBB70_1852
.LBB70_1851:
	v_and_b32_e32 v5, 0xffff, v9
	v_lshlrev_b32_e32 v4, 24, v9
	v_and_b32_e32 v9, 3, v5
	v_ffbh_u32_e32 v11, v9
	v_min_u32_e32 v11, 32, v11
	v_subrev_u32_e32 v12, 29, v11
	v_bfe_u32 v10, v5, 2, 5
	v_lshlrev_b32_e32 v5, v12, v5
	v_sub_u32_e32 v11, 30, v11
	v_and_b32_e32 v5, 3, v5
	v_cmp_eq_u32_e32 vcc, 0, v10
	v_cndmask_b32_e32 v10, v10, v11, vcc
	v_cndmask_b32_e32 v5, v9, v5, vcc
	v_mov_b32_e32 v9, 0x37800000
	v_lshlrev_b32_e32 v5, 21, v5
	v_and_b32_e32 v4, 0x80000000, v4
	v_lshl_add_u32 v9, v10, 23, v9
	v_or3_b32 v4, v4, v9, v5
	v_cvt_f64_f32_e32 v[4:5], v4
.LBB70_1852:
	s_or_b64 exec, exec, s[20:21]
	s_mov_b64 s[16:17], 0
	s_branch .LBB70_1858
.LBB70_1853:
	s_mov_b64 s[16:17], -1
                                        ; implicit-def: $vgpr4_vgpr5
	s_branch .LBB70_1864
.LBB70_1854:
	s_or_saveexec_b64 s[24:25], s[24:25]
	v_pk_mov_b32 v[4:5], s[22:23], s[22:23] op_sel:[0,1]
	s_xor_b64 exec, exec, s[24:25]
	s_cbranch_execz .LBB70_1837
.LBB70_1855:
	v_cmp_ne_u16_e32 vcc, 0, v9
	s_andn2_b64 s[20:21], s[20:21], exec
	s_and_b64 s[22:23], vcc, exec
	v_pk_mov_b32 v[4:5], 0, 0
	s_or_b64 s[20:21], s[20:21], s[22:23]
	s_or_b64 exec, exec, s[24:25]
	s_and_saveexec_b64 s[22:23], s[20:21]
	s_cbranch_execnz .LBB70_1838
	s_branch .LBB70_1839
.LBB70_1856:
	s_mov_b64 s[16:17], -1
                                        ; implicit-def: $vgpr4_vgpr5
	s_branch .LBB70_1861
.LBB70_1857:
	s_mov_b64 s[16:17], -1
                                        ; implicit-def: $vgpr4_vgpr5
.LBB70_1858:
	s_and_b64 vcc, exec, s[16:17]
	s_cbranch_vccz .LBB70_1860
; %bb.1859:
	global_load_ubyte v4, v[6:7], off
	s_mov_b32 s15, 0x7f800000
	s_waitcnt vmcnt(0)
	v_lshlrev_b32_e32 v4, 24, v4
	v_and_b32_e32 v5, 0x7f000000, v4
	v_ffbh_u32_e32 v9, v5
	v_min_u32_e32 v9, 32, v9
	v_sub_u32_e64 v9, v9, 4 clamp
	v_lshlrev_b32_e32 v11, v9, v5
	v_lshlrev_b32_e32 v9, 23, v9
	v_lshrrev_b32_e32 v11, 4, v11
	v_add_u32_e32 v10, 0x1000000, v5
	v_sub_u32_e32 v9, v11, v9
	v_ashrrev_i32_e32 v10, 8, v10
	v_add_u32_e32 v9, 0x3c000000, v9
	v_and_or_b32 v9, v10, s15, v9
	v_cmp_ne_u32_e32 vcc, 0, v5
	v_cndmask_b32_e32 v5, 0, v9, vcc
	s_brev_b32 s15, 1
	v_and_or_b32 v4, v4, s15, v5
	v_cvt_f64_f32_e32 v[4:5], v4
.LBB70_1860:
	s_mov_b64 s[16:17], 0
.LBB70_1861:
	s_andn2_b64 vcc, exec, s[16:17]
	s_cbranch_vccnz .LBB70_1863
; %bb.1862:
	global_load_ubyte v4, v[6:7], off
	s_movk_i32 s15, 0x7f00
	s_brev_b32 s16, 16
	s_waitcnt vmcnt(0)
	v_lshlrev_b16_e32 v5, 8, v4
	v_lshlrev_b32_e32 v4, 25, v4
	v_lshrrev_b32_e32 v9, 4, v4
	v_and_or_b32 v10, v5, s15, 0.5
	v_or_b32_e32 v9, 0x70000000, v9
	v_add_f32_e32 v10, -0.5, v10
	v_mul_f32_e32 v9, 0x7800000, v9
	v_cmp_gt_u32_e32 vcc, s16, v4
	v_bfe_i32 v5, v5, 0, 16
	v_cndmask_b32_e32 v4, v9, v10, vcc
	s_brev_b32 s15, 1
	v_and_or_b32 v4, v5, s15, v4
	v_cvt_f64_f32_e32 v[4:5], v4
.LBB70_1863:
	s_mov_b64 s[16:17], 0
	s_mov_b64 s[20:21], -1
.LBB70_1864:
	s_andn2_b64 vcc, exec, s[16:17]
	s_mov_b64 s[16:17], 0
	s_cbranch_vccnz .LBB70_1875
; %bb.1865:
	v_mov_b32_e32 v4, 14
	v_cmp_gt_i16_sdwa s[16:17], v16, v4 src0_sel:BYTE_0 src1_sel:DWORD
	s_and_b64 vcc, exec, s[16:17]
	s_cbranch_vccz .LBB70_1868
; %bb.1866:
	v_mov_b32_e32 v4, 15
	v_cmp_eq_u16_sdwa s[0:1], v16, v4 src0_sel:BYTE_0 src1_sel:DWORD
	s_and_b64 vcc, exec, s[0:1]
	s_cbranch_vccz .LBB70_1871
; %bb.1867:
	global_load_ushort v4, v[6:7], off
	s_mov_b64 s[0:1], 0
	s_mov_b64 s[20:21], -1
	s_waitcnt vmcnt(0)
	v_lshlrev_b32_e32 v4, 16, v4
	v_cvt_f64_f32_e32 v[4:5], v4
	s_branch .LBB70_1872
.LBB70_1868:
	s_mov_b64 s[22:23], -1
                                        ; implicit-def: $vgpr4_vgpr5
	s_branch .LBB70_1873
.LBB70_1869:
	s_or_saveexec_b64 s[22:23], s[22:23]
	v_pk_mov_b32 v[4:5], s[20:21], s[20:21] op_sel:[0,1]
	s_xor_b64 exec, exec, s[22:23]
	s_cbranch_execz .LBB70_1850
.LBB70_1870:
	v_cmp_ne_u16_e32 vcc, 0, v9
	s_andn2_b64 s[16:17], s[16:17], exec
	s_and_b64 s[20:21], vcc, exec
	v_pk_mov_b32 v[4:5], 0, 0
	s_or_b64 s[16:17], s[16:17], s[20:21]
	s_or_b64 exec, exec, s[22:23]
	s_and_saveexec_b64 s[20:21], s[16:17]
	s_cbranch_execnz .LBB70_1851
	s_branch .LBB70_1852
.LBB70_1871:
	s_mov_b64 s[0:1], -1
                                        ; implicit-def: $vgpr4_vgpr5
.LBB70_1872:
	s_mov_b64 s[22:23], 0
.LBB70_1873:
	s_mov_b64 s[16:17], 0
	s_and_b64 vcc, exec, s[22:23]
	s_cbranch_vccz .LBB70_1875
; %bb.1874:
	v_mov_b32_e32 v4, 11
	v_cmp_ne_u16_sdwa s[0:1], v16, v4 src0_sel:BYTE_0 src1_sel:DWORD
	s_mov_b64 s[16:17], -1
                                        ; implicit-def: $vgpr4_vgpr5
.LBB70_1875:
	s_and_b64 vcc, exec, s[0:1]
	s_cbranch_vccnz .LBB70_1938
; %bb.1876:
	s_andn2_b64 vcc, exec, s[16:17]
	s_cbranch_vccnz .LBB70_1878
.LBB70_1877:
	global_load_ubyte v5, v[6:7], off
	v_mov_b32_e32 v9, 0x3ff00000
	v_mov_b32_e32 v4, 0
	s_mov_b64 s[20:21], -1
	s_waitcnt vmcnt(0)
	v_cmp_ne_u16_e32 vcc, 0, v5
	v_cndmask_b32_e32 v5, 0, v9, vcc
.LBB70_1878:
	s_branch .LBB70_1806
.LBB70_1879:
	v_mov_b32_e32 v4, 5
	v_cmp_lt_i16_sdwa s[0:1], v16, v4 src0_sel:BYTE_0 src1_sel:DWORD
	s_and_b64 vcc, exec, s[0:1]
	s_cbranch_vccnz .LBB70_1884
; %bb.1880:
	v_mov_b32_e32 v4, 8
	v_cmp_lt_i16_sdwa s[0:1], v16, v4 src0_sel:BYTE_0 src1_sel:DWORD
	s_and_b64 vcc, exec, s[0:1]
	s_cbranch_vccnz .LBB70_1885
; %bb.1881:
	;; [unrolled: 5-line block ×3, first 2 shown]
	v_cmp_gt_i16_sdwa s[0:1], v16, v4 src0_sel:BYTE_0 src1_sel:DWORD
	s_and_b64 vcc, exec, s[0:1]
	s_cbranch_vccz .LBB70_1887
; %bb.1883:
	global_load_dwordx2 v[4:5], v[6:7], off
	s_mov_b64 s[0:1], 0
	s_branch .LBB70_1888
.LBB70_1884:
	s_mov_b64 s[0:1], -1
                                        ; implicit-def: $vgpr4_vgpr5
	s_branch .LBB70_1906
.LBB70_1885:
	s_mov_b64 s[0:1], -1
                                        ; implicit-def: $vgpr4_vgpr5
	s_branch .LBB70_1894
.LBB70_1886:
	s_mov_b64 s[0:1], -1
                                        ; implicit-def: $vgpr4_vgpr5
	s_branch .LBB70_1891
.LBB70_1887:
	s_mov_b64 s[0:1], -1
                                        ; implicit-def: $vgpr4_vgpr5
.LBB70_1888:
	s_andn2_b64 vcc, exec, s[0:1]
	s_cbranch_vccnz .LBB70_1890
; %bb.1889:
	global_load_dword v4, v[6:7], off
	s_waitcnt vmcnt(0)
	v_cvt_f64_f32_e32 v[4:5], v4
.LBB70_1890:
	s_mov_b64 s[0:1], 0
.LBB70_1891:
	s_andn2_b64 vcc, exec, s[0:1]
	s_cbranch_vccnz .LBB70_1893
; %bb.1892:
	global_load_dword v4, v[6:7], off
	s_waitcnt vmcnt(0)
	v_cvt_f32_f16_e32 v4, v4
	v_cvt_f64_f32_e32 v[4:5], v4
.LBB70_1893:
	s_mov_b64 s[0:1], 0
.LBB70_1894:
	s_andn2_b64 vcc, exec, s[0:1]
	s_cbranch_vccnz .LBB70_1905
; %bb.1895:
	s_waitcnt vmcnt(0)
	v_mov_b32_e32 v4, 6
	v_cmp_lt_i16_sdwa s[0:1], v16, v4 src0_sel:BYTE_0 src1_sel:DWORD
	s_and_b64 vcc, exec, s[0:1]
	s_cbranch_vccnz .LBB70_1898
; %bb.1896:
	v_cmp_gt_i16_sdwa s[0:1], v16, v4 src0_sel:BYTE_0 src1_sel:DWORD
	s_and_b64 vcc, exec, s[0:1]
	s_cbranch_vccz .LBB70_1899
; %bb.1897:
	global_load_dwordx2 v[4:5], v[6:7], off
	s_mov_b64 s[0:1], 0
	s_branch .LBB70_1900
.LBB70_1898:
	s_mov_b64 s[0:1], -1
                                        ; implicit-def: $vgpr4_vgpr5
	s_branch .LBB70_1903
.LBB70_1899:
	s_mov_b64 s[0:1], -1
                                        ; implicit-def: $vgpr4_vgpr5
.LBB70_1900:
	s_andn2_b64 vcc, exec, s[0:1]
	s_cbranch_vccnz .LBB70_1902
; %bb.1901:
	global_load_dword v4, v[6:7], off
	s_waitcnt vmcnt(0)
	v_cvt_f64_f32_e32 v[4:5], v4
.LBB70_1902:
	s_mov_b64 s[0:1], 0
.LBB70_1903:
	s_andn2_b64 vcc, exec, s[0:1]
	s_cbranch_vccnz .LBB70_1905
; %bb.1904:
	global_load_ushort v4, v[6:7], off
	s_waitcnt vmcnt(0)
	v_cvt_f32_f16_e32 v4, v4
	v_cvt_f64_f32_e32 v[4:5], v4
.LBB70_1905:
	s_mov_b64 s[0:1], 0
.LBB70_1906:
	s_andn2_b64 vcc, exec, s[0:1]
	s_cbranch_vccnz .LBB70_1926
; %bb.1907:
	s_waitcnt vmcnt(0)
	v_mov_b32_e32 v4, 2
	v_cmp_lt_i16_sdwa s[0:1], v16, v4 src0_sel:BYTE_0 src1_sel:DWORD
	s_and_b64 vcc, exec, s[0:1]
	s_cbranch_vccnz .LBB70_1911
; %bb.1908:
	v_mov_b32_e32 v4, 3
	v_cmp_lt_i16_sdwa s[0:1], v16, v4 src0_sel:BYTE_0 src1_sel:DWORD
	s_and_b64 vcc, exec, s[0:1]
	s_cbranch_vccnz .LBB70_1912
; %bb.1909:
	v_cmp_gt_i16_sdwa s[0:1], v16, v4 src0_sel:BYTE_0 src1_sel:DWORD
	s_and_b64 vcc, exec, s[0:1]
	s_cbranch_vccz .LBB70_1913
; %bb.1910:
	global_load_dwordx2 v[4:5], v[6:7], off
	s_mov_b64 s[0:1], 0
	s_waitcnt vmcnt(0)
	v_cvt_f64_i32_e32 v[10:11], v5
	v_cvt_f64_u32_e32 v[4:5], v4
	v_ldexp_f64 v[10:11], v[10:11], 32
	v_add_f64 v[4:5], v[10:11], v[4:5]
	s_branch .LBB70_1914
.LBB70_1911:
	s_mov_b64 s[0:1], -1
                                        ; implicit-def: $vgpr4_vgpr5
	s_branch .LBB70_1920
.LBB70_1912:
	s_mov_b64 s[0:1], -1
                                        ; implicit-def: $vgpr4_vgpr5
	s_branch .LBB70_1917
.LBB70_1913:
	s_mov_b64 s[0:1], -1
                                        ; implicit-def: $vgpr4_vgpr5
.LBB70_1914:
	s_andn2_b64 vcc, exec, s[0:1]
	s_cbranch_vccnz .LBB70_1916
; %bb.1915:
	global_load_dword v4, v[6:7], off
	s_waitcnt vmcnt(0)
	v_cvt_f64_i32_e32 v[4:5], v4
.LBB70_1916:
	s_mov_b64 s[0:1], 0
.LBB70_1917:
	s_andn2_b64 vcc, exec, s[0:1]
	s_cbranch_vccnz .LBB70_1919
; %bb.1918:
	global_load_sshort v4, v[6:7], off
	s_waitcnt vmcnt(0)
	v_cvt_f64_i32_e32 v[4:5], v4
.LBB70_1919:
	s_mov_b64 s[0:1], 0
.LBB70_1920:
	s_andn2_b64 vcc, exec, s[0:1]
	s_cbranch_vccnz .LBB70_1926
; %bb.1921:
	v_mov_b32_e32 v4, 0
	v_cmp_gt_i16_sdwa s[0:1], v16, v4 src0_sel:BYTE_0 src1_sel:DWORD
	s_and_b64 vcc, exec, s[0:1]
	s_cbranch_vccz .LBB70_1923
; %bb.1922:
	global_load_sbyte v4, v[6:7], off
	s_mov_b64 s[0:1], 0
	s_waitcnt vmcnt(0)
	v_cvt_f64_i32_e32 v[4:5], v4
	s_branch .LBB70_1924
.LBB70_1923:
	s_mov_b64 s[0:1], -1
                                        ; implicit-def: $vgpr4_vgpr5
.LBB70_1924:
	s_andn2_b64 vcc, exec, s[0:1]
	s_cbranch_vccnz .LBB70_1926
; %bb.1925:
	global_load_ubyte v4, v[6:7], off
	s_waitcnt vmcnt(0)
	v_cvt_f64_u32_e32 v[4:5], v4
.LBB70_1926:
.LBB70_1927:
	s_lshl_b32 s26, s14, 7
	v_add_u32_e32 v12, s26, v8
	v_ashrrev_i32_e32 v6, 31, v12
	v_mov_b32_e32 v7, s3
	v_add_co_u32_e32 v8, vcc, s2, v12
	v_addc_co_u32_e32 v9, vcc, v7, v6, vcc
	v_mov_b32_e32 v6, 11
	v_cmp_lt_i16_sdwa s[0:1], v20, v6 src0_sel:BYTE_0 src1_sel:DWORD
	s_and_b64 vcc, exec, s[0:1]
	s_cbranch_vccnz .LBB70_1934
; %bb.1928:
	v_mov_b32_e32 v6, 25
	v_cmp_gt_i16_sdwa s[0:1], v20, v6 src0_sel:BYTE_0 src1_sel:DWORD
	s_mov_b64 s[14:15], 0
	s_and_b64 vcc, exec, s[0:1]
	s_cbranch_vccz .LBB70_1935
; %bb.1929:
	v_mov_b32_e32 v6, 28
	v_cmp_gt_i16_sdwa s[0:1], v20, v6 src0_sel:BYTE_0 src1_sel:DWORD
	s_and_b64 vcc, exec, s[0:1]
	s_cbranch_vccz .LBB70_1936
; %bb.1930:
	v_mov_b32_e32 v6, 43
	v_cmp_gt_i16_sdwa s[0:1], v20, v6 src0_sel:BYTE_0 src1_sel:DWORD
	;; [unrolled: 5-line block ×3, first 2 shown]
	s_and_b64 vcc, exec, s[0:1]
	s_cbranch_vccz .LBB70_1939
; %bb.1932:
	v_mov_b32_e32 v6, 46
	v_cmp_eq_u16_sdwa s[0:1], v20, v6 src0_sel:BYTE_0 src1_sel:DWORD
	s_mov_b64 s[20:21], 0
	s_and_b64 vcc, exec, s[0:1]
	s_cbranch_vccz .LBB70_1940
; %bb.1933:
	global_load_dword v6, v[8:9], off
	s_mov_b64 s[0:1], 0
	s_mov_b64 s[16:17], -1
	s_waitcnt vmcnt(0)
	v_lshlrev_b32_e32 v6, 16, v6
	v_cvt_f64_f32_e32 v[6:7], v6
	s_branch .LBB70_1941
.LBB70_1934:
	s_mov_b64 s[0:1], -1
	s_mov_b64 s[16:17], 0
                                        ; implicit-def: $vgpr6_vgpr7
	s_branch .LBB70_2007
.LBB70_1935:
	s_mov_b64 s[20:21], -1
	s_mov_b64 s[16:17], 0
	s_mov_b64 s[0:1], 0
                                        ; implicit-def: $vgpr6_vgpr7
	s_branch .LBB70_1970
.LBB70_1936:
	s_mov_b64 s[20:21], -1
	s_mov_b64 s[16:17], 0
	s_mov_b64 s[0:1], 0
                                        ; implicit-def: $vgpr6_vgpr7
	s_branch .LBB70_1951
.LBB70_1937:
	s_mov_b64 s[20:21], -1
	s_mov_b64 s[16:17], 0
	s_mov_b64 s[0:1], 0
                                        ; implicit-def: $vgpr6_vgpr7
	s_branch .LBB70_1946
.LBB70_1938:
	s_trap 2
	s_or_b64 s[18:19], s[18:19], exec
                                        ; implicit-def: $vgpr4_vgpr5
	s_cbranch_execz .LBB70_1877
	s_branch .LBB70_1878
.LBB70_1939:
	s_mov_b64 s[20:21], -1
	s_mov_b64 s[16:17], 0
	s_mov_b64 s[0:1], 0
                                        ; implicit-def: $vgpr6_vgpr7
	s_branch .LBB70_1941
.LBB70_1940:
	s_mov_b64 s[0:1], -1
                                        ; implicit-def: $vgpr6_vgpr7
	s_mov_b64 s[16:17], 0
.LBB70_1941:
	s_and_b64 vcc, exec, s[20:21]
	s_cbranch_vccz .LBB70_1945
; %bb.1942:
	v_mov_b32_e32 v6, 44
	v_cmp_eq_u16_sdwa s[0:1], v20, v6 src0_sel:BYTE_0 src1_sel:DWORD
	s_and_b64 vcc, exec, s[0:1]
	s_cbranch_vccz .LBB70_1944
; %bb.1943:
	global_load_ubyte v10, v[8:9], off
	s_movk_i32 s16, 0xff
	v_mov_b32_e32 v11, 0x7ff80000
	v_bfrev_b32_e32 v13, 28
	s_mov_b64 s[0:1], 0
	s_waitcnt vmcnt(0)
	v_lshlrev_b32_e32 v6, 23, v10
	v_cvt_f64_f32_e32 v[6:7], v6
	v_cmp_ne_u32_e32 vcc, s16, v10
	v_cndmask_b32_e32 v6, v11, v7, vcc
	v_cmp_ne_u32_e32 vcc, 0, v10
	v_cndmask_b32_e32 v7, v13, v6, vcc
	s_mov_b64 s[16:17], -1
	s_branch .LBB70_1945
.LBB70_1944:
	s_mov_b64 s[0:1], -1
                                        ; implicit-def: $vgpr6_vgpr7
.LBB70_1945:
	s_mov_b64 s[20:21], 0
.LBB70_1946:
	s_and_b64 vcc, exec, s[20:21]
	s_cbranch_vccz .LBB70_1950
; %bb.1947:
	v_mov_b32_e32 v6, 29
	v_cmp_eq_u16_sdwa s[0:1], v20, v6 src0_sel:BYTE_0 src1_sel:DWORD
	s_and_b64 vcc, exec, s[0:1]
	s_cbranch_vccz .LBB70_1949
; %bb.1948:
	global_load_dwordx2 v[6:7], v[8:9], off
	s_mov_b64 s[0:1], 0
	s_mov_b64 s[16:17], -1
	s_mov_b64 s[20:21], 0
	s_waitcnt vmcnt(0)
	v_cvt_f64_u32_e32 v[10:11], v7
	v_cvt_f64_u32_e32 v[6:7], v6
	v_ldexp_f64 v[10:11], v[10:11], 32
	v_add_f64 v[6:7], v[10:11], v[6:7]
	s_branch .LBB70_1951
.LBB70_1949:
	s_mov_b64 s[0:1], -1
                                        ; implicit-def: $vgpr6_vgpr7
.LBB70_1950:
	s_mov_b64 s[20:21], 0
.LBB70_1951:
	s_and_b64 vcc, exec, s[20:21]
	s_cbranch_vccz .LBB70_1969
; %bb.1952:
	v_mov_b32_e32 v6, 27
	v_cmp_lt_i16_sdwa s[16:17], v20, v6 src0_sel:BYTE_0 src1_sel:DWORD
	s_and_b64 vcc, exec, s[16:17]
	s_cbranch_vccnz .LBB70_1955
; %bb.1953:
	v_cmp_gt_i16_sdwa s[16:17], v20, v6 src0_sel:BYTE_0 src1_sel:DWORD
	s_and_b64 vcc, exec, s[16:17]
	s_cbranch_vccz .LBB70_1956
; %bb.1954:
	global_load_dword v6, v[8:9], off
	s_mov_b64 s[16:17], 0
	s_waitcnt vmcnt(0)
	v_cvt_f64_u32_e32 v[6:7], v6
	s_branch .LBB70_1957
.LBB70_1955:
	s_mov_b64 s[16:17], -1
                                        ; implicit-def: $vgpr6_vgpr7
	s_branch .LBB70_1960
.LBB70_1956:
	s_mov_b64 s[16:17], -1
                                        ; implicit-def: $vgpr6_vgpr7
.LBB70_1957:
	s_andn2_b64 vcc, exec, s[16:17]
	s_cbranch_vccnz .LBB70_1959
; %bb.1958:
	global_load_ushort v6, v[8:9], off
	s_waitcnt vmcnt(0)
	v_cvt_f64_u32_e32 v[6:7], v6
.LBB70_1959:
	s_mov_b64 s[16:17], 0
.LBB70_1960:
	s_andn2_b64 vcc, exec, s[16:17]
	s_cbranch_vccnz .LBB70_1968
; %bb.1961:
	global_load_ubyte v10, v[8:9], off
	s_movk_i32 s16, 0x7f
                                        ; implicit-def: $sgpr20_sgpr21
	s_waitcnt vmcnt(0)
	v_cmp_lt_i16_e32 vcc, s16, v10
	s_mov_b64 s[16:17], 0
	s_and_saveexec_b64 s[22:23], vcc
	s_xor_b64 s[22:23], exec, s[22:23]
	s_cbranch_execz .LBB70_1982
; %bb.1962:
	s_movk_i32 s16, 0x80
	v_cmp_eq_u16_e32 vcc, s16, v10
	s_mov_b64 s[24:25], -1
                                        ; implicit-def: $sgpr20_sgpr21
	s_and_saveexec_b64 s[16:17], vcc
; %bb.1963:
	s_mov_b32 s21, 0x7ff80000
	s_brev_b32 s20, 4
	s_xor_b64 s[24:25], exec, -1
; %bb.1964:
	s_or_b64 exec, exec, s[16:17]
	s_and_b64 s[16:17], s[24:25], exec
	s_or_saveexec_b64 s[22:23], s[22:23]
	v_pk_mov_b32 v[6:7], s[20:21], s[20:21] op_sel:[0,1]
	s_xor_b64 exec, exec, s[22:23]
	s_cbranch_execnz .LBB70_1983
.LBB70_1965:
	s_or_b64 exec, exec, s[22:23]
	s_and_saveexec_b64 s[20:21], s[16:17]
	s_cbranch_execz .LBB70_1967
.LBB70_1966:
	v_and_b32_e32 v7, 0xffff, v10
	v_lshlrev_b32_e32 v6, 24, v10
	v_and_b32_e32 v10, 7, v7
	v_ffbh_u32_e32 v13, v10
	v_min_u32_e32 v13, 32, v13
	v_subrev_u32_e32 v14, 28, v13
	v_bfe_u32 v11, v7, 3, 4
	v_lshlrev_b32_e32 v7, v14, v7
	v_sub_u32_e32 v13, 29, v13
	v_and_b32_e32 v7, 7, v7
	v_cmp_eq_u32_e32 vcc, 0, v11
	v_cndmask_b32_e32 v11, v11, v13, vcc
	v_cndmask_b32_e32 v7, v10, v7, vcc
	v_mov_b32_e32 v10, 0x3b800000
	v_lshlrev_b32_e32 v7, 20, v7
	v_and_b32_e32 v6, 0x80000000, v6
	v_lshl_add_u32 v10, v11, 23, v10
	v_or3_b32 v6, v6, v10, v7
	v_cvt_f64_f32_e32 v[6:7], v6
.LBB70_1967:
	s_or_b64 exec, exec, s[20:21]
.LBB70_1968:
	s_mov_b64 s[16:17], -1
.LBB70_1969:
	s_mov_b64 s[20:21], 0
.LBB70_1970:
	s_and_b64 vcc, exec, s[20:21]
	s_cbranch_vccz .LBB70_2003
; %bb.1971:
	v_mov_b32_e32 v6, 22
	v_cmp_gt_i16_sdwa s[14:15], v20, v6 src0_sel:BYTE_0 src1_sel:DWORD
	s_and_b64 vcc, exec, s[14:15]
	s_cbranch_vccz .LBB70_1981
; %bb.1972:
	v_mov_b32_e32 v6, 24
	v_cmp_lt_i16_sdwa s[14:15], v20, v6 src0_sel:BYTE_0 src1_sel:DWORD
	s_and_b64 vcc, exec, s[14:15]
	s_cbranch_vccnz .LBB70_1984
; %bb.1973:
	v_cmp_gt_i16_sdwa s[14:15], v20, v6 src0_sel:BYTE_0 src1_sel:DWORD
	s_and_b64 vcc, exec, s[14:15]
	s_cbranch_vccz .LBB70_1985
; %bb.1974:
	global_load_ubyte v10, v[8:9], off
	s_movk_i32 s14, 0x7f
                                        ; implicit-def: $sgpr16_sgpr17
	s_waitcnt vmcnt(0)
	v_cmp_lt_i16_e32 vcc, s14, v10
	s_mov_b64 s[14:15], 0
	s_and_saveexec_b64 s[20:21], vcc
	s_xor_b64 s[20:21], exec, s[20:21]
	s_cbranch_execz .LBB70_1997
; %bb.1975:
	s_movk_i32 s14, 0x80
	v_cmp_eq_u16_e32 vcc, s14, v10
	s_mov_b64 s[22:23], -1
                                        ; implicit-def: $sgpr16_sgpr17
	s_and_saveexec_b64 s[14:15], vcc
; %bb.1976:
	s_mov_b32 s17, 0x7ff80000
	s_brev_b32 s16, 4
	s_xor_b64 s[22:23], exec, -1
; %bb.1977:
	s_or_b64 exec, exec, s[14:15]
	s_and_b64 s[14:15], s[22:23], exec
	s_or_saveexec_b64 s[20:21], s[20:21]
	v_pk_mov_b32 v[6:7], s[16:17], s[16:17] op_sel:[0,1]
	s_xor_b64 exec, exec, s[20:21]
	s_cbranch_execnz .LBB70_1998
.LBB70_1978:
	s_or_b64 exec, exec, s[20:21]
	s_and_saveexec_b64 s[16:17], s[14:15]
	s_cbranch_execz .LBB70_1980
.LBB70_1979:
	v_and_b32_e32 v7, 0xffff, v10
	v_lshlrev_b32_e32 v6, 24, v10
	v_and_b32_e32 v10, 3, v7
	v_ffbh_u32_e32 v13, v10
	v_min_u32_e32 v13, 32, v13
	v_subrev_u32_e32 v14, 29, v13
	v_bfe_u32 v11, v7, 2, 5
	v_lshlrev_b32_e32 v7, v14, v7
	v_sub_u32_e32 v13, 30, v13
	v_and_b32_e32 v7, 3, v7
	v_cmp_eq_u32_e32 vcc, 0, v11
	v_cndmask_b32_e32 v11, v11, v13, vcc
	v_cndmask_b32_e32 v7, v10, v7, vcc
	v_mov_b32_e32 v10, 0x37800000
	v_lshlrev_b32_e32 v7, 21, v7
	v_and_b32_e32 v6, 0x80000000, v6
	v_lshl_add_u32 v10, v11, 23, v10
	v_or3_b32 v6, v6, v10, v7
	v_cvt_f64_f32_e32 v[6:7], v6
.LBB70_1980:
	s_or_b64 exec, exec, s[16:17]
	s_mov_b64 s[14:15], 0
	s_branch .LBB70_1986
.LBB70_1981:
	s_mov_b64 s[14:15], -1
                                        ; implicit-def: $vgpr6_vgpr7
	s_branch .LBB70_1992
.LBB70_1982:
	s_or_saveexec_b64 s[22:23], s[22:23]
	v_pk_mov_b32 v[6:7], s[20:21], s[20:21] op_sel:[0,1]
	s_xor_b64 exec, exec, s[22:23]
	s_cbranch_execz .LBB70_1965
.LBB70_1983:
	v_cmp_ne_u16_e32 vcc, 0, v10
	s_andn2_b64 s[16:17], s[16:17], exec
	s_and_b64 s[20:21], vcc, exec
	v_pk_mov_b32 v[6:7], 0, 0
	s_or_b64 s[16:17], s[16:17], s[20:21]
	s_or_b64 exec, exec, s[22:23]
	s_and_saveexec_b64 s[20:21], s[16:17]
	s_cbranch_execnz .LBB70_1966
	s_branch .LBB70_1967
.LBB70_1984:
	s_mov_b64 s[14:15], -1
                                        ; implicit-def: $vgpr6_vgpr7
	s_branch .LBB70_1989
.LBB70_1985:
	s_mov_b64 s[14:15], -1
                                        ; implicit-def: $vgpr6_vgpr7
.LBB70_1986:
	s_and_b64 vcc, exec, s[14:15]
	s_cbranch_vccz .LBB70_1988
; %bb.1987:
	global_load_ubyte v6, v[8:9], off
	s_mov_b32 s14, 0x7f800000
	s_waitcnt vmcnt(0)
	v_lshlrev_b32_e32 v6, 24, v6
	v_and_b32_e32 v7, 0x7f000000, v6
	v_ffbh_u32_e32 v10, v7
	v_min_u32_e32 v10, 32, v10
	v_sub_u32_e64 v10, v10, 4 clamp
	v_lshlrev_b32_e32 v13, v10, v7
	v_lshlrev_b32_e32 v10, 23, v10
	v_lshrrev_b32_e32 v13, 4, v13
	v_add_u32_e32 v11, 0x1000000, v7
	v_sub_u32_e32 v10, v13, v10
	v_ashrrev_i32_e32 v11, 8, v11
	v_add_u32_e32 v10, 0x3c000000, v10
	v_and_or_b32 v10, v11, s14, v10
	v_cmp_ne_u32_e32 vcc, 0, v7
	v_cndmask_b32_e32 v7, 0, v10, vcc
	s_brev_b32 s14, 1
	v_and_or_b32 v6, v6, s14, v7
	v_cvt_f64_f32_e32 v[6:7], v6
.LBB70_1988:
	s_mov_b64 s[14:15], 0
.LBB70_1989:
	s_andn2_b64 vcc, exec, s[14:15]
	s_cbranch_vccnz .LBB70_1991
; %bb.1990:
	global_load_ubyte v6, v[8:9], off
	s_movk_i32 s14, 0x7f00
	s_brev_b32 s15, 16
	s_waitcnt vmcnt(0)
	v_lshlrev_b16_e32 v7, 8, v6
	v_lshlrev_b32_e32 v6, 25, v6
	v_lshrrev_b32_e32 v10, 4, v6
	v_and_or_b32 v11, v7, s14, 0.5
	v_or_b32_e32 v10, 0x70000000, v10
	v_add_f32_e32 v11, -0.5, v11
	v_mul_f32_e32 v10, 0x7800000, v10
	v_cmp_gt_u32_e32 vcc, s15, v6
	v_bfe_i32 v7, v7, 0, 16
	v_cndmask_b32_e32 v6, v10, v11, vcc
	s_brev_b32 s14, 1
	v_and_or_b32 v6, v7, s14, v6
	v_cvt_f64_f32_e32 v[6:7], v6
.LBB70_1991:
	s_mov_b64 s[14:15], 0
	s_mov_b64 s[16:17], -1
.LBB70_1992:
	s_andn2_b64 vcc, exec, s[14:15]
	s_mov_b64 s[14:15], 0
	s_cbranch_vccnz .LBB70_2003
; %bb.1993:
	v_mov_b32_e32 v6, 14
	v_cmp_gt_i16_sdwa s[14:15], v20, v6 src0_sel:BYTE_0 src1_sel:DWORD
	s_and_b64 vcc, exec, s[14:15]
	s_cbranch_vccz .LBB70_1996
; %bb.1994:
	v_mov_b32_e32 v6, 15
	v_cmp_eq_u16_sdwa s[0:1], v20, v6 src0_sel:BYTE_0 src1_sel:DWORD
	s_and_b64 vcc, exec, s[0:1]
	s_cbranch_vccz .LBB70_1999
; %bb.1995:
	global_load_ushort v6, v[8:9], off
	s_mov_b64 s[0:1], 0
	s_mov_b64 s[16:17], -1
	s_waitcnt vmcnt(0)
	v_lshlrev_b32_e32 v6, 16, v6
	v_cvt_f64_f32_e32 v[6:7], v6
	s_branch .LBB70_2000
.LBB70_1996:
	s_mov_b64 s[20:21], -1
                                        ; implicit-def: $vgpr6_vgpr7
	s_branch .LBB70_2001
.LBB70_1997:
	s_or_saveexec_b64 s[20:21], s[20:21]
	v_pk_mov_b32 v[6:7], s[16:17], s[16:17] op_sel:[0,1]
	s_xor_b64 exec, exec, s[20:21]
	s_cbranch_execz .LBB70_1978
.LBB70_1998:
	v_cmp_ne_u16_e32 vcc, 0, v10
	s_andn2_b64 s[14:15], s[14:15], exec
	s_and_b64 s[16:17], vcc, exec
	v_pk_mov_b32 v[6:7], 0, 0
	s_or_b64 s[14:15], s[14:15], s[16:17]
	s_or_b64 exec, exec, s[20:21]
	s_and_saveexec_b64 s[16:17], s[14:15]
	s_cbranch_execnz .LBB70_1979
	s_branch .LBB70_1980
.LBB70_1999:
	s_mov_b64 s[0:1], -1
                                        ; implicit-def: $vgpr6_vgpr7
.LBB70_2000:
	s_mov_b64 s[20:21], 0
.LBB70_2001:
	s_mov_b64 s[14:15], 0
	s_and_b64 vcc, exec, s[20:21]
	s_cbranch_vccz .LBB70_2003
; %bb.2002:
	v_mov_b32_e32 v6, 11
	v_cmp_ne_u16_sdwa s[0:1], v20, v6 src0_sel:BYTE_0 src1_sel:DWORD
	s_mov_b64 s[14:15], -1
                                        ; implicit-def: $vgpr6_vgpr7
.LBB70_2003:
	s_and_b64 vcc, exec, s[0:1]
	s_cbranch_vccnz .LBB70_2068
; %bb.2004:
	s_andn2_b64 vcc, exec, s[14:15]
	s_cbranch_vccnz .LBB70_2006
.LBB70_2005:
	global_load_ubyte v6, v[8:9], off
	v_mov_b32_e32 v7, 0x3ff00000
	s_mov_b64 s[16:17], -1
	s_waitcnt vmcnt(0)
	v_cmp_ne_u16_e32 vcc, 0, v6
	v_cndmask_b32_e32 v7, 0, v7, vcc
.LBB70_2006:
	s_mov_b64 s[0:1], 0
.LBB70_2007:
	s_and_b64 vcc, exec, s[0:1]
	s_cbranch_vccz .LBB70_2056
; %bb.2008:
	v_mov_b32_e32 v6, 5
	v_cmp_lt_i16_sdwa s[0:1], v20, v6 src0_sel:BYTE_0 src1_sel:DWORD
	s_and_b64 vcc, exec, s[0:1]
	s_cbranch_vccnz .LBB70_2013
; %bb.2009:
	v_mov_b32_e32 v6, 8
	v_cmp_lt_i16_sdwa s[0:1], v20, v6 src0_sel:BYTE_0 src1_sel:DWORD
	s_and_b64 vcc, exec, s[0:1]
	s_cbranch_vccnz .LBB70_2014
	;; [unrolled: 5-line block ×3, first 2 shown]
; %bb.2011:
	v_cmp_gt_i16_sdwa s[0:1], v20, v6 src0_sel:BYTE_0 src1_sel:DWORD
	s_and_b64 vcc, exec, s[0:1]
	s_cbranch_vccz .LBB70_2016
; %bb.2012:
	global_load_dwordx2 v[6:7], v[8:9], off
	s_mov_b64 s[0:1], 0
	s_branch .LBB70_2017
.LBB70_2013:
	s_mov_b64 s[0:1], -1
                                        ; implicit-def: $vgpr6_vgpr7
	s_branch .LBB70_2035
.LBB70_2014:
	s_mov_b64 s[0:1], -1
                                        ; implicit-def: $vgpr6_vgpr7
	s_branch .LBB70_2023
.LBB70_2015:
	s_mov_b64 s[0:1], -1
                                        ; implicit-def: $vgpr6_vgpr7
	s_branch .LBB70_2020
.LBB70_2016:
	s_mov_b64 s[0:1], -1
                                        ; implicit-def: $vgpr6_vgpr7
.LBB70_2017:
	s_andn2_b64 vcc, exec, s[0:1]
	s_cbranch_vccnz .LBB70_2019
; %bb.2018:
	global_load_dword v6, v[8:9], off
	s_waitcnt vmcnt(0)
	v_cvt_f64_f32_e32 v[6:7], v6
.LBB70_2019:
	s_mov_b64 s[0:1], 0
.LBB70_2020:
	s_andn2_b64 vcc, exec, s[0:1]
	s_cbranch_vccnz .LBB70_2022
; %bb.2021:
	global_load_dword v6, v[8:9], off
	s_waitcnt vmcnt(0)
	v_cvt_f32_f16_e32 v6, v6
	v_cvt_f64_f32_e32 v[6:7], v6
.LBB70_2022:
	s_mov_b64 s[0:1], 0
.LBB70_2023:
	s_andn2_b64 vcc, exec, s[0:1]
	s_cbranch_vccnz .LBB70_2034
; %bb.2024:
	s_waitcnt vmcnt(0)
	v_mov_b32_e32 v6, 6
	v_cmp_lt_i16_sdwa s[0:1], v20, v6 src0_sel:BYTE_0 src1_sel:DWORD
	s_and_b64 vcc, exec, s[0:1]
	s_cbranch_vccnz .LBB70_2027
; %bb.2025:
	v_cmp_gt_i16_sdwa s[0:1], v20, v6 src0_sel:BYTE_0 src1_sel:DWORD
	s_and_b64 vcc, exec, s[0:1]
	s_cbranch_vccz .LBB70_2028
; %bb.2026:
	global_load_dwordx2 v[6:7], v[8:9], off
	s_mov_b64 s[0:1], 0
	s_branch .LBB70_2029
.LBB70_2027:
	s_mov_b64 s[0:1], -1
                                        ; implicit-def: $vgpr6_vgpr7
	s_branch .LBB70_2032
.LBB70_2028:
	s_mov_b64 s[0:1], -1
                                        ; implicit-def: $vgpr6_vgpr7
.LBB70_2029:
	s_andn2_b64 vcc, exec, s[0:1]
	s_cbranch_vccnz .LBB70_2031
; %bb.2030:
	global_load_dword v6, v[8:9], off
	s_waitcnt vmcnt(0)
	v_cvt_f64_f32_e32 v[6:7], v6
.LBB70_2031:
	s_mov_b64 s[0:1], 0
.LBB70_2032:
	s_andn2_b64 vcc, exec, s[0:1]
	s_cbranch_vccnz .LBB70_2034
; %bb.2033:
	global_load_ushort v6, v[8:9], off
	s_waitcnt vmcnt(0)
	v_cvt_f32_f16_e32 v6, v6
	v_cvt_f64_f32_e32 v[6:7], v6
.LBB70_2034:
	s_mov_b64 s[0:1], 0
.LBB70_2035:
	s_andn2_b64 vcc, exec, s[0:1]
	s_cbranch_vccnz .LBB70_2055
; %bb.2036:
	s_waitcnt vmcnt(0)
	v_mov_b32_e32 v6, 2
	v_cmp_lt_i16_sdwa s[0:1], v20, v6 src0_sel:BYTE_0 src1_sel:DWORD
	s_and_b64 vcc, exec, s[0:1]
	s_cbranch_vccnz .LBB70_2040
; %bb.2037:
	v_mov_b32_e32 v6, 3
	v_cmp_lt_i16_sdwa s[0:1], v20, v6 src0_sel:BYTE_0 src1_sel:DWORD
	s_and_b64 vcc, exec, s[0:1]
	s_cbranch_vccnz .LBB70_2041
; %bb.2038:
	v_cmp_gt_i16_sdwa s[0:1], v20, v6 src0_sel:BYTE_0 src1_sel:DWORD
	s_and_b64 vcc, exec, s[0:1]
	s_cbranch_vccz .LBB70_2042
; %bb.2039:
	global_load_dwordx2 v[6:7], v[8:9], off
	s_mov_b64 s[0:1], 0
	s_waitcnt vmcnt(0)
	v_cvt_f64_i32_e32 v[10:11], v7
	v_cvt_f64_u32_e32 v[6:7], v6
	v_ldexp_f64 v[10:11], v[10:11], 32
	v_add_f64 v[6:7], v[10:11], v[6:7]
	s_branch .LBB70_2043
.LBB70_2040:
	s_mov_b64 s[0:1], -1
                                        ; implicit-def: $vgpr6_vgpr7
	s_branch .LBB70_2049
.LBB70_2041:
	s_mov_b64 s[0:1], -1
                                        ; implicit-def: $vgpr6_vgpr7
	s_branch .LBB70_2046
.LBB70_2042:
	s_mov_b64 s[0:1], -1
                                        ; implicit-def: $vgpr6_vgpr7
.LBB70_2043:
	s_andn2_b64 vcc, exec, s[0:1]
	s_cbranch_vccnz .LBB70_2045
; %bb.2044:
	global_load_dword v6, v[8:9], off
	s_waitcnt vmcnt(0)
	v_cvt_f64_i32_e32 v[6:7], v6
.LBB70_2045:
	s_mov_b64 s[0:1], 0
.LBB70_2046:
	s_andn2_b64 vcc, exec, s[0:1]
	s_cbranch_vccnz .LBB70_2048
; %bb.2047:
	global_load_sshort v6, v[8:9], off
	s_waitcnt vmcnt(0)
	v_cvt_f64_i32_e32 v[6:7], v6
.LBB70_2048:
	s_mov_b64 s[0:1], 0
.LBB70_2049:
	s_andn2_b64 vcc, exec, s[0:1]
	s_cbranch_vccnz .LBB70_2055
; %bb.2050:
	v_mov_b32_e32 v6, 0
	v_cmp_gt_i16_sdwa s[0:1], v20, v6 src0_sel:BYTE_0 src1_sel:DWORD
	s_and_b64 vcc, exec, s[0:1]
	s_cbranch_vccz .LBB70_2052
; %bb.2051:
	global_load_sbyte v6, v[8:9], off
	s_mov_b64 s[0:1], 0
	s_waitcnt vmcnt(0)
	v_cvt_f64_i32_e32 v[6:7], v6
	s_branch .LBB70_2053
.LBB70_2052:
	s_mov_b64 s[0:1], -1
                                        ; implicit-def: $vgpr6_vgpr7
.LBB70_2053:
	s_andn2_b64 vcc, exec, s[0:1]
	s_cbranch_vccnz .LBB70_2055
; %bb.2054:
	global_load_ubyte v6, v[8:9], off
	s_waitcnt vmcnt(0)
	v_cvt_f64_u32_e32 v[6:7], v6
.LBB70_2055:
	s_mov_b64 s[16:17], -1
.LBB70_2056:
	s_andn2_b64 vcc, exec, s[16:17]
	s_cbranch_vccnz .LBB70_3032
; %bb.2057:
	v_add_u32_e32 v2, s13, v2
	s_waitcnt vmcnt(0)
	v_ashrrev_i32_e32 v6, 31, v2
	v_mov_b32_e32 v8, s11
	v_add_co_u32_e32 v10, vcc, s10, v2
	v_addc_co_u32_e32 v11, vcc, v8, v6, vcc
	v_mov_b32_e32 v6, 11
	v_cmp_lt_i16_sdwa s[0:1], v16, v6 src0_sel:BYTE_0 src1_sel:DWORD
	s_and_b64 vcc, exec, s[0:1]
	s_cbranch_vccnz .LBB70_2064
; %bb.2058:
	v_mov_b32_e32 v6, 25
	v_cmp_gt_i16_sdwa s[0:1], v16, v6 src0_sel:BYTE_0 src1_sel:DWORD
	s_mov_b64 s[14:15], 0
	s_and_b64 vcc, exec, s[0:1]
	s_cbranch_vccz .LBB70_2065
; %bb.2059:
	v_mov_b32_e32 v6, 28
	v_cmp_gt_i16_sdwa s[0:1], v16, v6 src0_sel:BYTE_0 src1_sel:DWORD
	s_and_b64 vcc, exec, s[0:1]
	s_cbranch_vccz .LBB70_2066
; %bb.2060:
	v_mov_b32_e32 v6, 43
	v_cmp_gt_i16_sdwa s[0:1], v16, v6 src0_sel:BYTE_0 src1_sel:DWORD
	;; [unrolled: 5-line block ×3, first 2 shown]
	s_and_b64 vcc, exec, s[0:1]
	s_cbranch_vccz .LBB70_2069
; %bb.2062:
	v_mov_b32_e32 v6, 46
	v_cmp_eq_u16_sdwa s[0:1], v16, v6 src0_sel:BYTE_0 src1_sel:DWORD
	s_mov_b64 s[20:21], 0
	s_and_b64 vcc, exec, s[0:1]
	s_cbranch_vccz .LBB70_2070
; %bb.2063:
	global_load_dword v6, v[10:11], off
	s_mov_b64 s[0:1], 0
	s_mov_b64 s[16:17], -1
	s_waitcnt vmcnt(0)
	v_lshlrev_b32_e32 v6, 16, v6
	v_cvt_f64_f32_e32 v[8:9], v6
	s_branch .LBB70_2071
.LBB70_2064:
	s_mov_b64 s[0:1], -1
	s_mov_b64 s[16:17], 0
                                        ; implicit-def: $vgpr8_vgpr9
	s_branch .LBB70_2137
.LBB70_2065:
	s_mov_b64 s[20:21], -1
	s_mov_b64 s[16:17], 0
	s_mov_b64 s[0:1], 0
                                        ; implicit-def: $vgpr8_vgpr9
	s_branch .LBB70_2100
.LBB70_2066:
	s_mov_b64 s[20:21], -1
	s_mov_b64 s[16:17], 0
	s_mov_b64 s[0:1], 0
                                        ; implicit-def: $vgpr8_vgpr9
	s_branch .LBB70_2081
.LBB70_2067:
	s_mov_b64 s[20:21], -1
	s_mov_b64 s[16:17], 0
	s_mov_b64 s[0:1], 0
                                        ; implicit-def: $vgpr8_vgpr9
	s_branch .LBB70_2076
.LBB70_2068:
	s_trap 2
	s_or_b64 s[18:19], s[18:19], exec
                                        ; implicit-def: $vgpr6_vgpr7
	s_cbranch_execz .LBB70_2005
	s_branch .LBB70_2006
.LBB70_2069:
	s_mov_b64 s[20:21], -1
	s_mov_b64 s[16:17], 0
	s_mov_b64 s[0:1], 0
                                        ; implicit-def: $vgpr8_vgpr9
	s_branch .LBB70_2071
.LBB70_2070:
	s_mov_b64 s[0:1], -1
                                        ; implicit-def: $vgpr8_vgpr9
	s_mov_b64 s[16:17], 0
.LBB70_2071:
	s_and_b64 vcc, exec, s[20:21]
	s_cbranch_vccz .LBB70_2075
; %bb.2072:
	v_mov_b32_e32 v6, 44
	v_cmp_eq_u16_sdwa s[0:1], v16, v6 src0_sel:BYTE_0 src1_sel:DWORD
	s_and_b64 vcc, exec, s[0:1]
	s_cbranch_vccz .LBB70_2074
; %bb.2073:
	global_load_ubyte v6, v[10:11], off
	s_movk_i32 s16, 0xff
	v_bfrev_b32_e32 v13, 4
	v_mov_b32_e32 v14, 0x7ff80000
	v_bfrev_b32_e32 v15, 28
	s_mov_b64 s[0:1], 0
	s_waitcnt vmcnt(0)
	v_lshlrev_b32_e32 v8, 23, v6
	v_cvt_f64_f32_e32 v[8:9], v8
	v_cmp_ne_u32_e32 vcc, s16, v6
	v_cndmask_b32_e32 v8, v13, v8, vcc
	v_cndmask_b32_e32 v9, v14, v9, vcc
	v_cmp_ne_u32_e32 vcc, 0, v6
	v_cndmask_b32_e32 v9, v15, v9, vcc
	v_cndmask_b32_e32 v8, 0, v8, vcc
	s_mov_b64 s[16:17], -1
	s_branch .LBB70_2075
.LBB70_2074:
	s_mov_b64 s[0:1], -1
                                        ; implicit-def: $vgpr8_vgpr9
.LBB70_2075:
	s_mov_b64 s[20:21], 0
.LBB70_2076:
	s_and_b64 vcc, exec, s[20:21]
	s_cbranch_vccz .LBB70_2080
; %bb.2077:
	v_mov_b32_e32 v6, 29
	v_cmp_eq_u16_sdwa s[0:1], v16, v6 src0_sel:BYTE_0 src1_sel:DWORD
	s_and_b64 vcc, exec, s[0:1]
	s_cbranch_vccz .LBB70_2079
; %bb.2078:
	global_load_dwordx2 v[8:9], v[10:11], off
	s_mov_b64 s[0:1], 0
	s_mov_b64 s[16:17], -1
	s_mov_b64 s[20:21], 0
	s_waitcnt vmcnt(0)
	v_cvt_f64_u32_e32 v[14:15], v9
	v_cvt_f64_u32_e32 v[8:9], v8
	v_ldexp_f64 v[14:15], v[14:15], 32
	v_add_f64 v[8:9], v[14:15], v[8:9]
	s_branch .LBB70_2081
.LBB70_2079:
	s_mov_b64 s[0:1], -1
                                        ; implicit-def: $vgpr8_vgpr9
.LBB70_2080:
	s_mov_b64 s[20:21], 0
.LBB70_2081:
	s_and_b64 vcc, exec, s[20:21]
	s_cbranch_vccz .LBB70_2099
; %bb.2082:
	v_mov_b32_e32 v6, 27
	v_cmp_lt_i16_sdwa s[16:17], v16, v6 src0_sel:BYTE_0 src1_sel:DWORD
	s_and_b64 vcc, exec, s[16:17]
	s_cbranch_vccnz .LBB70_2085
; %bb.2083:
	v_cmp_gt_i16_sdwa s[16:17], v16, v6 src0_sel:BYTE_0 src1_sel:DWORD
	s_and_b64 vcc, exec, s[16:17]
	s_cbranch_vccz .LBB70_2086
; %bb.2084:
	global_load_dword v6, v[10:11], off
	s_mov_b64 s[16:17], 0
	s_waitcnt vmcnt(0)
	v_cvt_f64_u32_e32 v[8:9], v6
	s_branch .LBB70_2087
.LBB70_2085:
	s_mov_b64 s[16:17], -1
                                        ; implicit-def: $vgpr8_vgpr9
	s_branch .LBB70_2090
.LBB70_2086:
	s_mov_b64 s[16:17], -1
                                        ; implicit-def: $vgpr8_vgpr9
.LBB70_2087:
	s_andn2_b64 vcc, exec, s[16:17]
	s_cbranch_vccnz .LBB70_2089
; %bb.2088:
	global_load_ushort v6, v[10:11], off
	s_waitcnt vmcnt(0)
	v_cvt_f64_u32_e32 v[8:9], v6
.LBB70_2089:
	s_mov_b64 s[16:17], 0
.LBB70_2090:
	s_andn2_b64 vcc, exec, s[16:17]
	s_cbranch_vccnz .LBB70_2098
; %bb.2091:
	global_load_ubyte v6, v[10:11], off
	s_movk_i32 s16, 0x7f
                                        ; implicit-def: $sgpr20_sgpr21
	s_waitcnt vmcnt(0)
	v_cmp_lt_i16_e32 vcc, s16, v6
	s_mov_b64 s[16:17], 0
	s_and_saveexec_b64 s[22:23], vcc
	s_xor_b64 s[22:23], exec, s[22:23]
	s_cbranch_execz .LBB70_2112
; %bb.2092:
	s_movk_i32 s16, 0x80
	v_cmp_eq_u16_e32 vcc, s16, v6
	s_mov_b64 s[24:25], -1
                                        ; implicit-def: $sgpr20_sgpr21
	s_and_saveexec_b64 s[16:17], vcc
; %bb.2093:
	s_mov_b32 s21, 0x7ff80000
	s_brev_b32 s20, 4
	s_xor_b64 s[24:25], exec, -1
; %bb.2094:
	s_or_b64 exec, exec, s[16:17]
	s_and_b64 s[16:17], s[24:25], exec
	s_or_saveexec_b64 s[22:23], s[22:23]
	v_pk_mov_b32 v[8:9], s[20:21], s[20:21] op_sel:[0,1]
	s_xor_b64 exec, exec, s[22:23]
	s_cbranch_execnz .LBB70_2113
.LBB70_2095:
	s_or_b64 exec, exec, s[22:23]
	s_and_saveexec_b64 s[20:21], s[16:17]
	s_cbranch_execz .LBB70_2097
.LBB70_2096:
	v_lshlrev_b32_e32 v8, 24, v6
	v_and_b32_e32 v6, 0xffff, v6
	v_and_b32_e32 v9, 7, v6
	v_ffbh_u32_e32 v14, v9
	v_min_u32_e32 v14, 32, v14
	v_subrev_u32_e32 v15, 28, v14
	v_bfe_u32 v13, v6, 3, 4
	v_lshlrev_b32_e32 v6, v15, v6
	v_sub_u32_e32 v14, 29, v14
	v_and_b32_e32 v6, 7, v6
	v_cmp_eq_u32_e32 vcc, 0, v13
	v_cndmask_b32_e32 v13, v13, v14, vcc
	v_cndmask_b32_e32 v6, v9, v6, vcc
	v_mov_b32_e32 v9, 0x3b800000
	v_lshlrev_b32_e32 v6, 20, v6
	v_and_b32_e32 v8, 0x80000000, v8
	v_lshl_add_u32 v9, v13, 23, v9
	v_or3_b32 v6, v8, v9, v6
	v_cvt_f64_f32_e32 v[8:9], v6
.LBB70_2097:
	s_or_b64 exec, exec, s[20:21]
.LBB70_2098:
	s_mov_b64 s[16:17], -1
.LBB70_2099:
	s_mov_b64 s[20:21], 0
.LBB70_2100:
	s_and_b64 vcc, exec, s[20:21]
	s_cbranch_vccz .LBB70_2133
; %bb.2101:
	v_mov_b32_e32 v6, 22
	v_cmp_gt_i16_sdwa s[14:15], v16, v6 src0_sel:BYTE_0 src1_sel:DWORD
	s_and_b64 vcc, exec, s[14:15]
	s_cbranch_vccz .LBB70_2111
; %bb.2102:
	v_mov_b32_e32 v6, 24
	v_cmp_lt_i16_sdwa s[14:15], v16, v6 src0_sel:BYTE_0 src1_sel:DWORD
	s_and_b64 vcc, exec, s[14:15]
	s_cbranch_vccnz .LBB70_2114
; %bb.2103:
	v_cmp_gt_i16_sdwa s[14:15], v16, v6 src0_sel:BYTE_0 src1_sel:DWORD
	s_and_b64 vcc, exec, s[14:15]
	s_cbranch_vccz .LBB70_2115
; %bb.2104:
	global_load_ubyte v6, v[10:11], off
	s_movk_i32 s14, 0x7f
                                        ; implicit-def: $sgpr16_sgpr17
	s_waitcnt vmcnt(0)
	v_cmp_lt_i16_e32 vcc, s14, v6
	s_mov_b64 s[14:15], 0
	s_and_saveexec_b64 s[20:21], vcc
	s_xor_b64 s[20:21], exec, s[20:21]
	s_cbranch_execz .LBB70_2127
; %bb.2105:
	s_movk_i32 s14, 0x80
	v_cmp_eq_u16_e32 vcc, s14, v6
	s_mov_b64 s[22:23], -1
                                        ; implicit-def: $sgpr16_sgpr17
	s_and_saveexec_b64 s[14:15], vcc
; %bb.2106:
	s_mov_b32 s17, 0x7ff80000
	s_brev_b32 s16, 4
	s_xor_b64 s[22:23], exec, -1
; %bb.2107:
	s_or_b64 exec, exec, s[14:15]
	s_and_b64 s[14:15], s[22:23], exec
	s_or_saveexec_b64 s[20:21], s[20:21]
	v_pk_mov_b32 v[8:9], s[16:17], s[16:17] op_sel:[0,1]
	s_xor_b64 exec, exec, s[20:21]
	s_cbranch_execnz .LBB70_2128
.LBB70_2108:
	s_or_b64 exec, exec, s[20:21]
	s_and_saveexec_b64 s[16:17], s[14:15]
	s_cbranch_execz .LBB70_2110
.LBB70_2109:
	v_lshlrev_b32_e32 v8, 24, v6
	v_and_b32_e32 v6, 0xffff, v6
	v_and_b32_e32 v9, 3, v6
	v_ffbh_u32_e32 v14, v9
	v_min_u32_e32 v14, 32, v14
	v_subrev_u32_e32 v15, 29, v14
	v_bfe_u32 v13, v6, 2, 5
	v_lshlrev_b32_e32 v6, v15, v6
	v_sub_u32_e32 v14, 30, v14
	v_and_b32_e32 v6, 3, v6
	v_cmp_eq_u32_e32 vcc, 0, v13
	v_cndmask_b32_e32 v13, v13, v14, vcc
	v_cndmask_b32_e32 v6, v9, v6, vcc
	v_mov_b32_e32 v9, 0x37800000
	v_lshlrev_b32_e32 v6, 21, v6
	v_and_b32_e32 v8, 0x80000000, v8
	v_lshl_add_u32 v9, v13, 23, v9
	v_or3_b32 v6, v8, v9, v6
	v_cvt_f64_f32_e32 v[8:9], v6
.LBB70_2110:
	s_or_b64 exec, exec, s[16:17]
	s_mov_b64 s[14:15], 0
	s_branch .LBB70_2116
.LBB70_2111:
	s_mov_b64 s[14:15], -1
                                        ; implicit-def: $vgpr8_vgpr9
	s_branch .LBB70_2122
.LBB70_2112:
	s_or_saveexec_b64 s[22:23], s[22:23]
	v_pk_mov_b32 v[8:9], s[20:21], s[20:21] op_sel:[0,1]
	s_xor_b64 exec, exec, s[22:23]
	s_cbranch_execz .LBB70_2095
.LBB70_2113:
	v_cmp_ne_u16_e32 vcc, 0, v6
	s_andn2_b64 s[16:17], s[16:17], exec
	s_and_b64 s[20:21], vcc, exec
	v_pk_mov_b32 v[8:9], 0, 0
	s_or_b64 s[16:17], s[16:17], s[20:21]
	s_or_b64 exec, exec, s[22:23]
	s_and_saveexec_b64 s[20:21], s[16:17]
	s_cbranch_execnz .LBB70_2096
	s_branch .LBB70_2097
.LBB70_2114:
	s_mov_b64 s[14:15], -1
                                        ; implicit-def: $vgpr8_vgpr9
	s_branch .LBB70_2119
.LBB70_2115:
	s_mov_b64 s[14:15], -1
                                        ; implicit-def: $vgpr8_vgpr9
.LBB70_2116:
	s_and_b64 vcc, exec, s[14:15]
	s_cbranch_vccz .LBB70_2118
; %bb.2117:
	global_load_ubyte v6, v[10:11], off
	s_mov_b32 s14, 0x7f800000
	s_waitcnt vmcnt(0)
	v_lshlrev_b32_e32 v6, 24, v6
	v_and_b32_e32 v8, 0x7f000000, v6
	v_ffbh_u32_e32 v9, v8
	v_min_u32_e32 v9, 32, v9
	v_sub_u32_e64 v9, v9, 4 clamp
	v_lshlrev_b32_e32 v14, v9, v8
	v_lshlrev_b32_e32 v9, 23, v9
	v_lshrrev_b32_e32 v14, 4, v14
	v_add_u32_e32 v13, 0x1000000, v8
	v_sub_u32_e32 v9, v14, v9
	v_ashrrev_i32_e32 v13, 8, v13
	v_add_u32_e32 v9, 0x3c000000, v9
	v_and_or_b32 v9, v13, s14, v9
	v_cmp_ne_u32_e32 vcc, 0, v8
	v_cndmask_b32_e32 v8, 0, v9, vcc
	s_brev_b32 s14, 1
	v_and_or_b32 v6, v6, s14, v8
	v_cvt_f64_f32_e32 v[8:9], v6
.LBB70_2118:
	s_mov_b64 s[14:15], 0
.LBB70_2119:
	s_andn2_b64 vcc, exec, s[14:15]
	s_cbranch_vccnz .LBB70_2121
; %bb.2120:
	global_load_ubyte v6, v[10:11], off
	s_movk_i32 s14, 0x7f00
	s_brev_b32 s15, 16
	s_waitcnt vmcnt(0)
	v_lshlrev_b16_e32 v8, 8, v6
	v_lshlrev_b32_e32 v6, 25, v6
	v_lshrrev_b32_e32 v9, 4, v6
	v_and_or_b32 v13, v8, s14, 0.5
	v_or_b32_e32 v9, 0x70000000, v9
	v_add_f32_e32 v13, -0.5, v13
	v_mul_f32_e32 v9, 0x7800000, v9
	v_cmp_gt_u32_e32 vcc, s15, v6
	v_bfe_i32 v8, v8, 0, 16
	v_cndmask_b32_e32 v6, v9, v13, vcc
	s_brev_b32 s14, 1
	v_and_or_b32 v6, v8, s14, v6
	v_cvt_f64_f32_e32 v[8:9], v6
.LBB70_2121:
	s_mov_b64 s[14:15], 0
	s_mov_b64 s[16:17], -1
.LBB70_2122:
	s_andn2_b64 vcc, exec, s[14:15]
	s_mov_b64 s[14:15], 0
	s_cbranch_vccnz .LBB70_2133
; %bb.2123:
	v_mov_b32_e32 v6, 14
	v_cmp_gt_i16_sdwa s[14:15], v16, v6 src0_sel:BYTE_0 src1_sel:DWORD
	s_and_b64 vcc, exec, s[14:15]
	s_cbranch_vccz .LBB70_2126
; %bb.2124:
	v_mov_b32_e32 v6, 15
	v_cmp_eq_u16_sdwa s[0:1], v16, v6 src0_sel:BYTE_0 src1_sel:DWORD
	s_and_b64 vcc, exec, s[0:1]
	s_cbranch_vccz .LBB70_2129
; %bb.2125:
	global_load_ushort v6, v[10:11], off
	s_mov_b64 s[0:1], 0
	s_mov_b64 s[16:17], -1
	s_waitcnt vmcnt(0)
	v_lshlrev_b32_e32 v6, 16, v6
	v_cvt_f64_f32_e32 v[8:9], v6
	s_branch .LBB70_2130
.LBB70_2126:
	s_mov_b64 s[20:21], -1
                                        ; implicit-def: $vgpr8_vgpr9
	s_branch .LBB70_2131
.LBB70_2127:
	s_or_saveexec_b64 s[20:21], s[20:21]
	v_pk_mov_b32 v[8:9], s[16:17], s[16:17] op_sel:[0,1]
	s_xor_b64 exec, exec, s[20:21]
	s_cbranch_execz .LBB70_2108
.LBB70_2128:
	v_cmp_ne_u16_e32 vcc, 0, v6
	s_andn2_b64 s[14:15], s[14:15], exec
	s_and_b64 s[16:17], vcc, exec
	v_pk_mov_b32 v[8:9], 0, 0
	s_or_b64 s[14:15], s[14:15], s[16:17]
	s_or_b64 exec, exec, s[20:21]
	s_and_saveexec_b64 s[16:17], s[14:15]
	s_cbranch_execnz .LBB70_2109
	s_branch .LBB70_2110
.LBB70_2129:
	s_mov_b64 s[0:1], -1
                                        ; implicit-def: $vgpr8_vgpr9
.LBB70_2130:
	s_mov_b64 s[20:21], 0
.LBB70_2131:
	s_mov_b64 s[14:15], 0
	s_and_b64 vcc, exec, s[20:21]
	s_cbranch_vccz .LBB70_2133
; %bb.2132:
	v_mov_b32_e32 v6, 11
	v_cmp_ne_u16_sdwa s[0:1], v16, v6 src0_sel:BYTE_0 src1_sel:DWORD
	s_mov_b64 s[14:15], -1
                                        ; implicit-def: $vgpr8_vgpr9
.LBB70_2133:
	s_and_b64 vcc, exec, s[0:1]
	s_cbranch_vccnz .LBB70_2198
; %bb.2134:
	s_andn2_b64 vcc, exec, s[14:15]
	s_cbranch_vccnz .LBB70_2136
.LBB70_2135:
	global_load_ubyte v6, v[10:11], off
	v_mov_b32_e32 v9, 0x3ff00000
	v_mov_b32_e32 v8, 0
	s_mov_b64 s[16:17], -1
	s_waitcnt vmcnt(0)
	v_cmp_ne_u16_e32 vcc, 0, v6
	v_cndmask_b32_e32 v9, 0, v9, vcc
.LBB70_2136:
	s_mov_b64 s[0:1], 0
.LBB70_2137:
	s_and_b64 vcc, exec, s[0:1]
	s_cbranch_vccz .LBB70_2186
; %bb.2138:
	v_mov_b32_e32 v6, 5
	v_cmp_lt_i16_sdwa s[0:1], v16, v6 src0_sel:BYTE_0 src1_sel:DWORD
	s_and_b64 vcc, exec, s[0:1]
	s_cbranch_vccnz .LBB70_2143
; %bb.2139:
	v_mov_b32_e32 v6, 8
	v_cmp_lt_i16_sdwa s[0:1], v16, v6 src0_sel:BYTE_0 src1_sel:DWORD
	s_and_b64 vcc, exec, s[0:1]
	s_cbranch_vccnz .LBB70_2144
	;; [unrolled: 5-line block ×3, first 2 shown]
; %bb.2141:
	v_cmp_gt_i16_sdwa s[0:1], v16, v6 src0_sel:BYTE_0 src1_sel:DWORD
	s_and_b64 vcc, exec, s[0:1]
	s_cbranch_vccz .LBB70_2146
; %bb.2142:
	global_load_dwordx2 v[8:9], v[10:11], off
	s_mov_b64 s[0:1], 0
	s_branch .LBB70_2147
.LBB70_2143:
	s_mov_b64 s[0:1], -1
                                        ; implicit-def: $vgpr8_vgpr9
	s_branch .LBB70_2165
.LBB70_2144:
	s_mov_b64 s[0:1], -1
                                        ; implicit-def: $vgpr8_vgpr9
	s_branch .LBB70_2153
.LBB70_2145:
	s_mov_b64 s[0:1], -1
                                        ; implicit-def: $vgpr8_vgpr9
	s_branch .LBB70_2150
.LBB70_2146:
	s_mov_b64 s[0:1], -1
                                        ; implicit-def: $vgpr8_vgpr9
.LBB70_2147:
	s_andn2_b64 vcc, exec, s[0:1]
	s_cbranch_vccnz .LBB70_2149
; %bb.2148:
	global_load_dword v6, v[10:11], off
	s_waitcnt vmcnt(0)
	v_cvt_f64_f32_e32 v[8:9], v6
.LBB70_2149:
	s_mov_b64 s[0:1], 0
.LBB70_2150:
	s_andn2_b64 vcc, exec, s[0:1]
	s_cbranch_vccnz .LBB70_2152
; %bb.2151:
	global_load_dword v6, v[10:11], off
	s_waitcnt vmcnt(0)
	v_cvt_f32_f16_e32 v6, v6
	v_cvt_f64_f32_e32 v[8:9], v6
.LBB70_2152:
	s_mov_b64 s[0:1], 0
.LBB70_2153:
	s_andn2_b64 vcc, exec, s[0:1]
	s_cbranch_vccnz .LBB70_2164
; %bb.2154:
	v_mov_b32_e32 v6, 6
	v_cmp_lt_i16_sdwa s[0:1], v16, v6 src0_sel:BYTE_0 src1_sel:DWORD
	s_and_b64 vcc, exec, s[0:1]
	s_cbranch_vccnz .LBB70_2157
; %bb.2155:
	v_cmp_gt_i16_sdwa s[0:1], v16, v6 src0_sel:BYTE_0 src1_sel:DWORD
	s_and_b64 vcc, exec, s[0:1]
	s_cbranch_vccz .LBB70_2158
; %bb.2156:
	global_load_dwordx2 v[8:9], v[10:11], off
	s_mov_b64 s[0:1], 0
	s_branch .LBB70_2159
.LBB70_2157:
	s_mov_b64 s[0:1], -1
                                        ; implicit-def: $vgpr8_vgpr9
	s_branch .LBB70_2162
.LBB70_2158:
	s_mov_b64 s[0:1], -1
                                        ; implicit-def: $vgpr8_vgpr9
.LBB70_2159:
	s_andn2_b64 vcc, exec, s[0:1]
	s_cbranch_vccnz .LBB70_2161
; %bb.2160:
	global_load_dword v6, v[10:11], off
	s_waitcnt vmcnt(0)
	v_cvt_f64_f32_e32 v[8:9], v6
.LBB70_2161:
	s_mov_b64 s[0:1], 0
.LBB70_2162:
	s_andn2_b64 vcc, exec, s[0:1]
	s_cbranch_vccnz .LBB70_2164
; %bb.2163:
	global_load_ushort v6, v[10:11], off
	s_waitcnt vmcnt(0)
	v_cvt_f32_f16_e32 v6, v6
	v_cvt_f64_f32_e32 v[8:9], v6
.LBB70_2164:
	s_mov_b64 s[0:1], 0
.LBB70_2165:
	s_andn2_b64 vcc, exec, s[0:1]
	s_cbranch_vccnz .LBB70_2185
; %bb.2166:
	v_mov_b32_e32 v6, 2
	v_cmp_lt_i16_sdwa s[0:1], v16, v6 src0_sel:BYTE_0 src1_sel:DWORD
	s_and_b64 vcc, exec, s[0:1]
	s_cbranch_vccnz .LBB70_2170
; %bb.2167:
	v_mov_b32_e32 v6, 3
	v_cmp_lt_i16_sdwa s[0:1], v16, v6 src0_sel:BYTE_0 src1_sel:DWORD
	s_and_b64 vcc, exec, s[0:1]
	s_cbranch_vccnz .LBB70_2171
; %bb.2168:
	v_cmp_gt_i16_sdwa s[0:1], v16, v6 src0_sel:BYTE_0 src1_sel:DWORD
	s_and_b64 vcc, exec, s[0:1]
	s_cbranch_vccz .LBB70_2172
; %bb.2169:
	global_load_dwordx2 v[8:9], v[10:11], off
	s_mov_b64 s[0:1], 0
	s_waitcnt vmcnt(0)
	v_cvt_f64_i32_e32 v[14:15], v9
	v_cvt_f64_u32_e32 v[8:9], v8
	v_ldexp_f64 v[14:15], v[14:15], 32
	v_add_f64 v[8:9], v[14:15], v[8:9]
	s_branch .LBB70_2173
.LBB70_2170:
	s_mov_b64 s[0:1], -1
                                        ; implicit-def: $vgpr8_vgpr9
	s_branch .LBB70_2179
.LBB70_2171:
	s_mov_b64 s[0:1], -1
                                        ; implicit-def: $vgpr8_vgpr9
	s_branch .LBB70_2176
.LBB70_2172:
	s_mov_b64 s[0:1], -1
                                        ; implicit-def: $vgpr8_vgpr9
.LBB70_2173:
	s_andn2_b64 vcc, exec, s[0:1]
	s_cbranch_vccnz .LBB70_2175
; %bb.2174:
	global_load_dword v6, v[10:11], off
	s_waitcnt vmcnt(0)
	v_cvt_f64_i32_e32 v[8:9], v6
.LBB70_2175:
	s_mov_b64 s[0:1], 0
.LBB70_2176:
	s_andn2_b64 vcc, exec, s[0:1]
	s_cbranch_vccnz .LBB70_2178
; %bb.2177:
	global_load_sshort v6, v[10:11], off
	s_waitcnt vmcnt(0)
	v_cvt_f64_i32_e32 v[8:9], v6
.LBB70_2178:
	s_mov_b64 s[0:1], 0
.LBB70_2179:
	s_andn2_b64 vcc, exec, s[0:1]
	s_cbranch_vccnz .LBB70_2185
; %bb.2180:
	v_mov_b32_e32 v6, 0
	v_cmp_gt_i16_sdwa s[0:1], v16, v6 src0_sel:BYTE_0 src1_sel:DWORD
	s_and_b64 vcc, exec, s[0:1]
	s_cbranch_vccz .LBB70_2182
; %bb.2181:
	global_load_sbyte v6, v[10:11], off
	s_mov_b64 s[0:1], 0
	s_waitcnt vmcnt(0)
	v_cvt_f64_i32_e32 v[8:9], v6
	s_branch .LBB70_2183
.LBB70_2182:
	s_mov_b64 s[0:1], -1
                                        ; implicit-def: $vgpr8_vgpr9
.LBB70_2183:
	s_andn2_b64 vcc, exec, s[0:1]
	s_cbranch_vccnz .LBB70_2185
; %bb.2184:
	global_load_ubyte v6, v[10:11], off
	s_waitcnt vmcnt(0)
	v_cvt_f64_u32_e32 v[8:9], v6
.LBB70_2185:
	s_mov_b64 s[16:17], -1
.LBB70_2186:
	s_andn2_b64 vcc, exec, s[16:17]
	s_cbranch_vccnz .LBB70_3032
; %bb.2187:
	v_add_u32_e32 v6, s26, v12
	v_ashrrev_i32_e32 v10, 31, v6
	v_mov_b32_e32 v11, s3
	v_add_co_u32_e32 v12, vcc, s2, v6
	v_addc_co_u32_e32 v13, vcc, v11, v10, vcc
	v_mov_b32_e32 v10, 11
	v_cmp_lt_i16_sdwa s[0:1], v20, v10 src0_sel:BYTE_0 src1_sel:DWORD
	s_and_b64 vcc, exec, s[0:1]
	s_cbranch_vccnz .LBB70_2194
; %bb.2188:
	v_mov_b32_e32 v10, 25
	v_cmp_gt_i16_sdwa s[0:1], v20, v10 src0_sel:BYTE_0 src1_sel:DWORD
	s_mov_b64 s[14:15], 0
	s_and_b64 vcc, exec, s[0:1]
	s_cbranch_vccz .LBB70_2195
; %bb.2189:
	v_mov_b32_e32 v10, 28
	v_cmp_gt_i16_sdwa s[0:1], v20, v10 src0_sel:BYTE_0 src1_sel:DWORD
	s_and_b64 vcc, exec, s[0:1]
	s_cbranch_vccz .LBB70_2196
; %bb.2190:
	v_mov_b32_e32 v10, 43
	v_cmp_gt_i16_sdwa s[0:1], v20, v10 src0_sel:BYTE_0 src1_sel:DWORD
	;; [unrolled: 5-line block ×3, first 2 shown]
	s_and_b64 vcc, exec, s[0:1]
	s_cbranch_vccz .LBB70_2199
; %bb.2192:
	v_mov_b32_e32 v10, 46
	v_cmp_eq_u16_sdwa s[0:1], v20, v10 src0_sel:BYTE_0 src1_sel:DWORD
	s_mov_b64 s[20:21], 0
	s_and_b64 vcc, exec, s[0:1]
	s_cbranch_vccz .LBB70_2202
; %bb.2193:
	global_load_dword v10, v[12:13], off
	s_mov_b64 s[0:1], 0
	s_mov_b64 s[16:17], -1
	s_waitcnt vmcnt(0)
	v_lshlrev_b32_e32 v10, 16, v10
	v_cvt_f64_f32_e32 v[10:11], v10
	s_branch .LBB70_2203
.LBB70_2194:
	s_mov_b64 s[0:1], -1
	s_mov_b64 s[16:17], 0
                                        ; implicit-def: $vgpr10_vgpr11
	s_branch .LBB70_2269
.LBB70_2195:
	s_mov_b64 s[20:21], -1
	s_mov_b64 s[16:17], 0
	s_mov_b64 s[0:1], 0
                                        ; implicit-def: $vgpr10_vgpr11
	s_branch .LBB70_2232
.LBB70_2196:
	s_mov_b64 s[20:21], -1
	s_mov_b64 s[16:17], 0
	s_mov_b64 s[0:1], 0
                                        ; implicit-def: $vgpr10_vgpr11
	s_branch .LBB70_2213
.LBB70_2197:
	s_mov_b64 s[20:21], -1
	s_mov_b64 s[16:17], 0
	s_mov_b64 s[0:1], 0
                                        ; implicit-def: $vgpr10_vgpr11
	s_branch .LBB70_2208
.LBB70_2198:
	s_trap 2
	s_or_b64 s[18:19], s[18:19], exec
                                        ; implicit-def: $vgpr8_vgpr9
	s_cbranch_execz .LBB70_2135
	s_branch .LBB70_2136
.LBB70_2199:
	s_mov_b64 s[20:21], -1
	s_mov_b64 s[16:17], 0
	s_mov_b64 s[0:1], 0
                                        ; implicit-def: $vgpr10_vgpr11
	s_branch .LBB70_2203
.LBB70_2200:
	s_or_saveexec_b64 s[44:45], s[44:45]
                                        ; implicit-def: $sgpr15
	s_xor_b64 exec, exec, s[44:45]
	s_cbranch_execz .LBB70_1085
.LBB70_2201:
	s_mov_b32 s15, 0x42800000
	v_add_f32_e64 v3, |v2|, s15
	v_and_b32_e32 v3, 0xff, v3
	v_cmp_ne_u32_e32 vcc, 0, v3
	s_andn2_b64 s[42:43], s[42:43], exec
	s_and_b64 s[46:47], vcc, exec
	s_mov_b32 s15, 0
	s_or_b64 s[42:43], s[42:43], s[46:47]
	s_or_b64 exec, exec, s[44:45]
	v_mov_b32_e32 v6, s15
	s_and_saveexec_b64 s[44:45], s[42:43]
	s_cbranch_execnz .LBB70_1086
	s_branch .LBB70_1087
.LBB70_2202:
	s_mov_b64 s[0:1], -1
                                        ; implicit-def: $vgpr10_vgpr11
	s_mov_b64 s[16:17], 0
.LBB70_2203:
	s_and_b64 vcc, exec, s[20:21]
	s_cbranch_vccz .LBB70_2207
; %bb.2204:
	v_mov_b32_e32 v10, 44
	v_cmp_eq_u16_sdwa s[0:1], v20, v10 src0_sel:BYTE_0 src1_sel:DWORD
	s_and_b64 vcc, exec, s[0:1]
	s_cbranch_vccz .LBB70_2206
; %bb.2205:
	global_load_ubyte v14, v[12:13], off
	s_movk_i32 s16, 0xff
	v_mov_b32_e32 v15, 0x7ff80000
	v_bfrev_b32_e32 v17, 28
	s_mov_b64 s[0:1], 0
	s_waitcnt vmcnt(0)
	v_lshlrev_b32_e32 v10, 23, v14
	v_cvt_f64_f32_e32 v[10:11], v10
	v_cmp_ne_u32_e32 vcc, s16, v14
	v_cndmask_b32_e32 v10, v15, v11, vcc
	v_cmp_ne_u32_e32 vcc, 0, v14
	v_cndmask_b32_e32 v11, v17, v10, vcc
	s_mov_b64 s[16:17], -1
	s_branch .LBB70_2207
.LBB70_2206:
	s_mov_b64 s[0:1], -1
                                        ; implicit-def: $vgpr10_vgpr11
.LBB70_2207:
	s_mov_b64 s[20:21], 0
.LBB70_2208:
	s_and_b64 vcc, exec, s[20:21]
	s_cbranch_vccz .LBB70_2212
; %bb.2209:
	v_mov_b32_e32 v10, 29
	v_cmp_eq_u16_sdwa s[0:1], v20, v10 src0_sel:BYTE_0 src1_sel:DWORD
	s_and_b64 vcc, exec, s[0:1]
	s_cbranch_vccz .LBB70_2211
; %bb.2210:
	global_load_dwordx2 v[10:11], v[12:13], off
	s_mov_b64 s[0:1], 0
	s_mov_b64 s[16:17], -1
	s_mov_b64 s[20:21], 0
	s_waitcnt vmcnt(0)
	v_cvt_f64_u32_e32 v[14:15], v11
	v_cvt_f64_u32_e32 v[10:11], v10
	v_ldexp_f64 v[14:15], v[14:15], 32
	v_add_f64 v[10:11], v[14:15], v[10:11]
	s_branch .LBB70_2213
.LBB70_2211:
	s_mov_b64 s[0:1], -1
                                        ; implicit-def: $vgpr10_vgpr11
.LBB70_2212:
	s_mov_b64 s[20:21], 0
.LBB70_2213:
	s_and_b64 vcc, exec, s[20:21]
	s_cbranch_vccz .LBB70_2231
; %bb.2214:
	v_mov_b32_e32 v10, 27
	v_cmp_lt_i16_sdwa s[16:17], v20, v10 src0_sel:BYTE_0 src1_sel:DWORD
	s_and_b64 vcc, exec, s[16:17]
	s_cbranch_vccnz .LBB70_2217
; %bb.2215:
	v_cmp_gt_i16_sdwa s[16:17], v20, v10 src0_sel:BYTE_0 src1_sel:DWORD
	s_and_b64 vcc, exec, s[16:17]
	s_cbranch_vccz .LBB70_2218
; %bb.2216:
	global_load_dword v10, v[12:13], off
	s_mov_b64 s[16:17], 0
	s_waitcnt vmcnt(0)
	v_cvt_f64_u32_e32 v[10:11], v10
	s_branch .LBB70_2219
.LBB70_2217:
	s_mov_b64 s[16:17], -1
                                        ; implicit-def: $vgpr10_vgpr11
	s_branch .LBB70_2222
.LBB70_2218:
	s_mov_b64 s[16:17], -1
                                        ; implicit-def: $vgpr10_vgpr11
.LBB70_2219:
	s_andn2_b64 vcc, exec, s[16:17]
	s_cbranch_vccnz .LBB70_2221
; %bb.2220:
	global_load_ushort v10, v[12:13], off
	s_waitcnt vmcnt(0)
	v_cvt_f64_u32_e32 v[10:11], v10
.LBB70_2221:
	s_mov_b64 s[16:17], 0
.LBB70_2222:
	s_andn2_b64 vcc, exec, s[16:17]
	s_cbranch_vccnz .LBB70_2230
; %bb.2223:
	global_load_ubyte v14, v[12:13], off
	s_movk_i32 s16, 0x7f
                                        ; implicit-def: $sgpr20_sgpr21
	s_waitcnt vmcnt(0)
	v_cmp_lt_i16_e32 vcc, s16, v14
	s_mov_b64 s[16:17], 0
	s_and_saveexec_b64 s[22:23], vcc
	s_xor_b64 s[22:23], exec, s[22:23]
	s_cbranch_execz .LBB70_2244
; %bb.2224:
	s_movk_i32 s16, 0x80
	v_cmp_eq_u16_e32 vcc, s16, v14
	s_mov_b64 s[24:25], -1
                                        ; implicit-def: $sgpr20_sgpr21
	s_and_saveexec_b64 s[16:17], vcc
; %bb.2225:
	s_mov_b32 s21, 0x7ff80000
	s_brev_b32 s20, 4
	s_xor_b64 s[24:25], exec, -1
; %bb.2226:
	s_or_b64 exec, exec, s[16:17]
	s_and_b64 s[16:17], s[24:25], exec
	s_or_saveexec_b64 s[22:23], s[22:23]
	v_pk_mov_b32 v[10:11], s[20:21], s[20:21] op_sel:[0,1]
	s_xor_b64 exec, exec, s[22:23]
	s_cbranch_execnz .LBB70_2245
.LBB70_2227:
	s_or_b64 exec, exec, s[22:23]
	s_and_saveexec_b64 s[20:21], s[16:17]
	s_cbranch_execz .LBB70_2229
.LBB70_2228:
	v_and_b32_e32 v11, 0xffff, v14
	v_lshlrev_b32_e32 v10, 24, v14
	v_and_b32_e32 v14, 7, v11
	v_ffbh_u32_e32 v17, v14
	v_min_u32_e32 v17, 32, v17
	v_subrev_u32_e32 v21, 28, v17
	v_bfe_u32 v15, v11, 3, 4
	v_lshlrev_b32_e32 v11, v21, v11
	v_sub_u32_e32 v17, 29, v17
	v_and_b32_e32 v11, 7, v11
	v_cmp_eq_u32_e32 vcc, 0, v15
	v_cndmask_b32_e32 v15, v15, v17, vcc
	v_cndmask_b32_e32 v11, v14, v11, vcc
	v_mov_b32_e32 v14, 0x3b800000
	v_lshlrev_b32_e32 v11, 20, v11
	v_and_b32_e32 v10, 0x80000000, v10
	v_lshl_add_u32 v14, v15, 23, v14
	v_or3_b32 v10, v10, v14, v11
	v_cvt_f64_f32_e32 v[10:11], v10
.LBB70_2229:
	s_or_b64 exec, exec, s[20:21]
.LBB70_2230:
	s_mov_b64 s[16:17], -1
.LBB70_2231:
	s_mov_b64 s[20:21], 0
.LBB70_2232:
	s_and_b64 vcc, exec, s[20:21]
	s_cbranch_vccz .LBB70_2265
; %bb.2233:
	v_mov_b32_e32 v10, 22
	v_cmp_gt_i16_sdwa s[14:15], v20, v10 src0_sel:BYTE_0 src1_sel:DWORD
	s_and_b64 vcc, exec, s[14:15]
	s_cbranch_vccz .LBB70_2243
; %bb.2234:
	v_mov_b32_e32 v10, 24
	v_cmp_lt_i16_sdwa s[14:15], v20, v10 src0_sel:BYTE_0 src1_sel:DWORD
	s_and_b64 vcc, exec, s[14:15]
	s_cbranch_vccnz .LBB70_2246
; %bb.2235:
	v_cmp_gt_i16_sdwa s[14:15], v20, v10 src0_sel:BYTE_0 src1_sel:DWORD
	s_and_b64 vcc, exec, s[14:15]
	s_cbranch_vccz .LBB70_2247
; %bb.2236:
	global_load_ubyte v14, v[12:13], off
	s_movk_i32 s14, 0x7f
                                        ; implicit-def: $sgpr16_sgpr17
	s_waitcnt vmcnt(0)
	v_cmp_lt_i16_e32 vcc, s14, v14
	s_mov_b64 s[14:15], 0
	s_and_saveexec_b64 s[20:21], vcc
	s_xor_b64 s[20:21], exec, s[20:21]
	s_cbranch_execz .LBB70_2259
; %bb.2237:
	s_movk_i32 s14, 0x80
	v_cmp_eq_u16_e32 vcc, s14, v14
	s_mov_b64 s[22:23], -1
                                        ; implicit-def: $sgpr16_sgpr17
	s_and_saveexec_b64 s[14:15], vcc
; %bb.2238:
	s_mov_b32 s17, 0x7ff80000
	s_brev_b32 s16, 4
	s_xor_b64 s[22:23], exec, -1
; %bb.2239:
	s_or_b64 exec, exec, s[14:15]
	s_and_b64 s[14:15], s[22:23], exec
	s_or_saveexec_b64 s[20:21], s[20:21]
	v_pk_mov_b32 v[10:11], s[16:17], s[16:17] op_sel:[0,1]
	s_xor_b64 exec, exec, s[20:21]
	s_cbranch_execnz .LBB70_2260
.LBB70_2240:
	s_or_b64 exec, exec, s[20:21]
	s_and_saveexec_b64 s[16:17], s[14:15]
	s_cbranch_execz .LBB70_2242
.LBB70_2241:
	v_and_b32_e32 v11, 0xffff, v14
	v_lshlrev_b32_e32 v10, 24, v14
	v_and_b32_e32 v14, 3, v11
	v_ffbh_u32_e32 v17, v14
	v_min_u32_e32 v17, 32, v17
	v_subrev_u32_e32 v21, 29, v17
	v_bfe_u32 v15, v11, 2, 5
	v_lshlrev_b32_e32 v11, v21, v11
	v_sub_u32_e32 v17, 30, v17
	v_and_b32_e32 v11, 3, v11
	v_cmp_eq_u32_e32 vcc, 0, v15
	v_cndmask_b32_e32 v15, v15, v17, vcc
	v_cndmask_b32_e32 v11, v14, v11, vcc
	v_mov_b32_e32 v14, 0x37800000
	v_lshlrev_b32_e32 v11, 21, v11
	v_and_b32_e32 v10, 0x80000000, v10
	v_lshl_add_u32 v14, v15, 23, v14
	v_or3_b32 v10, v10, v14, v11
	v_cvt_f64_f32_e32 v[10:11], v10
.LBB70_2242:
	s_or_b64 exec, exec, s[16:17]
	s_mov_b64 s[14:15], 0
	s_branch .LBB70_2248
.LBB70_2243:
	s_mov_b64 s[14:15], -1
                                        ; implicit-def: $vgpr10_vgpr11
	s_branch .LBB70_2254
.LBB70_2244:
	s_or_saveexec_b64 s[22:23], s[22:23]
	v_pk_mov_b32 v[10:11], s[20:21], s[20:21] op_sel:[0,1]
	s_xor_b64 exec, exec, s[22:23]
	s_cbranch_execz .LBB70_2227
.LBB70_2245:
	v_cmp_ne_u16_e32 vcc, 0, v14
	s_andn2_b64 s[16:17], s[16:17], exec
	s_and_b64 s[20:21], vcc, exec
	v_pk_mov_b32 v[10:11], 0, 0
	s_or_b64 s[16:17], s[16:17], s[20:21]
	s_or_b64 exec, exec, s[22:23]
	s_and_saveexec_b64 s[20:21], s[16:17]
	s_cbranch_execnz .LBB70_2228
	s_branch .LBB70_2229
.LBB70_2246:
	s_mov_b64 s[14:15], -1
                                        ; implicit-def: $vgpr10_vgpr11
	s_branch .LBB70_2251
.LBB70_2247:
	s_mov_b64 s[14:15], -1
                                        ; implicit-def: $vgpr10_vgpr11
.LBB70_2248:
	s_and_b64 vcc, exec, s[14:15]
	s_cbranch_vccz .LBB70_2250
; %bb.2249:
	global_load_ubyte v10, v[12:13], off
	s_mov_b32 s14, 0x7f800000
	s_waitcnt vmcnt(0)
	v_lshlrev_b32_e32 v10, 24, v10
	v_and_b32_e32 v11, 0x7f000000, v10
	v_ffbh_u32_e32 v14, v11
	v_min_u32_e32 v14, 32, v14
	v_sub_u32_e64 v14, v14, 4 clamp
	v_lshlrev_b32_e32 v17, v14, v11
	v_lshlrev_b32_e32 v14, 23, v14
	v_lshrrev_b32_e32 v17, 4, v17
	v_add_u32_e32 v15, 0x1000000, v11
	v_sub_u32_e32 v14, v17, v14
	v_ashrrev_i32_e32 v15, 8, v15
	v_add_u32_e32 v14, 0x3c000000, v14
	v_and_or_b32 v14, v15, s14, v14
	v_cmp_ne_u32_e32 vcc, 0, v11
	v_cndmask_b32_e32 v11, 0, v14, vcc
	s_brev_b32 s14, 1
	v_and_or_b32 v10, v10, s14, v11
	v_cvt_f64_f32_e32 v[10:11], v10
.LBB70_2250:
	s_mov_b64 s[14:15], 0
.LBB70_2251:
	s_andn2_b64 vcc, exec, s[14:15]
	s_cbranch_vccnz .LBB70_2253
; %bb.2252:
	global_load_ubyte v10, v[12:13], off
	s_movk_i32 s14, 0x7f00
	s_brev_b32 s15, 16
	s_waitcnt vmcnt(0)
	v_lshlrev_b16_e32 v11, 8, v10
	v_lshlrev_b32_e32 v10, 25, v10
	v_lshrrev_b32_e32 v14, 4, v10
	v_and_or_b32 v15, v11, s14, 0.5
	v_or_b32_e32 v14, 0x70000000, v14
	v_add_f32_e32 v15, -0.5, v15
	v_mul_f32_e32 v14, 0x7800000, v14
	v_cmp_gt_u32_e32 vcc, s15, v10
	v_bfe_i32 v11, v11, 0, 16
	v_cndmask_b32_e32 v10, v14, v15, vcc
	s_brev_b32 s14, 1
	v_and_or_b32 v10, v11, s14, v10
	v_cvt_f64_f32_e32 v[10:11], v10
.LBB70_2253:
	s_mov_b64 s[14:15], 0
	s_mov_b64 s[16:17], -1
.LBB70_2254:
	s_andn2_b64 vcc, exec, s[14:15]
	s_mov_b64 s[14:15], 0
	s_cbranch_vccnz .LBB70_2265
; %bb.2255:
	v_mov_b32_e32 v10, 14
	v_cmp_gt_i16_sdwa s[14:15], v20, v10 src0_sel:BYTE_0 src1_sel:DWORD
	s_and_b64 vcc, exec, s[14:15]
	s_cbranch_vccz .LBB70_2258
; %bb.2256:
	v_mov_b32_e32 v10, 15
	v_cmp_eq_u16_sdwa s[0:1], v20, v10 src0_sel:BYTE_0 src1_sel:DWORD
	s_and_b64 vcc, exec, s[0:1]
	s_cbranch_vccz .LBB70_2261
; %bb.2257:
	global_load_ushort v10, v[12:13], off
	s_mov_b64 s[0:1], 0
	s_mov_b64 s[16:17], -1
	s_waitcnt vmcnt(0)
	v_lshlrev_b32_e32 v10, 16, v10
	v_cvt_f64_f32_e32 v[10:11], v10
	s_branch .LBB70_2262
.LBB70_2258:
	s_mov_b64 s[20:21], -1
                                        ; implicit-def: $vgpr10_vgpr11
	s_branch .LBB70_2263
.LBB70_2259:
	s_or_saveexec_b64 s[20:21], s[20:21]
	v_pk_mov_b32 v[10:11], s[16:17], s[16:17] op_sel:[0,1]
	s_xor_b64 exec, exec, s[20:21]
	s_cbranch_execz .LBB70_2240
.LBB70_2260:
	v_cmp_ne_u16_e32 vcc, 0, v14
	s_andn2_b64 s[14:15], s[14:15], exec
	s_and_b64 s[16:17], vcc, exec
	v_pk_mov_b32 v[10:11], 0, 0
	s_or_b64 s[14:15], s[14:15], s[16:17]
	s_or_b64 exec, exec, s[20:21]
	s_and_saveexec_b64 s[16:17], s[14:15]
	s_cbranch_execnz .LBB70_2241
	s_branch .LBB70_2242
.LBB70_2261:
	s_mov_b64 s[0:1], -1
                                        ; implicit-def: $vgpr10_vgpr11
.LBB70_2262:
	s_mov_b64 s[20:21], 0
.LBB70_2263:
	s_mov_b64 s[14:15], 0
	s_and_b64 vcc, exec, s[20:21]
	s_cbranch_vccz .LBB70_2265
; %bb.2264:
	v_mov_b32_e32 v10, 11
	v_cmp_ne_u16_sdwa s[0:1], v20, v10 src0_sel:BYTE_0 src1_sel:DWORD
	s_mov_b64 s[14:15], -1
                                        ; implicit-def: $vgpr10_vgpr11
.LBB70_2265:
	s_and_b64 vcc, exec, s[0:1]
	s_cbranch_vccnz .LBB70_2330
; %bb.2266:
	s_andn2_b64 vcc, exec, s[14:15]
	s_cbranch_vccnz .LBB70_2268
.LBB70_2267:
	global_load_ubyte v10, v[12:13], off
	v_mov_b32_e32 v11, 0x3ff00000
	s_mov_b64 s[16:17], -1
	s_waitcnt vmcnt(0)
	v_cmp_ne_u16_e32 vcc, 0, v10
	v_cndmask_b32_e32 v11, 0, v11, vcc
.LBB70_2268:
	s_mov_b64 s[0:1], 0
.LBB70_2269:
	s_and_b64 vcc, exec, s[0:1]
	s_cbranch_vccz .LBB70_2318
; %bb.2270:
	v_mov_b32_e32 v10, 5
	v_cmp_lt_i16_sdwa s[0:1], v20, v10 src0_sel:BYTE_0 src1_sel:DWORD
	s_and_b64 vcc, exec, s[0:1]
	s_cbranch_vccnz .LBB70_2275
; %bb.2271:
	v_mov_b32_e32 v10, 8
	v_cmp_lt_i16_sdwa s[0:1], v20, v10 src0_sel:BYTE_0 src1_sel:DWORD
	s_and_b64 vcc, exec, s[0:1]
	s_cbranch_vccnz .LBB70_2276
	;; [unrolled: 5-line block ×3, first 2 shown]
; %bb.2273:
	v_cmp_gt_i16_sdwa s[0:1], v20, v10 src0_sel:BYTE_0 src1_sel:DWORD
	s_and_b64 vcc, exec, s[0:1]
	s_cbranch_vccz .LBB70_2278
; %bb.2274:
	global_load_dwordx2 v[10:11], v[12:13], off
	s_mov_b64 s[0:1], 0
	s_branch .LBB70_2279
.LBB70_2275:
	s_mov_b64 s[0:1], -1
                                        ; implicit-def: $vgpr10_vgpr11
	s_branch .LBB70_2297
.LBB70_2276:
	s_mov_b64 s[0:1], -1
                                        ; implicit-def: $vgpr10_vgpr11
	s_branch .LBB70_2285
.LBB70_2277:
	s_mov_b64 s[0:1], -1
                                        ; implicit-def: $vgpr10_vgpr11
	s_branch .LBB70_2282
.LBB70_2278:
	s_mov_b64 s[0:1], -1
                                        ; implicit-def: $vgpr10_vgpr11
.LBB70_2279:
	s_andn2_b64 vcc, exec, s[0:1]
	s_cbranch_vccnz .LBB70_2281
; %bb.2280:
	global_load_dword v10, v[12:13], off
	s_waitcnt vmcnt(0)
	v_cvt_f64_f32_e32 v[10:11], v10
.LBB70_2281:
	s_mov_b64 s[0:1], 0
.LBB70_2282:
	s_andn2_b64 vcc, exec, s[0:1]
	s_cbranch_vccnz .LBB70_2284
; %bb.2283:
	global_load_dword v10, v[12:13], off
	s_waitcnt vmcnt(0)
	v_cvt_f32_f16_e32 v10, v10
	v_cvt_f64_f32_e32 v[10:11], v10
.LBB70_2284:
	s_mov_b64 s[0:1], 0
.LBB70_2285:
	s_andn2_b64 vcc, exec, s[0:1]
	s_cbranch_vccnz .LBB70_2296
; %bb.2286:
	s_waitcnt vmcnt(0)
	v_mov_b32_e32 v10, 6
	v_cmp_lt_i16_sdwa s[0:1], v20, v10 src0_sel:BYTE_0 src1_sel:DWORD
	s_and_b64 vcc, exec, s[0:1]
	s_cbranch_vccnz .LBB70_2289
; %bb.2287:
	v_cmp_gt_i16_sdwa s[0:1], v20, v10 src0_sel:BYTE_0 src1_sel:DWORD
	s_and_b64 vcc, exec, s[0:1]
	s_cbranch_vccz .LBB70_2290
; %bb.2288:
	global_load_dwordx2 v[10:11], v[12:13], off
	s_mov_b64 s[0:1], 0
	s_branch .LBB70_2291
.LBB70_2289:
	s_mov_b64 s[0:1], -1
                                        ; implicit-def: $vgpr10_vgpr11
	s_branch .LBB70_2294
.LBB70_2290:
	s_mov_b64 s[0:1], -1
                                        ; implicit-def: $vgpr10_vgpr11
.LBB70_2291:
	s_andn2_b64 vcc, exec, s[0:1]
	s_cbranch_vccnz .LBB70_2293
; %bb.2292:
	global_load_dword v10, v[12:13], off
	s_waitcnt vmcnt(0)
	v_cvt_f64_f32_e32 v[10:11], v10
.LBB70_2293:
	s_mov_b64 s[0:1], 0
.LBB70_2294:
	s_andn2_b64 vcc, exec, s[0:1]
	s_cbranch_vccnz .LBB70_2296
; %bb.2295:
	global_load_ushort v10, v[12:13], off
	s_waitcnt vmcnt(0)
	v_cvt_f32_f16_e32 v10, v10
	v_cvt_f64_f32_e32 v[10:11], v10
.LBB70_2296:
	s_mov_b64 s[0:1], 0
.LBB70_2297:
	s_andn2_b64 vcc, exec, s[0:1]
	s_cbranch_vccnz .LBB70_2317
; %bb.2298:
	s_waitcnt vmcnt(0)
	v_mov_b32_e32 v10, 2
	v_cmp_lt_i16_sdwa s[0:1], v20, v10 src0_sel:BYTE_0 src1_sel:DWORD
	s_and_b64 vcc, exec, s[0:1]
	s_cbranch_vccnz .LBB70_2302
; %bb.2299:
	v_mov_b32_e32 v10, 3
	v_cmp_lt_i16_sdwa s[0:1], v20, v10 src0_sel:BYTE_0 src1_sel:DWORD
	s_and_b64 vcc, exec, s[0:1]
	s_cbranch_vccnz .LBB70_2303
; %bb.2300:
	v_cmp_gt_i16_sdwa s[0:1], v20, v10 src0_sel:BYTE_0 src1_sel:DWORD
	s_and_b64 vcc, exec, s[0:1]
	s_cbranch_vccz .LBB70_2304
; %bb.2301:
	global_load_dwordx2 v[10:11], v[12:13], off
	s_mov_b64 s[0:1], 0
	s_waitcnt vmcnt(0)
	v_cvt_f64_i32_e32 v[14:15], v11
	v_cvt_f64_u32_e32 v[10:11], v10
	v_ldexp_f64 v[14:15], v[14:15], 32
	v_add_f64 v[10:11], v[14:15], v[10:11]
	s_branch .LBB70_2305
.LBB70_2302:
	s_mov_b64 s[0:1], -1
                                        ; implicit-def: $vgpr10_vgpr11
	s_branch .LBB70_2311
.LBB70_2303:
	s_mov_b64 s[0:1], -1
                                        ; implicit-def: $vgpr10_vgpr11
	s_branch .LBB70_2308
.LBB70_2304:
	s_mov_b64 s[0:1], -1
                                        ; implicit-def: $vgpr10_vgpr11
.LBB70_2305:
	s_andn2_b64 vcc, exec, s[0:1]
	s_cbranch_vccnz .LBB70_2307
; %bb.2306:
	global_load_dword v10, v[12:13], off
	s_waitcnt vmcnt(0)
	v_cvt_f64_i32_e32 v[10:11], v10
.LBB70_2307:
	s_mov_b64 s[0:1], 0
.LBB70_2308:
	s_andn2_b64 vcc, exec, s[0:1]
	s_cbranch_vccnz .LBB70_2310
; %bb.2309:
	global_load_sshort v10, v[12:13], off
	s_waitcnt vmcnt(0)
	v_cvt_f64_i32_e32 v[10:11], v10
.LBB70_2310:
	s_mov_b64 s[0:1], 0
.LBB70_2311:
	s_andn2_b64 vcc, exec, s[0:1]
	s_cbranch_vccnz .LBB70_2317
; %bb.2312:
	v_mov_b32_e32 v10, 0
	v_cmp_gt_i16_sdwa s[0:1], v20, v10 src0_sel:BYTE_0 src1_sel:DWORD
	s_and_b64 vcc, exec, s[0:1]
	s_cbranch_vccz .LBB70_2314
; %bb.2313:
	global_load_sbyte v10, v[12:13], off
	s_mov_b64 s[0:1], 0
	s_waitcnt vmcnt(0)
	v_cvt_f64_i32_e32 v[10:11], v10
	s_branch .LBB70_2315
.LBB70_2314:
	s_mov_b64 s[0:1], -1
                                        ; implicit-def: $vgpr10_vgpr11
.LBB70_2315:
	s_andn2_b64 vcc, exec, s[0:1]
	s_cbranch_vccnz .LBB70_2317
; %bb.2316:
	global_load_ubyte v10, v[12:13], off
	s_waitcnt vmcnt(0)
	v_cvt_f64_u32_e32 v[10:11], v10
.LBB70_2317:
	s_mov_b64 s[16:17], -1
.LBB70_2318:
	s_andn2_b64 vcc, exec, s[16:17]
	s_cbranch_vccnz .LBB70_3032
; %bb.2319:
	v_add_u32_e32 v2, s13, v2
	s_waitcnt vmcnt(0)
	v_ashrrev_i32_e32 v10, 31, v2
	v_mov_b32_e32 v12, s11
	v_add_co_u32_e32 v14, vcc, s10, v2
	v_mov_b32_e32 v2, 11
	v_addc_co_u32_e32 v15, vcc, v12, v10, vcc
	v_cmp_lt_i16_sdwa s[0:1], v16, v2 src0_sel:BYTE_0 src1_sel:DWORD
	s_and_b64 vcc, exec, s[0:1]
	s_cbranch_vccnz .LBB70_2326
; %bb.2320:
	v_mov_b32_e32 v2, 25
	v_cmp_gt_i16_sdwa s[0:1], v16, v2 src0_sel:BYTE_0 src1_sel:DWORD
	s_mov_b64 s[10:11], 0
	s_and_b64 vcc, exec, s[0:1]
	s_cbranch_vccz .LBB70_2327
; %bb.2321:
	v_mov_b32_e32 v2, 28
	v_cmp_gt_i16_sdwa s[0:1], v16, v2 src0_sel:BYTE_0 src1_sel:DWORD
	s_and_b64 vcc, exec, s[0:1]
	s_cbranch_vccz .LBB70_2328
; %bb.2322:
	v_mov_b32_e32 v2, 43
	v_cmp_gt_i16_sdwa s[0:1], v16, v2 src0_sel:BYTE_0 src1_sel:DWORD
	;; [unrolled: 5-line block ×3, first 2 shown]
	s_and_b64 vcc, exec, s[0:1]
	s_cbranch_vccz .LBB70_2331
; %bb.2324:
	v_mov_b32_e32 v2, 46
	v_cmp_eq_u16_sdwa s[0:1], v16, v2 src0_sel:BYTE_0 src1_sel:DWORD
	s_mov_b64 s[16:17], 0
	s_and_b64 vcc, exec, s[0:1]
	s_cbranch_vccz .LBB70_2332
; %bb.2325:
	global_load_dword v2, v[14:15], off
	s_mov_b64 s[0:1], 0
	s_mov_b64 s[14:15], -1
	s_waitcnt vmcnt(0)
	v_lshlrev_b32_e32 v2, 16, v2
	v_cvt_f64_f32_e32 v[12:13], v2
	s_branch .LBB70_2333
.LBB70_2326:
	s_mov_b64 s[0:1], -1
	s_mov_b64 s[14:15], 0
                                        ; implicit-def: $vgpr12_vgpr13
	s_branch .LBB70_2399
.LBB70_2327:
	s_mov_b64 s[16:17], -1
	s_mov_b64 s[14:15], 0
	s_mov_b64 s[0:1], 0
                                        ; implicit-def: $vgpr12_vgpr13
	s_branch .LBB70_2362
.LBB70_2328:
	s_mov_b64 s[16:17], -1
	s_mov_b64 s[14:15], 0
	s_mov_b64 s[0:1], 0
                                        ; implicit-def: $vgpr12_vgpr13
	s_branch .LBB70_2343
.LBB70_2329:
	s_mov_b64 s[16:17], -1
	s_mov_b64 s[14:15], 0
	s_mov_b64 s[0:1], 0
                                        ; implicit-def: $vgpr12_vgpr13
	s_branch .LBB70_2338
.LBB70_2330:
	s_trap 2
	s_or_b64 s[18:19], s[18:19], exec
                                        ; implicit-def: $vgpr10_vgpr11
	s_cbranch_execz .LBB70_2267
	s_branch .LBB70_2268
.LBB70_2331:
	s_mov_b64 s[16:17], -1
	s_mov_b64 s[14:15], 0
	s_mov_b64 s[0:1], 0
                                        ; implicit-def: $vgpr12_vgpr13
	s_branch .LBB70_2333
.LBB70_2332:
	s_mov_b64 s[0:1], -1
                                        ; implicit-def: $vgpr12_vgpr13
	s_mov_b64 s[14:15], 0
.LBB70_2333:
	s_and_b64 vcc, exec, s[16:17]
	s_cbranch_vccz .LBB70_2337
; %bb.2334:
	v_mov_b32_e32 v2, 44
	v_cmp_eq_u16_sdwa s[0:1], v16, v2 src0_sel:BYTE_0 src1_sel:DWORD
	s_and_b64 vcc, exec, s[0:1]
	s_cbranch_vccz .LBB70_2336
; %bb.2335:
	global_load_ubyte v2, v[14:15], off
	s_movk_i32 s13, 0xff
	v_bfrev_b32_e32 v10, 4
	v_mov_b32_e32 v17, 0x7ff80000
	v_bfrev_b32_e32 v21, 28
	s_mov_b64 s[0:1], 0
	s_mov_b64 s[14:15], -1
	s_waitcnt vmcnt(0)
	v_lshlrev_b32_e32 v12, 23, v2
	v_cvt_f64_f32_e32 v[12:13], v12
	v_cmp_ne_u32_e32 vcc, s13, v2
	v_cndmask_b32_e32 v10, v10, v12, vcc
	v_cndmask_b32_e32 v12, v17, v13, vcc
	v_cmp_ne_u32_e32 vcc, 0, v2
	v_cndmask_b32_e32 v13, v21, v12, vcc
	v_cndmask_b32_e32 v12, 0, v10, vcc
	s_branch .LBB70_2337
.LBB70_2336:
	s_mov_b64 s[0:1], -1
                                        ; implicit-def: $vgpr12_vgpr13
.LBB70_2337:
	s_mov_b64 s[16:17], 0
.LBB70_2338:
	s_and_b64 vcc, exec, s[16:17]
	s_cbranch_vccz .LBB70_2342
; %bb.2339:
	v_mov_b32_e32 v2, 29
	v_cmp_eq_u16_sdwa s[0:1], v16, v2 src0_sel:BYTE_0 src1_sel:DWORD
	s_and_b64 vcc, exec, s[0:1]
	s_cbranch_vccz .LBB70_2341
; %bb.2340:
	global_load_dwordx2 v[12:13], v[14:15], off
	s_mov_b64 s[0:1], 0
	s_mov_b64 s[14:15], -1
	s_mov_b64 s[16:17], 0
	s_waitcnt vmcnt(0)
	v_cvt_f64_u32_e32 v[22:23], v13
	v_cvt_f64_u32_e32 v[12:13], v12
	v_ldexp_f64 v[22:23], v[22:23], 32
	v_add_f64 v[12:13], v[22:23], v[12:13]
	s_branch .LBB70_2343
.LBB70_2341:
	s_mov_b64 s[0:1], -1
                                        ; implicit-def: $vgpr12_vgpr13
.LBB70_2342:
	s_mov_b64 s[16:17], 0
.LBB70_2343:
	s_and_b64 vcc, exec, s[16:17]
	s_cbranch_vccz .LBB70_2361
; %bb.2344:
	v_mov_b32_e32 v2, 27
	v_cmp_lt_i16_sdwa s[14:15], v16, v2 src0_sel:BYTE_0 src1_sel:DWORD
	s_and_b64 vcc, exec, s[14:15]
	s_cbranch_vccnz .LBB70_2347
; %bb.2345:
	v_cmp_gt_i16_sdwa s[14:15], v16, v2 src0_sel:BYTE_0 src1_sel:DWORD
	s_and_b64 vcc, exec, s[14:15]
	s_cbranch_vccz .LBB70_2348
; %bb.2346:
	global_load_dword v2, v[14:15], off
	s_mov_b64 s[14:15], 0
	s_waitcnt vmcnt(0)
	v_cvt_f64_u32_e32 v[12:13], v2
	s_branch .LBB70_2349
.LBB70_2347:
	s_mov_b64 s[14:15], -1
                                        ; implicit-def: $vgpr12_vgpr13
	s_branch .LBB70_2352
.LBB70_2348:
	s_mov_b64 s[14:15], -1
                                        ; implicit-def: $vgpr12_vgpr13
.LBB70_2349:
	s_andn2_b64 vcc, exec, s[14:15]
	s_cbranch_vccnz .LBB70_2351
; %bb.2350:
	global_load_ushort v2, v[14:15], off
	s_waitcnt vmcnt(0)
	v_cvt_f64_u32_e32 v[12:13], v2
.LBB70_2351:
	s_mov_b64 s[14:15], 0
.LBB70_2352:
	s_andn2_b64 vcc, exec, s[14:15]
	s_cbranch_vccnz .LBB70_2360
; %bb.2353:
	global_load_ubyte v2, v[14:15], off
	s_movk_i32 s13, 0x7f
	s_mov_b64 s[14:15], 0
                                        ; implicit-def: $sgpr16_sgpr17
	s_waitcnt vmcnt(0)
	v_cmp_lt_i16_e32 vcc, s13, v2
	s_and_saveexec_b64 s[20:21], vcc
	s_xor_b64 s[20:21], exec, s[20:21]
	s_cbranch_execz .LBB70_2374
; %bb.2354:
	s_movk_i32 s13, 0x80
	v_cmp_eq_u16_e32 vcc, s13, v2
	s_mov_b64 s[22:23], -1
                                        ; implicit-def: $sgpr16_sgpr17
	s_and_saveexec_b64 s[14:15], vcc
; %bb.2355:
	s_mov_b32 s17, 0x7ff80000
	s_brev_b32 s16, 4
	s_xor_b64 s[22:23], exec, -1
; %bb.2356:
	s_or_b64 exec, exec, s[14:15]
	s_and_b64 s[14:15], s[22:23], exec
	s_or_saveexec_b64 s[20:21], s[20:21]
	v_pk_mov_b32 v[12:13], s[16:17], s[16:17] op_sel:[0,1]
	s_xor_b64 exec, exec, s[20:21]
	s_cbranch_execnz .LBB70_2375
.LBB70_2357:
	s_or_b64 exec, exec, s[20:21]
	s_and_saveexec_b64 s[16:17], s[14:15]
	s_cbranch_execz .LBB70_2359
.LBB70_2358:
	v_lshlrev_b32_e32 v10, 24, v2
	v_and_b32_e32 v2, 0xffff, v2
	v_and_b32_e32 v12, 7, v2
	v_ffbh_u32_e32 v17, v12
	v_min_u32_e32 v17, 32, v17
	v_subrev_u32_e32 v21, 28, v17
	v_bfe_u32 v13, v2, 3, 4
	v_lshlrev_b32_e32 v2, v21, v2
	v_sub_u32_e32 v17, 29, v17
	v_and_b32_e32 v2, 7, v2
	v_cmp_eq_u32_e32 vcc, 0, v13
	v_cndmask_b32_e32 v13, v13, v17, vcc
	v_cndmask_b32_e32 v2, v12, v2, vcc
	v_mov_b32_e32 v12, 0x3b800000
	v_lshlrev_b32_e32 v2, 20, v2
	v_and_b32_e32 v10, 0x80000000, v10
	v_lshl_add_u32 v12, v13, 23, v12
	v_or3_b32 v2, v10, v12, v2
	v_cvt_f64_f32_e32 v[12:13], v2
.LBB70_2359:
	s_or_b64 exec, exec, s[16:17]
.LBB70_2360:
	s_mov_b64 s[14:15], -1
.LBB70_2361:
	s_mov_b64 s[16:17], 0
.LBB70_2362:
	s_and_b64 vcc, exec, s[16:17]
	s_cbranch_vccz .LBB70_2395
; %bb.2363:
	v_mov_b32_e32 v2, 22
	v_cmp_gt_i16_sdwa s[10:11], v16, v2 src0_sel:BYTE_0 src1_sel:DWORD
	s_and_b64 vcc, exec, s[10:11]
	s_cbranch_vccz .LBB70_2373
; %bb.2364:
	v_mov_b32_e32 v2, 24
	v_cmp_lt_i16_sdwa s[10:11], v16, v2 src0_sel:BYTE_0 src1_sel:DWORD
	s_and_b64 vcc, exec, s[10:11]
	s_cbranch_vccnz .LBB70_2376
; %bb.2365:
	v_cmp_gt_i16_sdwa s[10:11], v16, v2 src0_sel:BYTE_0 src1_sel:DWORD
	s_and_b64 vcc, exec, s[10:11]
	s_cbranch_vccz .LBB70_2377
; %bb.2366:
	global_load_ubyte v2, v[14:15], off
	s_movk_i32 s10, 0x7f
                                        ; implicit-def: $sgpr14_sgpr15
	s_waitcnt vmcnt(0)
	v_cmp_lt_i16_e32 vcc, s10, v2
	s_mov_b64 s[10:11], 0
	s_and_saveexec_b64 s[16:17], vcc
	s_xor_b64 s[16:17], exec, s[16:17]
	s_cbranch_execz .LBB70_2389
; %bb.2367:
	s_movk_i32 s10, 0x80
	v_cmp_eq_u16_e32 vcc, s10, v2
	s_mov_b64 s[20:21], -1
                                        ; implicit-def: $sgpr14_sgpr15
	s_and_saveexec_b64 s[10:11], vcc
; %bb.2368:
	s_mov_b32 s15, 0x7ff80000
	s_brev_b32 s14, 4
	s_xor_b64 s[20:21], exec, -1
; %bb.2369:
	s_or_b64 exec, exec, s[10:11]
	s_and_b64 s[10:11], s[20:21], exec
	s_or_saveexec_b64 s[16:17], s[16:17]
	v_pk_mov_b32 v[12:13], s[14:15], s[14:15] op_sel:[0,1]
	s_xor_b64 exec, exec, s[16:17]
	s_cbranch_execnz .LBB70_2390
.LBB70_2370:
	s_or_b64 exec, exec, s[16:17]
	s_and_saveexec_b64 s[14:15], s[10:11]
	s_cbranch_execz .LBB70_2372
.LBB70_2371:
	v_lshlrev_b32_e32 v10, 24, v2
	v_and_b32_e32 v2, 0xffff, v2
	v_and_b32_e32 v12, 3, v2
	v_ffbh_u32_e32 v17, v12
	v_min_u32_e32 v17, 32, v17
	v_subrev_u32_e32 v21, 29, v17
	v_bfe_u32 v13, v2, 2, 5
	v_lshlrev_b32_e32 v2, v21, v2
	v_sub_u32_e32 v17, 30, v17
	v_and_b32_e32 v2, 3, v2
	v_cmp_eq_u32_e32 vcc, 0, v13
	v_cndmask_b32_e32 v13, v13, v17, vcc
	v_cndmask_b32_e32 v2, v12, v2, vcc
	v_mov_b32_e32 v12, 0x37800000
	v_lshlrev_b32_e32 v2, 21, v2
	v_and_b32_e32 v10, 0x80000000, v10
	v_lshl_add_u32 v12, v13, 23, v12
	v_or3_b32 v2, v10, v12, v2
	v_cvt_f64_f32_e32 v[12:13], v2
.LBB70_2372:
	s_or_b64 exec, exec, s[14:15]
	s_mov_b64 s[10:11], 0
	s_branch .LBB70_2378
.LBB70_2373:
	s_mov_b64 s[10:11], -1
                                        ; implicit-def: $vgpr12_vgpr13
	s_branch .LBB70_2384
.LBB70_2374:
	s_or_saveexec_b64 s[20:21], s[20:21]
	v_pk_mov_b32 v[12:13], s[16:17], s[16:17] op_sel:[0,1]
	s_xor_b64 exec, exec, s[20:21]
	s_cbranch_execz .LBB70_2357
.LBB70_2375:
	v_cmp_ne_u16_e32 vcc, 0, v2
	s_andn2_b64 s[14:15], s[14:15], exec
	s_and_b64 s[16:17], vcc, exec
	v_pk_mov_b32 v[12:13], 0, 0
	s_or_b64 s[14:15], s[14:15], s[16:17]
	s_or_b64 exec, exec, s[20:21]
	s_and_saveexec_b64 s[16:17], s[14:15]
	s_cbranch_execnz .LBB70_2358
	s_branch .LBB70_2359
.LBB70_2376:
	s_mov_b64 s[10:11], -1
                                        ; implicit-def: $vgpr12_vgpr13
	s_branch .LBB70_2381
.LBB70_2377:
	s_mov_b64 s[10:11], -1
                                        ; implicit-def: $vgpr12_vgpr13
.LBB70_2378:
	s_and_b64 vcc, exec, s[10:11]
	s_cbranch_vccz .LBB70_2380
; %bb.2379:
	global_load_ubyte v2, v[14:15], off
	s_mov_b32 s10, 0x7f800000
	s_waitcnt vmcnt(0)
	v_lshlrev_b32_e32 v2, 24, v2
	v_and_b32_e32 v10, 0x7f000000, v2
	v_ffbh_u32_e32 v12, v10
	v_min_u32_e32 v12, 32, v12
	v_sub_u32_e64 v12, v12, 4 clamp
	v_lshlrev_b32_e32 v17, v12, v10
	v_lshlrev_b32_e32 v12, 23, v12
	v_lshrrev_b32_e32 v17, 4, v17
	v_add_u32_e32 v13, 0x1000000, v10
	v_sub_u32_e32 v12, v17, v12
	v_ashrrev_i32_e32 v13, 8, v13
	v_add_u32_e32 v12, 0x3c000000, v12
	v_and_or_b32 v12, v13, s10, v12
	v_cmp_ne_u32_e32 vcc, 0, v10
	v_cndmask_b32_e32 v10, 0, v12, vcc
	s_brev_b32 s10, 1
	v_and_or_b32 v2, v2, s10, v10
	v_cvt_f64_f32_e32 v[12:13], v2
.LBB70_2380:
	s_mov_b64 s[10:11], 0
.LBB70_2381:
	s_andn2_b64 vcc, exec, s[10:11]
	s_cbranch_vccnz .LBB70_2383
; %bb.2382:
	global_load_ubyte v2, v[14:15], off
	s_movk_i32 s10, 0x7f00
	s_brev_b32 s11, 16
	s_waitcnt vmcnt(0)
	v_lshlrev_b16_e32 v10, 8, v2
	v_lshlrev_b32_e32 v2, 25, v2
	v_lshrrev_b32_e32 v12, 4, v2
	v_and_or_b32 v13, v10, s10, 0.5
	v_or_b32_e32 v12, 0x70000000, v12
	v_add_f32_e32 v13, -0.5, v13
	v_mul_f32_e32 v12, 0x7800000, v12
	v_cmp_gt_u32_e32 vcc, s11, v2
	v_bfe_i32 v10, v10, 0, 16
	v_cndmask_b32_e32 v2, v12, v13, vcc
	s_brev_b32 s10, 1
	v_and_or_b32 v2, v10, s10, v2
	v_cvt_f64_f32_e32 v[12:13], v2
.LBB70_2383:
	s_mov_b64 s[10:11], 0
	s_mov_b64 s[14:15], -1
.LBB70_2384:
	s_andn2_b64 vcc, exec, s[10:11]
	s_mov_b64 s[10:11], 0
	s_cbranch_vccnz .LBB70_2395
; %bb.2385:
	v_mov_b32_e32 v2, 14
	v_cmp_gt_i16_sdwa s[10:11], v16, v2 src0_sel:BYTE_0 src1_sel:DWORD
	s_and_b64 vcc, exec, s[10:11]
	s_cbranch_vccz .LBB70_2388
; %bb.2386:
	v_mov_b32_e32 v2, 15
	v_cmp_eq_u16_sdwa s[0:1], v16, v2 src0_sel:BYTE_0 src1_sel:DWORD
	s_and_b64 vcc, exec, s[0:1]
	s_cbranch_vccz .LBB70_2391
; %bb.2387:
	global_load_ushort v2, v[14:15], off
	s_mov_b64 s[0:1], 0
	s_mov_b64 s[14:15], -1
	s_waitcnt vmcnt(0)
	v_lshlrev_b32_e32 v2, 16, v2
	v_cvt_f64_f32_e32 v[12:13], v2
	s_branch .LBB70_2392
.LBB70_2388:
	s_mov_b64 s[16:17], -1
                                        ; implicit-def: $vgpr12_vgpr13
	s_branch .LBB70_2393
.LBB70_2389:
	s_or_saveexec_b64 s[16:17], s[16:17]
	v_pk_mov_b32 v[12:13], s[14:15], s[14:15] op_sel:[0,1]
	s_xor_b64 exec, exec, s[16:17]
	s_cbranch_execz .LBB70_2370
.LBB70_2390:
	v_cmp_ne_u16_e32 vcc, 0, v2
	s_andn2_b64 s[10:11], s[10:11], exec
	s_and_b64 s[14:15], vcc, exec
	v_pk_mov_b32 v[12:13], 0, 0
	s_or_b64 s[10:11], s[10:11], s[14:15]
	s_or_b64 exec, exec, s[16:17]
	s_and_saveexec_b64 s[14:15], s[10:11]
	s_cbranch_execnz .LBB70_2371
	s_branch .LBB70_2372
.LBB70_2391:
	s_mov_b64 s[0:1], -1
                                        ; implicit-def: $vgpr12_vgpr13
.LBB70_2392:
	s_mov_b64 s[16:17], 0
.LBB70_2393:
	s_mov_b64 s[10:11], 0
	s_and_b64 vcc, exec, s[16:17]
	s_cbranch_vccz .LBB70_2395
; %bb.2394:
	v_mov_b32_e32 v2, 11
	v_cmp_ne_u16_sdwa s[0:1], v16, v2 src0_sel:BYTE_0 src1_sel:DWORD
	s_mov_b64 s[10:11], -1
                                        ; implicit-def: $vgpr12_vgpr13
.LBB70_2395:
	s_and_b64 vcc, exec, s[0:1]
	s_cbranch_vccnz .LBB70_2460
; %bb.2396:
	s_andn2_b64 vcc, exec, s[10:11]
	s_cbranch_vccnz .LBB70_2398
.LBB70_2397:
	global_load_ubyte v2, v[14:15], off
	v_mov_b32_e32 v10, 0x3ff00000
	v_mov_b32_e32 v12, 0
	s_mov_b64 s[14:15], -1
	s_waitcnt vmcnt(0)
	v_cmp_ne_u16_e32 vcc, 0, v2
	v_cndmask_b32_e32 v13, 0, v10, vcc
.LBB70_2398:
	s_mov_b64 s[0:1], 0
.LBB70_2399:
	s_and_b64 vcc, exec, s[0:1]
	s_cbranch_vccz .LBB70_2448
; %bb.2400:
	v_mov_b32_e32 v2, 5
	v_cmp_lt_i16_sdwa s[0:1], v16, v2 src0_sel:BYTE_0 src1_sel:DWORD
	s_and_b64 vcc, exec, s[0:1]
	s_cbranch_vccnz .LBB70_2405
; %bb.2401:
	v_mov_b32_e32 v2, 8
	v_cmp_lt_i16_sdwa s[0:1], v16, v2 src0_sel:BYTE_0 src1_sel:DWORD
	s_and_b64 vcc, exec, s[0:1]
	s_cbranch_vccnz .LBB70_2406
	;; [unrolled: 5-line block ×3, first 2 shown]
; %bb.2403:
	v_cmp_gt_i16_sdwa s[0:1], v16, v2 src0_sel:BYTE_0 src1_sel:DWORD
	s_and_b64 vcc, exec, s[0:1]
	s_cbranch_vccz .LBB70_2408
; %bb.2404:
	global_load_dwordx2 v[12:13], v[14:15], off
	s_mov_b64 s[0:1], 0
	s_branch .LBB70_2409
.LBB70_2405:
	s_mov_b64 s[0:1], -1
                                        ; implicit-def: $vgpr12_vgpr13
	s_branch .LBB70_2427
.LBB70_2406:
	s_mov_b64 s[0:1], -1
                                        ; implicit-def: $vgpr12_vgpr13
	s_branch .LBB70_2415
.LBB70_2407:
	s_mov_b64 s[0:1], -1
                                        ; implicit-def: $vgpr12_vgpr13
	s_branch .LBB70_2412
.LBB70_2408:
	s_mov_b64 s[0:1], -1
                                        ; implicit-def: $vgpr12_vgpr13
.LBB70_2409:
	s_andn2_b64 vcc, exec, s[0:1]
	s_cbranch_vccnz .LBB70_2411
; %bb.2410:
	global_load_dword v2, v[14:15], off
	s_waitcnt vmcnt(0)
	v_cvt_f64_f32_e32 v[12:13], v2
.LBB70_2411:
	s_mov_b64 s[0:1], 0
.LBB70_2412:
	s_andn2_b64 vcc, exec, s[0:1]
	s_cbranch_vccnz .LBB70_2414
; %bb.2413:
	global_load_dword v2, v[14:15], off
	s_waitcnt vmcnt(0)
	v_cvt_f32_f16_e32 v2, v2
	v_cvt_f64_f32_e32 v[12:13], v2
.LBB70_2414:
	s_mov_b64 s[0:1], 0
.LBB70_2415:
	s_andn2_b64 vcc, exec, s[0:1]
	s_cbranch_vccnz .LBB70_2426
; %bb.2416:
	v_mov_b32_e32 v2, 6
	v_cmp_lt_i16_sdwa s[0:1], v16, v2 src0_sel:BYTE_0 src1_sel:DWORD
	s_and_b64 vcc, exec, s[0:1]
	s_cbranch_vccnz .LBB70_2419
; %bb.2417:
	v_cmp_gt_i16_sdwa s[0:1], v16, v2 src0_sel:BYTE_0 src1_sel:DWORD
	s_and_b64 vcc, exec, s[0:1]
	s_cbranch_vccz .LBB70_2420
; %bb.2418:
	global_load_dwordx2 v[12:13], v[14:15], off
	s_mov_b64 s[0:1], 0
	s_branch .LBB70_2421
.LBB70_2419:
	s_mov_b64 s[0:1], -1
                                        ; implicit-def: $vgpr12_vgpr13
	s_branch .LBB70_2424
.LBB70_2420:
	s_mov_b64 s[0:1], -1
                                        ; implicit-def: $vgpr12_vgpr13
.LBB70_2421:
	s_andn2_b64 vcc, exec, s[0:1]
	s_cbranch_vccnz .LBB70_2423
; %bb.2422:
	global_load_dword v2, v[14:15], off
	s_waitcnt vmcnt(0)
	v_cvt_f64_f32_e32 v[12:13], v2
.LBB70_2423:
	s_mov_b64 s[0:1], 0
.LBB70_2424:
	s_andn2_b64 vcc, exec, s[0:1]
	s_cbranch_vccnz .LBB70_2426
; %bb.2425:
	global_load_ushort v2, v[14:15], off
	s_waitcnt vmcnt(0)
	v_cvt_f32_f16_e32 v2, v2
	v_cvt_f64_f32_e32 v[12:13], v2
.LBB70_2426:
	s_mov_b64 s[0:1], 0
.LBB70_2427:
	s_andn2_b64 vcc, exec, s[0:1]
	s_cbranch_vccnz .LBB70_2447
; %bb.2428:
	v_mov_b32_e32 v2, 2
	v_cmp_lt_i16_sdwa s[0:1], v16, v2 src0_sel:BYTE_0 src1_sel:DWORD
	s_and_b64 vcc, exec, s[0:1]
	s_cbranch_vccnz .LBB70_2432
; %bb.2429:
	v_mov_b32_e32 v2, 3
	v_cmp_lt_i16_sdwa s[0:1], v16, v2 src0_sel:BYTE_0 src1_sel:DWORD
	s_and_b64 vcc, exec, s[0:1]
	s_cbranch_vccnz .LBB70_2433
; %bb.2430:
	v_cmp_gt_i16_sdwa s[0:1], v16, v2 src0_sel:BYTE_0 src1_sel:DWORD
	s_and_b64 vcc, exec, s[0:1]
	s_cbranch_vccz .LBB70_2434
; %bb.2431:
	global_load_dwordx2 v[12:13], v[14:15], off
	s_mov_b64 s[0:1], 0
	s_waitcnt vmcnt(0)
	v_cvt_f64_i32_e32 v[22:23], v13
	v_cvt_f64_u32_e32 v[12:13], v12
	v_ldexp_f64 v[22:23], v[22:23], 32
	v_add_f64 v[12:13], v[22:23], v[12:13]
	s_branch .LBB70_2435
.LBB70_2432:
	s_mov_b64 s[0:1], -1
                                        ; implicit-def: $vgpr12_vgpr13
	s_branch .LBB70_2441
.LBB70_2433:
	s_mov_b64 s[0:1], -1
                                        ; implicit-def: $vgpr12_vgpr13
	s_branch .LBB70_2438
.LBB70_2434:
	s_mov_b64 s[0:1], -1
                                        ; implicit-def: $vgpr12_vgpr13
.LBB70_2435:
	s_andn2_b64 vcc, exec, s[0:1]
	s_cbranch_vccnz .LBB70_2437
; %bb.2436:
	global_load_dword v2, v[14:15], off
	s_waitcnt vmcnt(0)
	v_cvt_f64_i32_e32 v[12:13], v2
.LBB70_2437:
	s_mov_b64 s[0:1], 0
.LBB70_2438:
	s_andn2_b64 vcc, exec, s[0:1]
	s_cbranch_vccnz .LBB70_2440
; %bb.2439:
	global_load_sshort v2, v[14:15], off
	s_waitcnt vmcnt(0)
	v_cvt_f64_i32_e32 v[12:13], v2
.LBB70_2440:
	s_mov_b64 s[0:1], 0
.LBB70_2441:
	s_andn2_b64 vcc, exec, s[0:1]
	s_cbranch_vccnz .LBB70_2447
; %bb.2442:
	v_mov_b32_e32 v2, 0
	v_cmp_gt_i16_sdwa s[0:1], v16, v2 src0_sel:BYTE_0 src1_sel:DWORD
	s_and_b64 vcc, exec, s[0:1]
	s_cbranch_vccz .LBB70_2444
; %bb.2443:
	global_load_sbyte v2, v[14:15], off
	s_mov_b64 s[0:1], 0
	s_waitcnt vmcnt(0)
	v_cvt_f64_i32_e32 v[12:13], v2
	s_branch .LBB70_2445
.LBB70_2444:
	s_mov_b64 s[0:1], -1
                                        ; implicit-def: $vgpr12_vgpr13
.LBB70_2445:
	s_andn2_b64 vcc, exec, s[0:1]
	s_cbranch_vccnz .LBB70_2447
; %bb.2446:
	global_load_ubyte v2, v[14:15], off
	s_waitcnt vmcnt(0)
	v_cvt_f64_u32_e32 v[12:13], v2
.LBB70_2447:
	s_mov_b64 s[14:15], -1
.LBB70_2448:
	s_andn2_b64 vcc, exec, s[14:15]
	s_cbranch_vccnz .LBB70_3032
; %bb.2449:
	v_add_u32_e32 v2, s26, v6
	v_ashrrev_i32_e32 v6, 31, v2
	v_mov_b32_e32 v10, s3
	v_add_co_u32_e32 v16, vcc, s2, v2
	v_mov_b32_e32 v2, 11
	v_addc_co_u32_e32 v17, vcc, v10, v6, vcc
	v_cmp_lt_i16_sdwa s[0:1], v20, v2 src0_sel:BYTE_0 src1_sel:DWORD
	s_and_b64 vcc, exec, s[0:1]
	s_cbranch_vccnz .LBB70_2456
; %bb.2450:
	v_mov_b32_e32 v2, 25
	v_cmp_gt_i16_sdwa s[0:1], v20, v2 src0_sel:BYTE_0 src1_sel:DWORD
	s_mov_b64 s[2:3], 0
	s_and_b64 vcc, exec, s[0:1]
	s_cbranch_vccz .LBB70_2457
; %bb.2451:
	v_mov_b32_e32 v2, 28
	v_cmp_gt_i16_sdwa s[0:1], v20, v2 src0_sel:BYTE_0 src1_sel:DWORD
	s_and_b64 vcc, exec, s[0:1]
	s_cbranch_vccz .LBB70_2458
; %bb.2452:
	v_mov_b32_e32 v2, 43
	v_cmp_gt_i16_sdwa s[0:1], v20, v2 src0_sel:BYTE_0 src1_sel:DWORD
	s_and_b64 vcc, exec, s[0:1]
	s_cbranch_vccz .LBB70_2459
; %bb.2453:
	v_mov_b32_e32 v2, 45
	v_cmp_gt_i16_sdwa s[0:1], v20, v2 src0_sel:BYTE_0 src1_sel:DWORD
	s_and_b64 vcc, exec, s[0:1]
	s_cbranch_vccz .LBB70_2461
; %bb.2454:
	v_mov_b32_e32 v2, 46
	v_cmp_eq_u16_sdwa s[0:1], v20, v2 src0_sel:BYTE_0 src1_sel:DWORD
	s_mov_b64 s[14:15], 0
	s_and_b64 vcc, exec, s[0:1]
	s_cbranch_vccz .LBB70_2462
; %bb.2455:
	global_load_dword v2, v[16:17], off
	s_mov_b64 s[0:1], 0
	s_mov_b64 s[10:11], -1
	s_waitcnt vmcnt(0)
	v_lshlrev_b32_e32 v2, 16, v2
	v_cvt_f64_f32_e32 v[14:15], v2
	s_branch .LBB70_2463
.LBB70_2456:
	s_mov_b64 s[0:1], -1
	s_mov_b64 s[10:11], 0
                                        ; implicit-def: $vgpr14_vgpr15
	s_branch .LBB70_2529
.LBB70_2457:
	s_mov_b64 s[14:15], -1
	s_mov_b64 s[10:11], 0
	s_mov_b64 s[0:1], 0
                                        ; implicit-def: $vgpr14_vgpr15
	s_branch .LBB70_2492
.LBB70_2458:
	s_mov_b64 s[14:15], -1
	s_mov_b64 s[10:11], 0
	s_mov_b64 s[0:1], 0
                                        ; implicit-def: $vgpr14_vgpr15
	s_branch .LBB70_2473
.LBB70_2459:
	s_mov_b64 s[14:15], -1
	s_mov_b64 s[10:11], 0
	s_mov_b64 s[0:1], 0
                                        ; implicit-def: $vgpr14_vgpr15
	s_branch .LBB70_2468
.LBB70_2460:
	s_trap 2
	s_or_b64 s[18:19], s[18:19], exec
                                        ; implicit-def: $vgpr12_vgpr13
	s_cbranch_execz .LBB70_2397
	s_branch .LBB70_2398
.LBB70_2461:
	s_mov_b64 s[14:15], -1
	s_mov_b64 s[10:11], 0
	s_mov_b64 s[0:1], 0
                                        ; implicit-def: $vgpr14_vgpr15
	s_branch .LBB70_2463
.LBB70_2462:
	s_mov_b64 s[0:1], -1
                                        ; implicit-def: $vgpr14_vgpr15
	s_mov_b64 s[10:11], 0
.LBB70_2463:
	s_and_b64 vcc, exec, s[14:15]
	s_cbranch_vccz .LBB70_2467
; %bb.2464:
	v_mov_b32_e32 v2, 44
	v_cmp_eq_u16_sdwa s[0:1], v20, v2 src0_sel:BYTE_0 src1_sel:DWORD
	s_and_b64 vcc, exec, s[0:1]
	s_cbranch_vccz .LBB70_2466
; %bb.2465:
	global_load_ubyte v2, v[16:17], off
	s_movk_i32 s10, 0xff
	v_mov_b32_e32 v6, 0x7ff80000
	v_bfrev_b32_e32 v10, 28
	s_mov_b64 s[0:1], 0
	s_waitcnt vmcnt(0)
	v_lshlrev_b32_e32 v14, 23, v2
	v_cvt_f64_f32_e32 v[14:15], v14
	v_cmp_ne_u32_e32 vcc, s10, v2
	v_cndmask_b32_e32 v6, v6, v15, vcc
	v_cmp_ne_u32_e32 vcc, 0, v2
	v_cndmask_b32_e32 v15, v10, v6, vcc
	s_mov_b64 s[10:11], -1
	s_branch .LBB70_2467
.LBB70_2466:
	s_mov_b64 s[0:1], -1
                                        ; implicit-def: $vgpr14_vgpr15
.LBB70_2467:
	s_mov_b64 s[14:15], 0
.LBB70_2468:
	s_and_b64 vcc, exec, s[14:15]
	s_cbranch_vccz .LBB70_2472
; %bb.2469:
	v_mov_b32_e32 v2, 29
	v_cmp_eq_u16_sdwa s[0:1], v20, v2 src0_sel:BYTE_0 src1_sel:DWORD
	s_and_b64 vcc, exec, s[0:1]
	s_cbranch_vccz .LBB70_2471
; %bb.2470:
	global_load_dwordx2 v[14:15], v[16:17], off
	s_mov_b64 s[0:1], 0
	s_mov_b64 s[10:11], -1
	s_mov_b64 s[14:15], 0
	s_waitcnt vmcnt(0)
	v_cvt_f64_u32_e32 v[22:23], v15
	v_cvt_f64_u32_e32 v[14:15], v14
	v_ldexp_f64 v[22:23], v[22:23], 32
	v_add_f64 v[14:15], v[22:23], v[14:15]
	s_branch .LBB70_2473
.LBB70_2471:
	s_mov_b64 s[0:1], -1
                                        ; implicit-def: $vgpr14_vgpr15
.LBB70_2472:
	s_mov_b64 s[14:15], 0
.LBB70_2473:
	s_and_b64 vcc, exec, s[14:15]
	s_cbranch_vccz .LBB70_2491
; %bb.2474:
	v_mov_b32_e32 v2, 27
	v_cmp_lt_i16_sdwa s[10:11], v20, v2 src0_sel:BYTE_0 src1_sel:DWORD
	s_and_b64 vcc, exec, s[10:11]
	s_cbranch_vccnz .LBB70_2477
; %bb.2475:
	v_cmp_gt_i16_sdwa s[10:11], v20, v2 src0_sel:BYTE_0 src1_sel:DWORD
	s_and_b64 vcc, exec, s[10:11]
	s_cbranch_vccz .LBB70_2478
; %bb.2476:
	global_load_dword v2, v[16:17], off
	s_mov_b64 s[10:11], 0
	s_waitcnt vmcnt(0)
	v_cvt_f64_u32_e32 v[14:15], v2
	s_branch .LBB70_2479
.LBB70_2477:
	s_mov_b64 s[10:11], -1
                                        ; implicit-def: $vgpr14_vgpr15
	s_branch .LBB70_2482
.LBB70_2478:
	s_mov_b64 s[10:11], -1
                                        ; implicit-def: $vgpr14_vgpr15
.LBB70_2479:
	s_andn2_b64 vcc, exec, s[10:11]
	s_cbranch_vccnz .LBB70_2481
; %bb.2480:
	global_load_ushort v2, v[16:17], off
	s_waitcnt vmcnt(0)
	v_cvt_f64_u32_e32 v[14:15], v2
.LBB70_2481:
	s_mov_b64 s[10:11], 0
.LBB70_2482:
	s_andn2_b64 vcc, exec, s[10:11]
	s_cbranch_vccnz .LBB70_2490
; %bb.2483:
	global_load_ubyte v2, v[16:17], off
	s_movk_i32 s10, 0x7f
                                        ; implicit-def: $sgpr14_sgpr15
	s_waitcnt vmcnt(0)
	v_cmp_lt_i16_e32 vcc, s10, v2
	s_mov_b64 s[10:11], 0
	s_and_saveexec_b64 s[16:17], vcc
	s_xor_b64 s[16:17], exec, s[16:17]
	s_cbranch_execz .LBB70_2504
; %bb.2484:
	s_movk_i32 s10, 0x80
	v_cmp_eq_u16_e32 vcc, s10, v2
	s_mov_b64 s[20:21], -1
                                        ; implicit-def: $sgpr14_sgpr15
	s_and_saveexec_b64 s[10:11], vcc
; %bb.2485:
	s_mov_b32 s15, 0x7ff80000
	s_brev_b32 s14, 4
	s_xor_b64 s[20:21], exec, -1
; %bb.2486:
	s_or_b64 exec, exec, s[10:11]
	s_and_b64 s[10:11], s[20:21], exec
	s_or_saveexec_b64 s[16:17], s[16:17]
	v_pk_mov_b32 v[14:15], s[14:15], s[14:15] op_sel:[0,1]
	s_xor_b64 exec, exec, s[16:17]
	s_cbranch_execnz .LBB70_2505
.LBB70_2487:
	s_or_b64 exec, exec, s[16:17]
	s_and_saveexec_b64 s[14:15], s[10:11]
	s_cbranch_execz .LBB70_2489
.LBB70_2488:
	v_lshlrev_b32_e32 v6, 24, v2
	v_and_b32_e32 v2, 0xffff, v2
	v_and_b32_e32 v10, 7, v2
	v_ffbh_u32_e32 v15, v10
	v_min_u32_e32 v15, 32, v15
	v_subrev_u32_e32 v21, 28, v15
	v_bfe_u32 v14, v2, 3, 4
	v_lshlrev_b32_e32 v2, v21, v2
	v_sub_u32_e32 v15, 29, v15
	v_and_b32_e32 v2, 7, v2
	v_cmp_eq_u32_e32 vcc, 0, v14
	v_cndmask_b32_e32 v14, v14, v15, vcc
	v_cndmask_b32_e32 v2, v10, v2, vcc
	v_mov_b32_e32 v10, 0x3b800000
	v_lshlrev_b32_e32 v2, 20, v2
	v_and_b32_e32 v6, 0x80000000, v6
	v_lshl_add_u32 v10, v14, 23, v10
	v_or3_b32 v2, v6, v10, v2
	v_cvt_f64_f32_e32 v[14:15], v2
.LBB70_2489:
	s_or_b64 exec, exec, s[14:15]
.LBB70_2490:
	s_mov_b64 s[10:11], -1
.LBB70_2491:
	s_mov_b64 s[14:15], 0
.LBB70_2492:
	s_and_b64 vcc, exec, s[14:15]
	s_cbranch_vccz .LBB70_2525
; %bb.2493:
	v_mov_b32_e32 v2, 22
	v_cmp_gt_i16_sdwa s[2:3], v20, v2 src0_sel:BYTE_0 src1_sel:DWORD
	s_and_b64 vcc, exec, s[2:3]
	s_cbranch_vccz .LBB70_2503
; %bb.2494:
	v_mov_b32_e32 v2, 24
	v_cmp_lt_i16_sdwa s[2:3], v20, v2 src0_sel:BYTE_0 src1_sel:DWORD
	s_and_b64 vcc, exec, s[2:3]
	s_cbranch_vccnz .LBB70_2506
; %bb.2495:
	v_cmp_gt_i16_sdwa s[2:3], v20, v2 src0_sel:BYTE_0 src1_sel:DWORD
	s_and_b64 vcc, exec, s[2:3]
	s_cbranch_vccz .LBB70_2507
; %bb.2496:
	global_load_ubyte v2, v[16:17], off
	s_movk_i32 s2, 0x7f
                                        ; implicit-def: $sgpr10_sgpr11
	s_waitcnt vmcnt(0)
	v_cmp_lt_i16_e32 vcc, s2, v2
	s_mov_b64 s[2:3], 0
	s_and_saveexec_b64 s[14:15], vcc
	s_xor_b64 s[14:15], exec, s[14:15]
	s_cbranch_execz .LBB70_2519
; %bb.2497:
	s_movk_i32 s2, 0x80
	v_cmp_eq_u16_e32 vcc, s2, v2
	s_mov_b64 s[16:17], -1
                                        ; implicit-def: $sgpr10_sgpr11
	s_and_saveexec_b64 s[2:3], vcc
; %bb.2498:
	s_mov_b32 s11, 0x7ff80000
	s_brev_b32 s10, 4
	s_xor_b64 s[16:17], exec, -1
; %bb.2499:
	s_or_b64 exec, exec, s[2:3]
	s_and_b64 s[2:3], s[16:17], exec
	s_or_saveexec_b64 s[14:15], s[14:15]
	v_pk_mov_b32 v[14:15], s[10:11], s[10:11] op_sel:[0,1]
	s_xor_b64 exec, exec, s[14:15]
	s_cbranch_execnz .LBB70_2520
.LBB70_2500:
	s_or_b64 exec, exec, s[14:15]
	s_and_saveexec_b64 s[10:11], s[2:3]
	s_cbranch_execz .LBB70_2502
.LBB70_2501:
	v_lshlrev_b32_e32 v6, 24, v2
	v_and_b32_e32 v2, 0xffff, v2
	v_and_b32_e32 v10, 3, v2
	v_ffbh_u32_e32 v15, v10
	v_min_u32_e32 v15, 32, v15
	v_subrev_u32_e32 v21, 29, v15
	v_bfe_u32 v14, v2, 2, 5
	v_lshlrev_b32_e32 v2, v21, v2
	v_sub_u32_e32 v15, 30, v15
	v_and_b32_e32 v2, 3, v2
	v_cmp_eq_u32_e32 vcc, 0, v14
	v_cndmask_b32_e32 v14, v14, v15, vcc
	v_cndmask_b32_e32 v2, v10, v2, vcc
	v_mov_b32_e32 v10, 0x37800000
	v_lshlrev_b32_e32 v2, 21, v2
	v_and_b32_e32 v6, 0x80000000, v6
	v_lshl_add_u32 v10, v14, 23, v10
	v_or3_b32 v2, v6, v10, v2
	v_cvt_f64_f32_e32 v[14:15], v2
.LBB70_2502:
	s_or_b64 exec, exec, s[10:11]
	s_mov_b64 s[2:3], 0
	s_branch .LBB70_2508
.LBB70_2503:
	s_mov_b64 s[2:3], -1
                                        ; implicit-def: $vgpr14_vgpr15
	s_branch .LBB70_2514
.LBB70_2504:
	s_or_saveexec_b64 s[16:17], s[16:17]
	v_pk_mov_b32 v[14:15], s[14:15], s[14:15] op_sel:[0,1]
	s_xor_b64 exec, exec, s[16:17]
	s_cbranch_execz .LBB70_2487
.LBB70_2505:
	v_cmp_ne_u16_e32 vcc, 0, v2
	s_andn2_b64 s[10:11], s[10:11], exec
	s_and_b64 s[14:15], vcc, exec
	v_pk_mov_b32 v[14:15], 0, 0
	s_or_b64 s[10:11], s[10:11], s[14:15]
	s_or_b64 exec, exec, s[16:17]
	s_and_saveexec_b64 s[14:15], s[10:11]
	s_cbranch_execnz .LBB70_2488
	s_branch .LBB70_2489
.LBB70_2506:
	s_mov_b64 s[2:3], -1
                                        ; implicit-def: $vgpr14_vgpr15
	s_branch .LBB70_2511
.LBB70_2507:
	s_mov_b64 s[2:3], -1
                                        ; implicit-def: $vgpr14_vgpr15
.LBB70_2508:
	s_and_b64 vcc, exec, s[2:3]
	s_cbranch_vccz .LBB70_2510
; %bb.2509:
	global_load_ubyte v2, v[16:17], off
	s_mov_b32 s2, 0x7f800000
	s_waitcnt vmcnt(0)
	v_lshlrev_b32_e32 v2, 24, v2
	v_and_b32_e32 v6, 0x7f000000, v2
	v_ffbh_u32_e32 v10, v6
	v_min_u32_e32 v10, 32, v10
	v_sub_u32_e64 v10, v10, 4 clamp
	v_lshlrev_b32_e32 v15, v10, v6
	v_lshlrev_b32_e32 v10, 23, v10
	v_lshrrev_b32_e32 v15, 4, v15
	v_add_u32_e32 v14, 0x1000000, v6
	v_sub_u32_e32 v10, v15, v10
	v_ashrrev_i32_e32 v14, 8, v14
	v_add_u32_e32 v10, 0x3c000000, v10
	v_and_or_b32 v10, v14, s2, v10
	v_cmp_ne_u32_e32 vcc, 0, v6
	v_cndmask_b32_e32 v6, 0, v10, vcc
	s_brev_b32 s2, 1
	v_and_or_b32 v2, v2, s2, v6
	v_cvt_f64_f32_e32 v[14:15], v2
.LBB70_2510:
	s_mov_b64 s[2:3], 0
.LBB70_2511:
	s_andn2_b64 vcc, exec, s[2:3]
	s_cbranch_vccnz .LBB70_2513
; %bb.2512:
	global_load_ubyte v2, v[16:17], off
	s_movk_i32 s2, 0x7f00
	s_brev_b32 s3, 16
	s_waitcnt vmcnt(0)
	v_lshlrev_b16_e32 v6, 8, v2
	v_lshlrev_b32_e32 v2, 25, v2
	v_lshrrev_b32_e32 v10, 4, v2
	v_and_or_b32 v14, v6, s2, 0.5
	v_or_b32_e32 v10, 0x70000000, v10
	v_add_f32_e32 v14, -0.5, v14
	v_mul_f32_e32 v10, 0x7800000, v10
	v_cmp_gt_u32_e32 vcc, s3, v2
	v_bfe_i32 v6, v6, 0, 16
	v_cndmask_b32_e32 v2, v10, v14, vcc
	s_brev_b32 s2, 1
	v_and_or_b32 v2, v6, s2, v2
	v_cvt_f64_f32_e32 v[14:15], v2
.LBB70_2513:
	s_mov_b64 s[2:3], 0
	s_mov_b64 s[10:11], -1
.LBB70_2514:
	s_andn2_b64 vcc, exec, s[2:3]
	s_mov_b64 s[2:3], 0
	s_cbranch_vccnz .LBB70_2525
; %bb.2515:
	v_mov_b32_e32 v2, 14
	v_cmp_gt_i16_sdwa s[2:3], v20, v2 src0_sel:BYTE_0 src1_sel:DWORD
	s_and_b64 vcc, exec, s[2:3]
	s_cbranch_vccz .LBB70_2518
; %bb.2516:
	v_mov_b32_e32 v2, 15
	v_cmp_eq_u16_sdwa s[0:1], v20, v2 src0_sel:BYTE_0 src1_sel:DWORD
	s_and_b64 vcc, exec, s[0:1]
	s_cbranch_vccz .LBB70_2521
; %bb.2517:
	global_load_ushort v2, v[16:17], off
	s_mov_b64 s[0:1], 0
	s_mov_b64 s[10:11], -1
	s_waitcnt vmcnt(0)
	v_lshlrev_b32_e32 v2, 16, v2
	v_cvt_f64_f32_e32 v[14:15], v2
	s_branch .LBB70_2522
.LBB70_2518:
	s_mov_b64 s[14:15], -1
                                        ; implicit-def: $vgpr14_vgpr15
	s_branch .LBB70_2523
.LBB70_2519:
	s_or_saveexec_b64 s[14:15], s[14:15]
	v_pk_mov_b32 v[14:15], s[10:11], s[10:11] op_sel:[0,1]
	s_xor_b64 exec, exec, s[14:15]
	s_cbranch_execz .LBB70_2500
.LBB70_2520:
	v_cmp_ne_u16_e32 vcc, 0, v2
	s_andn2_b64 s[2:3], s[2:3], exec
	s_and_b64 s[10:11], vcc, exec
	v_pk_mov_b32 v[14:15], 0, 0
	s_or_b64 s[2:3], s[2:3], s[10:11]
	s_or_b64 exec, exec, s[14:15]
	s_and_saveexec_b64 s[10:11], s[2:3]
	s_cbranch_execnz .LBB70_2501
	s_branch .LBB70_2502
.LBB70_2521:
	s_mov_b64 s[0:1], -1
                                        ; implicit-def: $vgpr14_vgpr15
.LBB70_2522:
	s_mov_b64 s[14:15], 0
.LBB70_2523:
	s_mov_b64 s[2:3], 0
	s_and_b64 vcc, exec, s[14:15]
	s_cbranch_vccz .LBB70_2525
; %bb.2524:
	v_mov_b32_e32 v2, 11
	v_cmp_ne_u16_sdwa s[0:1], v20, v2 src0_sel:BYTE_0 src1_sel:DWORD
	s_mov_b64 s[2:3], -1
                                        ; implicit-def: $vgpr14_vgpr15
.LBB70_2525:
	s_and_b64 vcc, exec, s[0:1]
	s_cbranch_vccnz .LBB70_2589
; %bb.2526:
	s_andn2_b64 vcc, exec, s[2:3]
	s_cbranch_vccnz .LBB70_2528
.LBB70_2527:
	global_load_ubyte v2, v[16:17], off
	v_mov_b32_e32 v6, 0x3ff00000
	s_mov_b64 s[10:11], -1
	s_waitcnt vmcnt(0)
	v_cmp_ne_u16_e32 vcc, 0, v2
	v_cndmask_b32_e32 v15, 0, v6, vcc
.LBB70_2528:
	s_mov_b64 s[0:1], 0
.LBB70_2529:
	s_and_b64 vcc, exec, s[0:1]
	s_cbranch_vccz .LBB70_2578
; %bb.2530:
	v_mov_b32_e32 v2, 5
	v_cmp_lt_i16_sdwa s[0:1], v20, v2 src0_sel:BYTE_0 src1_sel:DWORD
	s_and_b64 vcc, exec, s[0:1]
	s_cbranch_vccnz .LBB70_2535
; %bb.2531:
	v_mov_b32_e32 v2, 8
	v_cmp_lt_i16_sdwa s[0:1], v20, v2 src0_sel:BYTE_0 src1_sel:DWORD
	s_and_b64 vcc, exec, s[0:1]
	s_cbranch_vccnz .LBB70_2536
	;; [unrolled: 5-line block ×3, first 2 shown]
; %bb.2533:
	v_cmp_gt_i16_sdwa s[0:1], v20, v2 src0_sel:BYTE_0 src1_sel:DWORD
	s_and_b64 vcc, exec, s[0:1]
	s_cbranch_vccz .LBB70_2538
; %bb.2534:
	global_load_dwordx2 v[14:15], v[16:17], off
	s_mov_b64 s[0:1], 0
	s_branch .LBB70_2539
.LBB70_2535:
	s_mov_b64 s[0:1], -1
                                        ; implicit-def: $vgpr14_vgpr15
	s_branch .LBB70_2557
.LBB70_2536:
	s_mov_b64 s[0:1], -1
                                        ; implicit-def: $vgpr14_vgpr15
	s_branch .LBB70_2545
.LBB70_2537:
	s_mov_b64 s[0:1], -1
                                        ; implicit-def: $vgpr14_vgpr15
	s_branch .LBB70_2542
.LBB70_2538:
	s_mov_b64 s[0:1], -1
                                        ; implicit-def: $vgpr14_vgpr15
.LBB70_2539:
	s_andn2_b64 vcc, exec, s[0:1]
	s_cbranch_vccnz .LBB70_2541
; %bb.2540:
	global_load_dword v2, v[16:17], off
	s_waitcnt vmcnt(0)
	v_cvt_f64_f32_e32 v[14:15], v2
.LBB70_2541:
	s_mov_b64 s[0:1], 0
.LBB70_2542:
	s_andn2_b64 vcc, exec, s[0:1]
	s_cbranch_vccnz .LBB70_2544
; %bb.2543:
	global_load_dword v2, v[16:17], off
	s_waitcnt vmcnt(0)
	v_cvt_f32_f16_e32 v2, v2
	v_cvt_f64_f32_e32 v[14:15], v2
.LBB70_2544:
	s_mov_b64 s[0:1], 0
.LBB70_2545:
	s_andn2_b64 vcc, exec, s[0:1]
	s_cbranch_vccnz .LBB70_2556
; %bb.2546:
	v_mov_b32_e32 v2, 6
	v_cmp_lt_i16_sdwa s[0:1], v20, v2 src0_sel:BYTE_0 src1_sel:DWORD
	s_and_b64 vcc, exec, s[0:1]
	s_cbranch_vccnz .LBB70_2549
; %bb.2547:
	v_cmp_gt_i16_sdwa s[0:1], v20, v2 src0_sel:BYTE_0 src1_sel:DWORD
	s_and_b64 vcc, exec, s[0:1]
	s_cbranch_vccz .LBB70_2550
; %bb.2548:
	global_load_dwordx2 v[14:15], v[16:17], off
	s_mov_b64 s[0:1], 0
	s_branch .LBB70_2551
.LBB70_2549:
	s_mov_b64 s[0:1], -1
                                        ; implicit-def: $vgpr14_vgpr15
	s_branch .LBB70_2554
.LBB70_2550:
	s_mov_b64 s[0:1], -1
                                        ; implicit-def: $vgpr14_vgpr15
.LBB70_2551:
	s_andn2_b64 vcc, exec, s[0:1]
	s_cbranch_vccnz .LBB70_2553
; %bb.2552:
	global_load_dword v2, v[16:17], off
	s_waitcnt vmcnt(0)
	v_cvt_f64_f32_e32 v[14:15], v2
.LBB70_2553:
	s_mov_b64 s[0:1], 0
.LBB70_2554:
	s_andn2_b64 vcc, exec, s[0:1]
	s_cbranch_vccnz .LBB70_2556
; %bb.2555:
	global_load_ushort v2, v[16:17], off
	s_waitcnt vmcnt(0)
	v_cvt_f32_f16_e32 v2, v2
	v_cvt_f64_f32_e32 v[14:15], v2
.LBB70_2556:
	s_mov_b64 s[0:1], 0
.LBB70_2557:
	s_andn2_b64 vcc, exec, s[0:1]
	s_cbranch_vccnz .LBB70_2577
; %bb.2558:
	v_mov_b32_e32 v2, 2
	v_cmp_lt_i16_sdwa s[0:1], v20, v2 src0_sel:BYTE_0 src1_sel:DWORD
	s_and_b64 vcc, exec, s[0:1]
	s_cbranch_vccnz .LBB70_2562
; %bb.2559:
	v_mov_b32_e32 v2, 3
	v_cmp_lt_i16_sdwa s[0:1], v20, v2 src0_sel:BYTE_0 src1_sel:DWORD
	s_and_b64 vcc, exec, s[0:1]
	s_cbranch_vccnz .LBB70_2563
; %bb.2560:
	v_cmp_gt_i16_sdwa s[0:1], v20, v2 src0_sel:BYTE_0 src1_sel:DWORD
	s_and_b64 vcc, exec, s[0:1]
	s_cbranch_vccz .LBB70_2564
; %bb.2561:
	global_load_dwordx2 v[14:15], v[16:17], off
	s_mov_b64 s[0:1], 0
	s_waitcnt vmcnt(0)
	v_cvt_f64_i32_e32 v[22:23], v15
	v_cvt_f64_u32_e32 v[14:15], v14
	v_ldexp_f64 v[22:23], v[22:23], 32
	v_add_f64 v[14:15], v[22:23], v[14:15]
	s_branch .LBB70_2565
.LBB70_2562:
	s_mov_b64 s[0:1], -1
                                        ; implicit-def: $vgpr14_vgpr15
	s_branch .LBB70_2571
.LBB70_2563:
	s_mov_b64 s[0:1], -1
                                        ; implicit-def: $vgpr14_vgpr15
	s_branch .LBB70_2568
.LBB70_2564:
	s_mov_b64 s[0:1], -1
                                        ; implicit-def: $vgpr14_vgpr15
.LBB70_2565:
	s_andn2_b64 vcc, exec, s[0:1]
	s_cbranch_vccnz .LBB70_2567
; %bb.2566:
	global_load_dword v2, v[16:17], off
	s_waitcnt vmcnt(0)
	v_cvt_f64_i32_e32 v[14:15], v2
.LBB70_2567:
	s_mov_b64 s[0:1], 0
.LBB70_2568:
	s_andn2_b64 vcc, exec, s[0:1]
	s_cbranch_vccnz .LBB70_2570
; %bb.2569:
	global_load_sshort v2, v[16:17], off
	s_waitcnt vmcnt(0)
	v_cvt_f64_i32_e32 v[14:15], v2
.LBB70_2570:
	s_mov_b64 s[0:1], 0
.LBB70_2571:
	s_andn2_b64 vcc, exec, s[0:1]
	s_cbranch_vccnz .LBB70_2577
; %bb.2572:
	v_mov_b32_e32 v2, 0
	v_cmp_gt_i16_sdwa s[0:1], v20, v2 src0_sel:BYTE_0 src1_sel:DWORD
	s_and_b64 vcc, exec, s[0:1]
	s_cbranch_vccz .LBB70_2574
; %bb.2573:
	global_load_sbyte v2, v[16:17], off
	s_mov_b64 s[0:1], 0
	s_waitcnt vmcnt(0)
	v_cvt_f64_i32_e32 v[14:15], v2
	s_branch .LBB70_2575
.LBB70_2574:
	s_mov_b64 s[0:1], -1
                                        ; implicit-def: $vgpr14_vgpr15
.LBB70_2575:
	s_andn2_b64 vcc, exec, s[0:1]
	s_cbranch_vccnz .LBB70_2577
; %bb.2576:
	global_load_ubyte v2, v[16:17], off
	s_waitcnt vmcnt(0)
	v_cvt_f64_u32_e32 v[14:15], v2
.LBB70_2577:
	s_mov_b64 s[10:11], -1
.LBB70_2578:
	s_andn2_b64 vcc, exec, s[10:11]
	s_cbranch_vccnz .LBB70_3032
; %bb.2579:
	s_brev_b32 s0, -2
	v_mul_lo_u32 v6, s12, v19
	v_bfi_b32 v1, s0, v1, v3
	v_ashrrev_i32_e32 v2, 31, v6
	v_mov_b32_e32 v3, s9
	v_add_co_u32_e32 v16, vcc, s8, v6
	v_addc_co_u32_e32 v17, vcc, v3, v2, vcc
	v_mov_b32_e32 v2, 11
	v_cmp_lt_i16_sdwa s[0:1], v18, v2 src0_sel:BYTE_0 src1_sel:DWORD
	s_and_b64 vcc, exec, s[0:1]
	s_cbranch_vccnz .LBB70_2586
; %bb.2580:
	v_mov_b32_e32 v2, 25
	v_cmp_gt_i16_sdwa s[0:1], v18, v2 src0_sel:BYTE_0 src1_sel:DWORD
	s_mov_b64 s[14:15], -1
	s_mov_b64 s[2:3], 0
	s_and_b64 vcc, exec, s[0:1]
	s_mov_b64 s[10:11], 0
	s_mov_b64 s[0:1], 0
	s_cbranch_vccz .LBB70_2618
; %bb.2581:
	v_mov_b32_e32 v2, 28
	v_cmp_gt_i16_sdwa s[0:1], v18, v2 src0_sel:BYTE_0 src1_sel:DWORD
	s_and_b64 vcc, exec, s[0:1]
	s_cbranch_vccz .LBB70_2587
; %bb.2582:
	v_mov_b32_e32 v2, 43
	v_cmp_gt_i16_sdwa s[0:1], v18, v2 src0_sel:BYTE_0 src1_sel:DWORD
	s_and_b64 vcc, exec, s[0:1]
	;; [unrolled: 5-line block ×3, first 2 shown]
	s_cbranch_vccz .LBB70_2590
; %bb.2584:
	v_mov_b32_e32 v2, 46
	v_cmp_eq_u16_sdwa s[10:11], v18, v2 src0_sel:BYTE_0 src1_sel:DWORD
	s_mov_b64 s[0:1], -1
	s_mov_b64 s[14:15], 0
	s_and_b64 vcc, exec, s[10:11]
	s_mov_b64 s[10:11], 0
	s_cbranch_vccz .LBB70_2591
; %bb.2585:
	v_cvt_f32_f64_e32 v2, v[0:1]
	v_bfe_u32 v3, v2, 16, 1
	s_movk_i32 s0, 0x7fff
	v_add3_u32 v3, v2, v3, s0
	v_lshrrev_b32_e32 v3, 16, v3
	v_mov_b32_e32 v10, 0x7fc0
	v_cmp_o_f32_e32 vcc, v2, v2
	v_cndmask_b32_e32 v2, v10, v3, vcc
	global_store_dword v[16:17], v2, off
	s_mov_b64 s[0:1], 0
	s_mov_b64 s[10:11], -1
	s_branch .LBB70_2591
.LBB70_2586:
	s_mov_b64 s[0:1], -1
	s_mov_b64 s[10:11], 0
	s_branch .LBB70_2662
.LBB70_2587:
	s_mov_b64 s[0:1], 0
	s_branch .LBB70_2601
.LBB70_2588:
	s_mov_b64 s[0:1], 0
	s_branch .LBB70_2597
.LBB70_2589:
	s_trap 2
	s_or_b64 s[18:19], s[18:19], exec
                                        ; implicit-def: $vgpr14_vgpr15
	s_cbranch_execz .LBB70_2527
	s_branch .LBB70_2528
.LBB70_2590:
	s_mov_b64 s[0:1], 0
.LBB70_2591:
	s_and_b64 vcc, exec, s[14:15]
	s_cbranch_vccz .LBB70_2596
; %bb.2592:
	v_mov_b32_e32 v2, 44
	v_cmp_eq_u16_sdwa s[14:15], v18, v2 src0_sel:BYTE_0 src1_sel:DWORD
	s_mov_b64 s[0:1], -1
	s_and_b64 vcc, exec, s[14:15]
	s_cbranch_vccz .LBB70_2596
; %bb.2593:
	v_cvt_f32_f64_e32 v2, v[0:1]
	v_bfe_u32 v3, v2, 23, 8
	s_movk_i32 s0, 0xff
	v_cmp_ne_u32_e32 vcc, s0, v3
	v_mov_b32_e32 v10, 0xff
	s_and_saveexec_b64 s[10:11], vcc
	s_cbranch_execz .LBB70_2595
; %bb.2594:
	s_mov_b32 s0, 0x3fffff
	v_lshrrev_b32_e32 v10, 23, v2
	s_waitcnt vmcnt(0)
	v_and_b32_e32 v14, 0x400000, v2
	v_and_or_b32 v2, v2, s0, v3
	v_cmp_ne_u32_e32 vcc, 0, v14
	v_cmp_ne_u32_e64 s[0:1], 0, v2
	s_and_b64 s[0:1], vcc, s[0:1]
	v_cndmask_b32_e64 v2, 0, 1, s[0:1]
	v_add_u32_e32 v10, v10, v2
.LBB70_2595:
	s_or_b64 exec, exec, s[10:11]
	s_mov_b64 s[0:1], 0
	s_mov_b64 s[10:11], -1
	global_store_byte v[16:17], v10, off
.LBB70_2596:
	s_mov_b64 s[14:15], 0
.LBB70_2597:
	s_and_b64 vcc, exec, s[14:15]
	s_cbranch_vccz .LBB70_2600
; %bb.2598:
	v_mov_b32_e32 v2, 29
	v_cmp_eq_u16_sdwa s[14:15], v18, v2 src0_sel:BYTE_0 src1_sel:DWORD
	s_mov_b64 s[0:1], -1
	s_and_b64 vcc, exec, s[14:15]
	s_cbranch_vccz .LBB70_2600
; %bb.2599:
	v_trunc_f64_e32 v[2:3], v[0:1]
	s_movk_i32 s0, 0xffe0
	v_ldexp_f64 v[20:21], v[2:3], s0
	v_floor_f64_e32 v[20:21], v[20:21]
	v_fmac_f64_e32 v[2:3], 0xc1f00000, v[20:21]
	v_cvt_u32_f64_e32 v23, v[20:21]
	v_cvt_u32_f64_e32 v22, v[2:3]
	global_store_dwordx2 v[16:17], v[22:23], off
	s_mov_b64 s[0:1], 0
	s_mov_b64 s[10:11], -1
.LBB70_2600:
	s_mov_b64 s[14:15], 0
.LBB70_2601:
	s_and_b64 vcc, exec, s[14:15]
	s_cbranch_vccz .LBB70_2617
; %bb.2602:
	v_mov_b32_e32 v2, 27
	v_cmp_lt_i16_sdwa s[14:15], v18, v2 src0_sel:BYTE_0 src1_sel:DWORD
	s_mov_b64 s[10:11], -1
	s_and_b64 vcc, exec, s[14:15]
	s_cbranch_vccnz .LBB70_2608
; %bb.2603:
	v_cmp_gt_i16_sdwa s[14:15], v18, v2 src0_sel:BYTE_0 src1_sel:DWORD
	s_and_b64 vcc, exec, s[14:15]
	v_cvt_u32_f64_e32 v2, v[0:1]
	s_cbranch_vccz .LBB70_2605
; %bb.2604:
	s_mov_b64 s[10:11], 0
	global_store_dword v[16:17], v2, off
.LBB70_2605:
	s_andn2_b64 vcc, exec, s[10:11]
	s_cbranch_vccnz .LBB70_2607
; %bb.2606:
	global_store_short v[16:17], v2, off
.LBB70_2607:
	s_mov_b64 s[10:11], 0
.LBB70_2608:
	s_andn2_b64 vcc, exec, s[10:11]
	s_cbranch_vccnz .LBB70_2616
; %bb.2609:
	v_cvt_f32_f64_e32 v2, v[0:1]
	v_and_b32_e32 v3, 0x7fffffff, v2
	s_mov_b32 s10, 0x43800000
	v_cmp_gt_u32_e32 vcc, s10, v3
	v_mov_b32_e32 v10, 0x80
	s_and_saveexec_b64 s[10:11], vcc
	s_cbranch_execz .LBB70_2615
; %bb.2610:
	s_mov_b32 s13, 0x3bffffff
	v_cmp_lt_u32_e32 vcc, s13, v3
	s_mov_b64 s[14:15], 0
                                        ; implicit-def: $vgpr3
	s_and_saveexec_b64 s[16:17], vcc
	s_xor_b64 s[16:17], exec, s[16:17]
	s_cbranch_execz .LBB70_2711
; %bb.2611:
	v_bfe_u32 v3, v2, 20, 1
	s_mov_b32 s13, 0x487ffff
	v_add3_u32 v3, v2, v3, s13
	s_mov_b64 s[14:15], exec
	v_lshrrev_b32_e32 v3, 20, v3
	s_or_saveexec_b64 s[16:17], s[16:17]
                                        ; implicit-def: $sgpr13
	s_xor_b64 exec, exec, s[16:17]
	s_cbranch_execnz .LBB70_2712
.LBB70_2612:
	s_or_b64 exec, exec, s[16:17]
	v_mov_b32_e32 v10, s13
	s_and_saveexec_b64 s[16:17], s[14:15]
.LBB70_2613:
	v_lshrrev_b32_e32 v2, 24, v2
	s_movk_i32 s13, 0x80
	v_and_or_b32 v10, v2, s13, v3
.LBB70_2614:
	s_or_b64 exec, exec, s[16:17]
.LBB70_2615:
	s_or_b64 exec, exec, s[10:11]
	global_store_byte v[16:17], v10, off
.LBB70_2616:
	s_mov_b64 s[10:11], -1
.LBB70_2617:
	s_mov_b64 s[14:15], 0
.LBB70_2618:
	s_and_b64 vcc, exec, s[14:15]
	s_cbranch_vccz .LBB70_2658
; %bb.2619:
	v_mov_b32_e32 v2, 22
	v_cmp_gt_i16_sdwa s[14:15], v18, v2 src0_sel:BYTE_0 src1_sel:DWORD
	s_mov_b64 s[2:3], -1
	s_and_b64 vcc, exec, s[14:15]
	s_cbranch_vccz .LBB70_2651
; %bb.2620:
	v_mov_b32_e32 v2, 24
	v_cmp_lt_i16_sdwa s[10:11], v18, v2 src0_sel:BYTE_0 src1_sel:DWORD
	s_and_b64 vcc, exec, s[10:11]
	s_cbranch_vccnz .LBB70_2640
; %bb.2621:
	v_cmp_gt_i16_sdwa s[10:11], v18, v2 src0_sel:BYTE_0 src1_sel:DWORD
	s_and_b64 vcc, exec, s[10:11]
	s_cbranch_vccz .LBB70_2629
; %bb.2622:
	v_cvt_f32_f64_e32 v2, v[0:1]
	v_and_b32_e32 v3, 0x7fffffff, v2
	s_mov_b32 s2, 0x47800000
	v_cmp_gt_u32_e32 vcc, s2, v3
	v_mov_b32_e32 v10, 0x80
	s_and_saveexec_b64 s[2:3], vcc
	s_cbranch_execz .LBB70_2628
; %bb.2623:
	s_mov_b32 s10, 0x37ffffff
	v_cmp_lt_u32_e32 vcc, s10, v3
	s_mov_b64 s[10:11], 0
                                        ; implicit-def: $vgpr3
	s_and_saveexec_b64 s[14:15], vcc
	s_xor_b64 s[14:15], exec, s[14:15]
	s_cbranch_execz .LBB70_2715
; %bb.2624:
	v_bfe_u32 v3, v2, 21, 1
	s_mov_b32 s13, 0x88fffff
	v_add3_u32 v3, v2, v3, s13
	s_mov_b64 s[10:11], exec
	v_lshrrev_b32_e32 v3, 21, v3
	s_or_saveexec_b64 s[14:15], s[14:15]
                                        ; implicit-def: $sgpr13
	s_xor_b64 exec, exec, s[14:15]
	s_cbranch_execnz .LBB70_2716
.LBB70_2625:
	s_or_b64 exec, exec, s[14:15]
	v_mov_b32_e32 v10, s13
	s_and_saveexec_b64 s[14:15], s[10:11]
.LBB70_2626:
	v_lshrrev_b32_e32 v2, 24, v2
	s_movk_i32 s10, 0x80
	v_and_or_b32 v10, v2, s10, v3
.LBB70_2627:
	s_or_b64 exec, exec, s[14:15]
.LBB70_2628:
	s_or_b64 exec, exec, s[2:3]
	s_mov_b64 s[2:3], 0
	global_store_byte v[16:17], v10, off
.LBB70_2629:
	s_and_b64 vcc, exec, s[2:3]
	s_cbranch_vccz .LBB70_2639
; %bb.2630:
	v_cvt_f32_f64_e32 v2, v[0:1]
	v_and_b32_e32 v10, 0x7fffffff, v2
	s_mov_b32 s2, 0x43f00000
	v_cmp_gt_u32_e32 vcc, s2, v10
                                        ; implicit-def: $vgpr3
	s_and_saveexec_b64 s[2:3], vcc
	s_xor_b64 s[2:3], exec, s[2:3]
	s_cbranch_execz .LBB70_2636
; %bb.2631:
	s_mov_b32 s10, 0x3c7fffff
	v_cmp_lt_u32_e32 vcc, s10, v10
                                        ; implicit-def: $vgpr3
	s_and_saveexec_b64 s[10:11], vcc
	s_xor_b64 s[10:11], exec, s[10:11]
	s_cbranch_execz .LBB70_2633
; %bb.2632:
	v_bfe_u32 v3, v2, 20, 1
	s_mov_b32 s13, 0x407ffff
	v_add3_u32 v3, v2, v3, s13
	v_lshrrev_b32_e32 v10, 20, v3
	v_and_b32_e32 v3, 0xff00000, v3
	s_mov_b32 s13, 0x7f00000
	s_waitcnt vmcnt(0)
	v_mov_b32_e32 v14, 0x7e
	v_cmp_ne_u32_e32 vcc, s13, v3
	v_cndmask_b32_e32 v3, v14, v10, vcc
.LBB70_2633:
	s_andn2_saveexec_b64 s[10:11], s[10:11]
; %bb.2634:
	s_mov_b32 s13, 0x46800000
	v_add_f32_e64 v3, |v2|, s13
; %bb.2635:
	s_or_b64 exec, exec, s[10:11]
                                        ; implicit-def: $vgpr10
.LBB70_2636:
	s_andn2_saveexec_b64 s[2:3], s[2:3]
	s_cbranch_execz .LBB70_2638
; %bb.2637:
	s_mov_b32 s10, 0x7f800000
	v_mov_b32_e32 v3, 0x7e
	s_waitcnt vmcnt(0)
	v_mov_b32_e32 v14, 0x7f
	v_cmp_lt_u32_e32 vcc, s10, v10
	v_cndmask_b32_e32 v3, v3, v14, vcc
.LBB70_2638:
	s_or_b64 exec, exec, s[2:3]
	v_lshrrev_b32_e32 v2, 24, v2
	s_movk_i32 s2, 0x80
	v_and_or_b32 v2, v2, s2, v3
	global_store_byte v[16:17], v2, off
.LBB70_2639:
	s_mov_b64 s[2:3], 0
.LBB70_2640:
	s_andn2_b64 vcc, exec, s[2:3]
	s_cbranch_vccnz .LBB70_2650
; %bb.2641:
	v_cvt_f32_f64_e32 v2, v[0:1]
	v_and_b32_e32 v10, 0x7fffffff, v2
	s_mov_b32 s2, 0x47800000
	v_cmp_gt_u32_e32 vcc, s2, v10
                                        ; implicit-def: $vgpr3
	s_and_saveexec_b64 s[2:3], vcc
	s_xor_b64 s[2:3], exec, s[2:3]
	s_cbranch_execz .LBB70_2647
; %bb.2642:
	s_mov_b32 s10, 0x387fffff
	v_cmp_lt_u32_e32 vcc, s10, v10
                                        ; implicit-def: $vgpr3
	s_and_saveexec_b64 s[10:11], vcc
	s_xor_b64 s[10:11], exec, s[10:11]
; %bb.2643:
	v_bfe_u32 v3, v2, 21, 1
	s_mov_b32 s13, 0x80fffff
	v_add3_u32 v3, v2, v3, s13
	v_lshrrev_b32_e32 v3, 21, v3
; %bb.2644:
	s_andn2_saveexec_b64 s[10:11], s[10:11]
; %bb.2645:
	s_mov_b32 s13, 0x43000000
	v_add_f32_e64 v3, |v2|, s13
; %bb.2646:
	s_or_b64 exec, exec, s[10:11]
                                        ; implicit-def: $vgpr10
.LBB70_2647:
	s_andn2_saveexec_b64 s[2:3], s[2:3]
	s_cbranch_execz .LBB70_2649
; %bb.2648:
	s_mov_b32 s10, 0x7f800000
	v_mov_b32_e32 v3, 0x7c
	s_waitcnt vmcnt(0)
	v_mov_b32_e32 v14, 0x7f
	v_cmp_lt_u32_e32 vcc, s10, v10
	v_cndmask_b32_e32 v3, v3, v14, vcc
.LBB70_2649:
	s_or_b64 exec, exec, s[2:3]
	v_lshrrev_b32_e32 v2, 24, v2
	s_movk_i32 s2, 0x80
	v_and_or_b32 v2, v2, s2, v3
	global_store_byte v[16:17], v2, off
.LBB70_2650:
	s_mov_b64 s[2:3], 0
	s_mov_b64 s[10:11], -1
.LBB70_2651:
	s_andn2_b64 vcc, exec, s[2:3]
	s_mov_b64 s[2:3], 0
	s_cbranch_vccnz .LBB70_2658
; %bb.2652:
	v_mov_b32_e32 v2, 14
	v_cmp_gt_i16_sdwa s[2:3], v18, v2 src0_sel:BYTE_0 src1_sel:DWORD
	s_mov_b64 s[14:15], -1
	s_and_b64 vcc, exec, s[2:3]
	s_cbranch_vccz .LBB70_2656
; %bb.2653:
	v_mov_b32_e32 v2, 15
	v_cmp_eq_u16_sdwa s[2:3], v18, v2 src0_sel:BYTE_0 src1_sel:DWORD
	s_mov_b64 s[0:1], -1
	s_and_b64 vcc, exec, s[2:3]
	s_cbranch_vccz .LBB70_2655
; %bb.2654:
	v_cvt_f32_f64_e32 v2, v[0:1]
	v_bfe_u32 v3, v2, 16, 1
	s_movk_i32 s0, 0x7fff
	v_add3_u32 v3, v2, v3, s0
	v_lshrrev_b32_e32 v3, 16, v3
	v_mov_b32_e32 v10, 0x7fc0
	v_cmp_o_f32_e32 vcc, v2, v2
	v_cndmask_b32_e32 v2, v10, v3, vcc
	global_store_short v[16:17], v2, off
	s_mov_b64 s[0:1], 0
	s_mov_b64 s[10:11], -1
.LBB70_2655:
	s_mov_b64 s[14:15], 0
.LBB70_2656:
	s_mov_b64 s[2:3], 0
	s_and_b64 vcc, exec, s[14:15]
	s_cbranch_vccz .LBB70_2658
; %bb.2657:
	v_mov_b32_e32 v2, 11
	v_cmp_ne_u16_sdwa s[0:1], v18, v2 src0_sel:BYTE_0 src1_sel:DWORD
	s_mov_b64 s[2:3], -1
.LBB70_2658:
	s_and_b64 vcc, exec, s[0:1]
	s_cbranch_vccnz .LBB70_2714
; %bb.2659:
	s_andn2_b64 vcc, exec, s[2:3]
	s_cbranch_vccnz .LBB70_2661
.LBB70_2660:
	v_cmp_neq_f64_e32 vcc, 0, v[0:1]
	v_cndmask_b32_e64 v2, 0, 1, vcc
	s_mov_b64 s[10:11], -1
	global_store_byte v[16:17], v2, off
.LBB70_2661:
	s_mov_b64 s[0:1], 0
.LBB70_2662:
	s_and_b64 vcc, exec, s[0:1]
	s_cbranch_vccz .LBB70_2701
; %bb.2663:
	v_mov_b32_e32 v2, 5
	v_cmp_lt_i16_sdwa s[2:3], v18, v2 src0_sel:BYTE_0 src1_sel:DWORD
	s_mov_b64 s[0:1], -1
	s_and_b64 vcc, exec, s[2:3]
	s_cbranch_vccnz .LBB70_2684
; %bb.2664:
	v_mov_b32_e32 v2, 8
	v_cmp_lt_i16_sdwa s[2:3], v18, v2 src0_sel:BYTE_0 src1_sel:DWORD
	s_and_b64 vcc, exec, s[2:3]
	s_cbranch_vccnz .LBB70_2674
; %bb.2665:
	v_mov_b32_e32 v2, 9
	v_cmp_lt_i16_sdwa s[2:3], v18, v2 src0_sel:BYTE_0 src1_sel:DWORD
	s_and_b64 vcc, exec, s[2:3]
	s_cbranch_vccnz .LBB70_2671
; %bb.2666:
	v_cmp_gt_i16_sdwa s[2:3], v18, v2 src0_sel:BYTE_0 src1_sel:DWORD
	s_and_b64 vcc, exec, s[2:3]
	s_cbranch_vccz .LBB70_2668
; %bb.2667:
	v_mov_b32_e32 v2, 0
	v_mov_b32_e32 v3, v2
	global_store_dwordx4 v[16:17], v[0:3], off
	s_mov_b64 s[0:1], 0
.LBB70_2668:
	s_andn2_b64 vcc, exec, s[0:1]
	s_cbranch_vccnz .LBB70_2670
; %bb.2669:
	v_cvt_f32_f64_e32 v2, v[0:1]
	v_mov_b32_e32 v3, 0
	global_store_dwordx2 v[16:17], v[2:3], off
.LBB70_2670:
	s_mov_b64 s[0:1], 0
.LBB70_2671:
	s_andn2_b64 vcc, exec, s[0:1]
	s_cbranch_vccnz .LBB70_2673
; %bb.2672:
	v_cvt_f32_f64_e32 v2, v[0:1]
	v_cvt_f16_f32_e32 v2, v2
	global_store_dword v[16:17], v2, off
.LBB70_2673:
	s_mov_b64 s[0:1], 0
.LBB70_2674:
	s_andn2_b64 vcc, exec, s[0:1]
	s_cbranch_vccnz .LBB70_2683
; %bb.2675:
	v_mov_b32_e32 v2, 6
	v_cmp_lt_i16_sdwa s[2:3], v18, v2 src0_sel:BYTE_0 src1_sel:DWORD
	s_mov_b64 s[0:1], -1
	s_and_b64 vcc, exec, s[2:3]
	s_cbranch_vccnz .LBB70_2681
; %bb.2676:
	v_cmp_gt_i16_sdwa s[2:3], v18, v2 src0_sel:BYTE_0 src1_sel:DWORD
	s_and_b64 vcc, exec, s[2:3]
	s_cbranch_vccz .LBB70_2678
; %bb.2677:
	global_store_dwordx2 v[16:17], v[0:1], off
	s_mov_b64 s[0:1], 0
.LBB70_2678:
	s_andn2_b64 vcc, exec, s[0:1]
	s_cbranch_vccnz .LBB70_2680
; %bb.2679:
	v_cvt_f32_f64_e32 v2, v[0:1]
	global_store_dword v[16:17], v2, off
.LBB70_2680:
	s_mov_b64 s[0:1], 0
.LBB70_2681:
	s_andn2_b64 vcc, exec, s[0:1]
	s_cbranch_vccnz .LBB70_2683
; %bb.2682:
	v_cvt_f32_f64_e32 v2, v[0:1]
	v_cvt_f16_f32_e32 v2, v2
	global_store_short v[16:17], v2, off
.LBB70_2683:
	s_mov_b64 s[0:1], 0
.LBB70_2684:
	s_andn2_b64 vcc, exec, s[0:1]
	s_cbranch_vccnz .LBB70_2700
; %bb.2685:
	v_mov_b32_e32 v2, 2
	v_cmp_lt_i16_sdwa s[2:3], v18, v2 src0_sel:BYTE_0 src1_sel:DWORD
	s_mov_b64 s[0:1], -1
	s_and_b64 vcc, exec, s[2:3]
	s_cbranch_vccnz .LBB70_2695
; %bb.2686:
	v_mov_b32_e32 v2, 3
	v_cmp_lt_i16_sdwa s[2:3], v18, v2 src0_sel:BYTE_0 src1_sel:DWORD
	s_and_b64 vcc, exec, s[2:3]
	s_cbranch_vccnz .LBB70_2692
; %bb.2687:
	v_cmp_gt_i16_sdwa s[2:3], v18, v2 src0_sel:BYTE_0 src1_sel:DWORD
	s_and_b64 vcc, exec, s[2:3]
	s_cbranch_vccz .LBB70_2689
; %bb.2688:
	v_trunc_f64_e32 v[2:3], v[0:1]
	s_movk_i32 s0, 0xffe0
	v_ldexp_f64 v[20:21], v[2:3], s0
	v_floor_f64_e32 v[20:21], v[20:21]
	v_fmac_f64_e32 v[2:3], 0xc1f00000, v[20:21]
	v_cvt_i32_f64_e32 v23, v[20:21]
	v_cvt_u32_f64_e32 v22, v[2:3]
	global_store_dwordx2 v[16:17], v[22:23], off
	s_mov_b64 s[0:1], 0
.LBB70_2689:
	s_andn2_b64 vcc, exec, s[0:1]
	s_cbranch_vccnz .LBB70_2691
; %bb.2690:
	v_cvt_i32_f64_e32 v2, v[0:1]
	global_store_dword v[16:17], v2, off
.LBB70_2691:
	s_mov_b64 s[0:1], 0
.LBB70_2692:
	s_andn2_b64 vcc, exec, s[0:1]
	s_cbranch_vccnz .LBB70_2694
; %bb.2693:
	v_cvt_i32_f64_e32 v2, v[0:1]
	global_store_short v[16:17], v2, off
.LBB70_2694:
	s_mov_b64 s[0:1], 0
.LBB70_2695:
	s_andn2_b64 vcc, exec, s[0:1]
	s_cbranch_vccnz .LBB70_2700
; %bb.2696:
	v_mov_b32_e32 v2, 0
	v_cmp_gt_i16_sdwa s[2:3], v18, v2 src0_sel:BYTE_0 src1_sel:DWORD
	s_mov_b64 s[0:1], -1
	s_and_b64 vcc, exec, s[2:3]
	s_cbranch_vccz .LBB70_2698
; %bb.2697:
	v_cvt_i32_f64_e32 v2, v[0:1]
	global_store_byte v[16:17], v2, off
	s_mov_b64 s[0:1], 0
.LBB70_2698:
	s_andn2_b64 vcc, exec, s[0:1]
	s_cbranch_vccnz .LBB70_2700
; %bb.2699:
	v_trunc_f64_e32 v[0:1], v[0:1]
	s_movk_i32 s0, 0xffe0
	v_ldexp_f64 v[2:3], v[0:1], s0
	v_floor_f64_e32 v[2:3], v[2:3]
	v_fmac_f64_e32 v[0:1], 0xc1f00000, v[2:3]
	v_cvt_u32_f64_e32 v0, v[0:1]
	global_store_byte v[16:17], v0, off
.LBB70_2700:
	s_mov_b64 s[10:11], -1
.LBB70_2701:
	s_andn2_b64 vcc, exec, s[10:11]
	s_cbranch_vccnz .LBB70_3032
; %bb.2702:
	s_lshl_b32 s16, s12, 7
	v_add_u32_e32 v2, s16, v6
	v_ashrrev_i32_e32 v1, 31, v2
	v_mov_b32_e32 v3, s9
	v_add_co_u32_e32 v0, vcc, s8, v2
	s_brev_b32 s0, -2
	v_addc_co_u32_e32 v1, vcc, v3, v1, vcc
	v_mov_b32_e32 v3, 11
	v_bfi_b32 v5, s0, v5, v7
	v_cmp_lt_i16_sdwa s[0:1], v18, v3 src0_sel:BYTE_0 src1_sel:DWORD
	s_and_b64 vcc, exec, s[0:1]
	s_cbranch_vccnz .LBB70_2709
; %bb.2703:
	v_mov_b32_e32 v3, 25
	v_cmp_gt_i16_sdwa s[0:1], v18, v3 src0_sel:BYTE_0 src1_sel:DWORD
	s_mov_b64 s[12:13], -1
	s_mov_b64 s[2:3], 0
	s_and_b64 vcc, exec, s[0:1]
	s_mov_b64 s[10:11], 0
	s_mov_b64 s[0:1], 0
	s_cbranch_vccz .LBB70_2745
; %bb.2704:
	v_mov_b32_e32 v3, 28
	v_cmp_gt_i16_sdwa s[0:1], v18, v3 src0_sel:BYTE_0 src1_sel:DWORD
	s_and_b64 vcc, exec, s[0:1]
	s_cbranch_vccz .LBB70_2710
; %bb.2705:
	v_mov_b32_e32 v3, 43
	v_cmp_gt_i16_sdwa s[0:1], v18, v3 src0_sel:BYTE_0 src1_sel:DWORD
	s_and_b64 vcc, exec, s[0:1]
	;; [unrolled: 5-line block ×3, first 2 shown]
	s_cbranch_vccz .LBB70_2717
; %bb.2707:
	v_mov_b32_e32 v3, 46
	v_cmp_eq_u16_sdwa s[10:11], v18, v3 src0_sel:BYTE_0 src1_sel:DWORD
	s_mov_b64 s[0:1], -1
	s_mov_b64 s[12:13], 0
	s_and_b64 vcc, exec, s[10:11]
	s_mov_b64 s[10:11], 0
	s_cbranch_vccz .LBB70_2718
; %bb.2708:
	v_cvt_f32_f64_e32 v3, v[4:5]
	v_bfe_u32 v6, v3, 16, 1
	s_movk_i32 s0, 0x7fff
	v_add3_u32 v6, v3, v6, s0
	v_lshrrev_b32_e32 v6, 16, v6
	v_mov_b32_e32 v7, 0x7fc0
	v_cmp_o_f32_e32 vcc, v3, v3
	v_cndmask_b32_e32 v3, v7, v6, vcc
	global_store_dword v[0:1], v3, off
	s_mov_b64 s[0:1], 0
	s_mov_b64 s[10:11], -1
	s_branch .LBB70_2718
.LBB70_2709:
	s_mov_b64 s[0:1], -1
	s_mov_b64 s[10:11], 0
	s_branch .LBB70_2789
.LBB70_2710:
	s_mov_b64 s[0:1], 0
	s_branch .LBB70_2728
.LBB70_2711:
	s_or_saveexec_b64 s[16:17], s[16:17]
                                        ; implicit-def: $sgpr13
	s_xor_b64 exec, exec, s[16:17]
	s_cbranch_execz .LBB70_2612
.LBB70_2712:
	s_mov_b32 s13, 0x46000000
	v_add_f32_e64 v3, |v2|, s13
	v_and_b32_e32 v3, 0xff, v3
	v_cmp_ne_u32_e32 vcc, 0, v3
	s_andn2_b64 s[14:15], s[14:15], exec
	s_and_b64 s[20:21], vcc, exec
	s_mov_b32 s13, 0
	s_or_b64 s[14:15], s[14:15], s[20:21]
	s_or_b64 exec, exec, s[16:17]
	v_mov_b32_e32 v10, s13
	s_and_saveexec_b64 s[16:17], s[14:15]
	s_cbranch_execnz .LBB70_2613
	s_branch .LBB70_2614
.LBB70_2713:
	s_mov_b64 s[0:1], 0
	s_branch .LBB70_2724
.LBB70_2714:
	s_trap 2
	s_or_b64 s[18:19], s[18:19], exec
	s_cbranch_execz .LBB70_2660
	s_branch .LBB70_2661
.LBB70_2715:
	s_or_saveexec_b64 s[14:15], s[14:15]
                                        ; implicit-def: $sgpr13
	s_xor_b64 exec, exec, s[14:15]
	s_cbranch_execz .LBB70_2625
.LBB70_2716:
	s_mov_b32 s13, 0x42800000
	v_add_f32_e64 v3, |v2|, s13
	v_and_b32_e32 v3, 0xff, v3
	v_cmp_ne_u32_e32 vcc, 0, v3
	s_andn2_b64 s[10:11], s[10:11], exec
	s_and_b64 s[16:17], vcc, exec
	s_mov_b32 s13, 0
	s_or_b64 s[10:11], s[10:11], s[16:17]
	s_or_b64 exec, exec, s[14:15]
	v_mov_b32_e32 v10, s13
	s_and_saveexec_b64 s[14:15], s[10:11]
	s_cbranch_execnz .LBB70_2626
	s_branch .LBB70_2627
.LBB70_2717:
	s_mov_b64 s[0:1], 0
.LBB70_2718:
	s_and_b64 vcc, exec, s[12:13]
	s_cbranch_vccz .LBB70_2723
; %bb.2719:
	v_mov_b32_e32 v3, 44
	v_cmp_eq_u16_sdwa s[12:13], v18, v3 src0_sel:BYTE_0 src1_sel:DWORD
	s_mov_b64 s[0:1], -1
	s_and_b64 vcc, exec, s[12:13]
	s_cbranch_vccz .LBB70_2723
; %bb.2720:
	v_cvt_f32_f64_e32 v3, v[4:5]
	v_bfe_u32 v6, v3, 23, 8
	s_movk_i32 s0, 0xff
	v_cmp_ne_u32_e32 vcc, s0, v6
	v_mov_b32_e32 v7, 0xff
	s_and_saveexec_b64 s[10:11], vcc
; %bb.2721:
	s_mov_b32 s0, 0x3fffff
	v_lshrrev_b32_e32 v7, 23, v3
	v_and_b32_e32 v10, 0x400000, v3
	v_and_or_b32 v3, v3, s0, v6
	v_cmp_ne_u32_e32 vcc, 0, v10
	v_cmp_ne_u32_e64 s[0:1], 0, v3
	s_and_b64 s[0:1], vcc, s[0:1]
	v_cndmask_b32_e64 v3, 0, 1, s[0:1]
	v_add_u32_e32 v7, v7, v3
; %bb.2722:
	s_or_b64 exec, exec, s[10:11]
	s_mov_b64 s[0:1], 0
	s_mov_b64 s[10:11], -1
	global_store_byte v[0:1], v7, off
.LBB70_2723:
	s_mov_b64 s[12:13], 0
.LBB70_2724:
	s_and_b64 vcc, exec, s[12:13]
	s_cbranch_vccz .LBB70_2727
; %bb.2725:
	v_mov_b32_e32 v3, 29
	v_cmp_eq_u16_sdwa s[12:13], v18, v3 src0_sel:BYTE_0 src1_sel:DWORD
	s_mov_b64 s[0:1], -1
	s_and_b64 vcc, exec, s[12:13]
	s_cbranch_vccz .LBB70_2727
; %bb.2726:
	v_trunc_f64_e32 v[6:7], v[4:5]
	s_movk_i32 s0, 0xffe0
	v_ldexp_f64 v[16:17], v[6:7], s0
	v_floor_f64_e32 v[16:17], v[16:17]
	v_fmac_f64_e32 v[6:7], 0xc1f00000, v[16:17]
	v_cvt_u32_f64_e32 v21, v[16:17]
	v_cvt_u32_f64_e32 v20, v[6:7]
	global_store_dwordx2 v[0:1], v[20:21], off
	s_mov_b64 s[0:1], 0
	s_mov_b64 s[10:11], -1
.LBB70_2727:
	s_mov_b64 s[12:13], 0
.LBB70_2728:
	s_and_b64 vcc, exec, s[12:13]
	s_cbranch_vccz .LBB70_2744
; %bb.2729:
	v_mov_b32_e32 v3, 27
	v_cmp_lt_i16_sdwa s[12:13], v18, v3 src0_sel:BYTE_0 src1_sel:DWORD
	s_mov_b64 s[10:11], -1
	s_and_b64 vcc, exec, s[12:13]
	s_cbranch_vccnz .LBB70_2735
; %bb.2730:
	v_cmp_gt_i16_sdwa s[12:13], v18, v3 src0_sel:BYTE_0 src1_sel:DWORD
	s_and_b64 vcc, exec, s[12:13]
	v_cvt_u32_f64_e32 v3, v[4:5]
	s_cbranch_vccz .LBB70_2732
; %bb.2731:
	s_mov_b64 s[10:11], 0
	global_store_dword v[0:1], v3, off
.LBB70_2732:
	s_andn2_b64 vcc, exec, s[10:11]
	s_cbranch_vccnz .LBB70_2734
; %bb.2733:
	global_store_short v[0:1], v3, off
.LBB70_2734:
	s_mov_b64 s[10:11], 0
.LBB70_2735:
	s_andn2_b64 vcc, exec, s[10:11]
	s_cbranch_vccnz .LBB70_2743
; %bb.2736:
	v_cvt_f32_f64_e32 v3, v[4:5]
	v_and_b32_e32 v6, 0x7fffffff, v3
	s_mov_b32 s10, 0x43800000
	v_cmp_gt_u32_e32 vcc, s10, v6
	v_mov_b32_e32 v7, 0x80
	s_and_saveexec_b64 s[10:11], vcc
	s_cbranch_execz .LBB70_2742
; %bb.2737:
	s_mov_b32 s12, 0x3bffffff
	v_cmp_lt_u32_e32 vcc, s12, v6
	s_mov_b64 s[12:13], 0
                                        ; implicit-def: $vgpr6
	s_and_saveexec_b64 s[14:15], vcc
	s_xor_b64 s[14:15], exec, s[14:15]
	s_cbranch_execz .LBB70_2838
; %bb.2738:
	v_bfe_u32 v6, v3, 20, 1
	s_mov_b32 s17, 0x487ffff
	v_add3_u32 v6, v3, v6, s17
	s_mov_b64 s[12:13], exec
	v_lshrrev_b32_e32 v6, 20, v6
	s_or_saveexec_b64 s[14:15], s[14:15]
                                        ; implicit-def: $sgpr17
	s_xor_b64 exec, exec, s[14:15]
	s_cbranch_execnz .LBB70_2839
.LBB70_2739:
	s_or_b64 exec, exec, s[14:15]
	v_mov_b32_e32 v7, s17
	s_and_saveexec_b64 s[14:15], s[12:13]
.LBB70_2740:
	v_lshrrev_b32_e32 v3, 24, v3
	s_movk_i32 s12, 0x80
	v_and_or_b32 v7, v3, s12, v6
.LBB70_2741:
	s_or_b64 exec, exec, s[14:15]
.LBB70_2742:
	s_or_b64 exec, exec, s[10:11]
	global_store_byte v[0:1], v7, off
.LBB70_2743:
	s_mov_b64 s[10:11], -1
.LBB70_2744:
	s_mov_b64 s[12:13], 0
.LBB70_2745:
	s_and_b64 vcc, exec, s[12:13]
	s_cbranch_vccz .LBB70_2785
; %bb.2746:
	v_mov_b32_e32 v3, 22
	v_cmp_gt_i16_sdwa s[12:13], v18, v3 src0_sel:BYTE_0 src1_sel:DWORD
	s_mov_b64 s[2:3], -1
	s_and_b64 vcc, exec, s[12:13]
	s_cbranch_vccz .LBB70_2778
; %bb.2747:
	v_mov_b32_e32 v3, 24
	v_cmp_lt_i16_sdwa s[10:11], v18, v3 src0_sel:BYTE_0 src1_sel:DWORD
	s_and_b64 vcc, exec, s[10:11]
	s_cbranch_vccnz .LBB70_2767
; %bb.2748:
	v_cmp_gt_i16_sdwa s[10:11], v18, v3 src0_sel:BYTE_0 src1_sel:DWORD
	s_and_b64 vcc, exec, s[10:11]
	s_cbranch_vccz .LBB70_2756
; %bb.2749:
	v_cvt_f32_f64_e32 v3, v[4:5]
	v_and_b32_e32 v6, 0x7fffffff, v3
	s_mov_b32 s2, 0x47800000
	v_cmp_gt_u32_e32 vcc, s2, v6
	v_mov_b32_e32 v7, 0x80
	s_and_saveexec_b64 s[2:3], vcc
	s_cbranch_execz .LBB70_2755
; %bb.2750:
	s_mov_b32 s10, 0x37ffffff
	v_cmp_lt_u32_e32 vcc, s10, v6
	s_mov_b64 s[10:11], 0
                                        ; implicit-def: $vgpr6
	s_and_saveexec_b64 s[12:13], vcc
	s_xor_b64 s[12:13], exec, s[12:13]
	s_cbranch_execz .LBB70_2842
; %bb.2751:
	v_bfe_u32 v6, v3, 21, 1
	s_mov_b32 s14, 0x88fffff
	v_add3_u32 v6, v3, v6, s14
	s_mov_b64 s[10:11], exec
	v_lshrrev_b32_e32 v6, 21, v6
	s_or_saveexec_b64 s[12:13], s[12:13]
                                        ; implicit-def: $sgpr14
	s_xor_b64 exec, exec, s[12:13]
	s_cbranch_execnz .LBB70_2843
.LBB70_2752:
	s_or_b64 exec, exec, s[12:13]
	v_mov_b32_e32 v7, s14
	s_and_saveexec_b64 s[12:13], s[10:11]
.LBB70_2753:
	v_lshrrev_b32_e32 v3, 24, v3
	s_movk_i32 s10, 0x80
	v_and_or_b32 v7, v3, s10, v6
.LBB70_2754:
	s_or_b64 exec, exec, s[12:13]
.LBB70_2755:
	s_or_b64 exec, exec, s[2:3]
	s_mov_b64 s[2:3], 0
	global_store_byte v[0:1], v7, off
.LBB70_2756:
	s_and_b64 vcc, exec, s[2:3]
	s_cbranch_vccz .LBB70_2766
; %bb.2757:
	v_cvt_f32_f64_e32 v3, v[4:5]
	v_and_b32_e32 v7, 0x7fffffff, v3
	s_mov_b32 s2, 0x43f00000
	v_cmp_gt_u32_e32 vcc, s2, v7
                                        ; implicit-def: $vgpr6
	s_and_saveexec_b64 s[2:3], vcc
	s_xor_b64 s[2:3], exec, s[2:3]
	s_cbranch_execz .LBB70_2763
; %bb.2758:
	s_mov_b32 s10, 0x3c7fffff
	v_cmp_lt_u32_e32 vcc, s10, v7
                                        ; implicit-def: $vgpr6
	s_and_saveexec_b64 s[10:11], vcc
	s_xor_b64 s[10:11], exec, s[10:11]
; %bb.2759:
	v_bfe_u32 v6, v3, 20, 1
	s_mov_b32 s12, 0x407ffff
	v_add3_u32 v6, v3, v6, s12
	v_lshrrev_b32_e32 v7, 20, v6
	v_and_b32_e32 v6, 0xff00000, v6
	s_mov_b32 s12, 0x7f00000
	v_mov_b32_e32 v10, 0x7e
	v_cmp_ne_u32_e32 vcc, s12, v6
	v_cndmask_b32_e32 v6, v10, v7, vcc
; %bb.2760:
	s_andn2_saveexec_b64 s[10:11], s[10:11]
; %bb.2761:
	s_mov_b32 s12, 0x46800000
	v_add_f32_e64 v6, |v3|, s12
; %bb.2762:
	s_or_b64 exec, exec, s[10:11]
                                        ; implicit-def: $vgpr7
.LBB70_2763:
	s_andn2_saveexec_b64 s[2:3], s[2:3]
; %bb.2764:
	s_mov_b32 s10, 0x7f800000
	v_mov_b32_e32 v6, 0x7e
	v_mov_b32_e32 v10, 0x7f
	v_cmp_lt_u32_e32 vcc, s10, v7
	v_cndmask_b32_e32 v6, v6, v10, vcc
; %bb.2765:
	s_or_b64 exec, exec, s[2:3]
	v_lshrrev_b32_e32 v3, 24, v3
	s_movk_i32 s2, 0x80
	v_and_or_b32 v3, v3, s2, v6
	global_store_byte v[0:1], v3, off
.LBB70_2766:
	s_mov_b64 s[2:3], 0
.LBB70_2767:
	s_andn2_b64 vcc, exec, s[2:3]
	s_cbranch_vccnz .LBB70_2777
; %bb.2768:
	v_cvt_f32_f64_e32 v3, v[4:5]
	v_and_b32_e32 v7, 0x7fffffff, v3
	s_mov_b32 s2, 0x47800000
	v_cmp_gt_u32_e32 vcc, s2, v7
                                        ; implicit-def: $vgpr6
	s_and_saveexec_b64 s[2:3], vcc
	s_xor_b64 s[2:3], exec, s[2:3]
	s_cbranch_execz .LBB70_2774
; %bb.2769:
	s_mov_b32 s10, 0x387fffff
	v_cmp_lt_u32_e32 vcc, s10, v7
                                        ; implicit-def: $vgpr6
	s_and_saveexec_b64 s[10:11], vcc
	s_xor_b64 s[10:11], exec, s[10:11]
; %bb.2770:
	v_bfe_u32 v6, v3, 21, 1
	s_mov_b32 s12, 0x80fffff
	v_add3_u32 v6, v3, v6, s12
	v_lshrrev_b32_e32 v6, 21, v6
; %bb.2771:
	s_andn2_saveexec_b64 s[10:11], s[10:11]
; %bb.2772:
	s_mov_b32 s12, 0x43000000
	v_add_f32_e64 v6, |v3|, s12
; %bb.2773:
	s_or_b64 exec, exec, s[10:11]
                                        ; implicit-def: $vgpr7
.LBB70_2774:
	s_andn2_saveexec_b64 s[2:3], s[2:3]
; %bb.2775:
	s_mov_b32 s10, 0x7f800000
	v_mov_b32_e32 v6, 0x7c
	v_mov_b32_e32 v10, 0x7f
	v_cmp_lt_u32_e32 vcc, s10, v7
	v_cndmask_b32_e32 v6, v6, v10, vcc
; %bb.2776:
	s_or_b64 exec, exec, s[2:3]
	v_lshrrev_b32_e32 v3, 24, v3
	s_movk_i32 s2, 0x80
	v_and_or_b32 v3, v3, s2, v6
	global_store_byte v[0:1], v3, off
.LBB70_2777:
	s_mov_b64 s[2:3], 0
	s_mov_b64 s[10:11], -1
.LBB70_2778:
	s_andn2_b64 vcc, exec, s[2:3]
	s_mov_b64 s[2:3], 0
	s_cbranch_vccnz .LBB70_2785
; %bb.2779:
	v_mov_b32_e32 v3, 14
	v_cmp_gt_i16_sdwa s[2:3], v18, v3 src0_sel:BYTE_0 src1_sel:DWORD
	s_mov_b64 s[12:13], -1
	s_and_b64 vcc, exec, s[2:3]
	s_cbranch_vccz .LBB70_2783
; %bb.2780:
	v_mov_b32_e32 v3, 15
	v_cmp_eq_u16_sdwa s[2:3], v18, v3 src0_sel:BYTE_0 src1_sel:DWORD
	s_mov_b64 s[0:1], -1
	s_and_b64 vcc, exec, s[2:3]
	s_cbranch_vccz .LBB70_2782
; %bb.2781:
	v_cvt_f32_f64_e32 v3, v[4:5]
	v_bfe_u32 v6, v3, 16, 1
	s_movk_i32 s0, 0x7fff
	v_add3_u32 v6, v3, v6, s0
	v_lshrrev_b32_e32 v6, 16, v6
	v_mov_b32_e32 v7, 0x7fc0
	v_cmp_o_f32_e32 vcc, v3, v3
	v_cndmask_b32_e32 v3, v7, v6, vcc
	global_store_short v[0:1], v3, off
	s_mov_b64 s[0:1], 0
	s_mov_b64 s[10:11], -1
.LBB70_2782:
	s_mov_b64 s[12:13], 0
.LBB70_2783:
	s_mov_b64 s[2:3], 0
	s_and_b64 vcc, exec, s[12:13]
	s_cbranch_vccz .LBB70_2785
; %bb.2784:
	v_mov_b32_e32 v3, 11
	v_cmp_ne_u16_sdwa s[0:1], v18, v3 src0_sel:BYTE_0 src1_sel:DWORD
	s_mov_b64 s[2:3], -1
.LBB70_2785:
	s_and_b64 vcc, exec, s[0:1]
	s_cbranch_vccnz .LBB70_2841
; %bb.2786:
	s_andn2_b64 vcc, exec, s[2:3]
	s_cbranch_vccnz .LBB70_2788
.LBB70_2787:
	v_cmp_neq_f64_e32 vcc, 0, v[4:5]
	v_cndmask_b32_e64 v3, 0, 1, vcc
	s_mov_b64 s[10:11], -1
	global_store_byte v[0:1], v3, off
.LBB70_2788:
	s_mov_b64 s[0:1], 0
.LBB70_2789:
	s_and_b64 vcc, exec, s[0:1]
	s_cbranch_vccz .LBB70_2828
; %bb.2790:
	v_mov_b32_e32 v3, 5
	v_cmp_lt_i16_sdwa s[2:3], v18, v3 src0_sel:BYTE_0 src1_sel:DWORD
	s_mov_b64 s[0:1], -1
	s_and_b64 vcc, exec, s[2:3]
	s_cbranch_vccnz .LBB70_2811
; %bb.2791:
	v_mov_b32_e32 v3, 8
	v_cmp_lt_i16_sdwa s[2:3], v18, v3 src0_sel:BYTE_0 src1_sel:DWORD
	s_and_b64 vcc, exec, s[2:3]
	s_cbranch_vccnz .LBB70_2801
; %bb.2792:
	v_mov_b32_e32 v3, 9
	v_cmp_lt_i16_sdwa s[2:3], v18, v3 src0_sel:BYTE_0 src1_sel:DWORD
	s_and_b64 vcc, exec, s[2:3]
	s_cbranch_vccnz .LBB70_2798
; %bb.2793:
	v_cmp_gt_i16_sdwa s[2:3], v18, v3 src0_sel:BYTE_0 src1_sel:DWORD
	s_and_b64 vcc, exec, s[2:3]
	s_cbranch_vccz .LBB70_2795
; %bb.2794:
	v_mov_b32_e32 v6, 0
	v_mov_b32_e32 v7, v6
	global_store_dwordx4 v[0:1], v[4:7], off
	s_mov_b64 s[0:1], 0
.LBB70_2795:
	s_andn2_b64 vcc, exec, s[0:1]
	s_cbranch_vccnz .LBB70_2797
; %bb.2796:
	v_cvt_f32_f64_e32 v6, v[4:5]
	v_mov_b32_e32 v7, 0
	global_store_dwordx2 v[0:1], v[6:7], off
.LBB70_2797:
	s_mov_b64 s[0:1], 0
.LBB70_2798:
	s_andn2_b64 vcc, exec, s[0:1]
	s_cbranch_vccnz .LBB70_2800
; %bb.2799:
	v_cvt_f32_f64_e32 v3, v[4:5]
	v_cvt_f16_f32_e32 v3, v3
	global_store_dword v[0:1], v3, off
.LBB70_2800:
	s_mov_b64 s[0:1], 0
.LBB70_2801:
	s_andn2_b64 vcc, exec, s[0:1]
	s_cbranch_vccnz .LBB70_2810
; %bb.2802:
	v_mov_b32_e32 v3, 6
	v_cmp_lt_i16_sdwa s[2:3], v18, v3 src0_sel:BYTE_0 src1_sel:DWORD
	s_mov_b64 s[0:1], -1
	s_and_b64 vcc, exec, s[2:3]
	s_cbranch_vccnz .LBB70_2808
; %bb.2803:
	v_cmp_gt_i16_sdwa s[2:3], v18, v3 src0_sel:BYTE_0 src1_sel:DWORD
	s_and_b64 vcc, exec, s[2:3]
	s_cbranch_vccz .LBB70_2805
; %bb.2804:
	global_store_dwordx2 v[0:1], v[4:5], off
	s_mov_b64 s[0:1], 0
.LBB70_2805:
	s_andn2_b64 vcc, exec, s[0:1]
	s_cbranch_vccnz .LBB70_2807
; %bb.2806:
	v_cvt_f32_f64_e32 v3, v[4:5]
	global_store_dword v[0:1], v3, off
.LBB70_2807:
	s_mov_b64 s[0:1], 0
.LBB70_2808:
	s_andn2_b64 vcc, exec, s[0:1]
	s_cbranch_vccnz .LBB70_2810
; %bb.2809:
	v_cvt_f32_f64_e32 v3, v[4:5]
	v_cvt_f16_f32_e32 v3, v3
	global_store_short v[0:1], v3, off
.LBB70_2810:
	s_mov_b64 s[0:1], 0
.LBB70_2811:
	s_andn2_b64 vcc, exec, s[0:1]
	s_cbranch_vccnz .LBB70_2827
; %bb.2812:
	v_mov_b32_e32 v3, 2
	v_cmp_lt_i16_sdwa s[2:3], v18, v3 src0_sel:BYTE_0 src1_sel:DWORD
	s_mov_b64 s[0:1], -1
	s_and_b64 vcc, exec, s[2:3]
	s_cbranch_vccnz .LBB70_2822
; %bb.2813:
	v_mov_b32_e32 v3, 3
	v_cmp_lt_i16_sdwa s[2:3], v18, v3 src0_sel:BYTE_0 src1_sel:DWORD
	s_and_b64 vcc, exec, s[2:3]
	s_cbranch_vccnz .LBB70_2819
; %bb.2814:
	v_cmp_gt_i16_sdwa s[2:3], v18, v3 src0_sel:BYTE_0 src1_sel:DWORD
	s_and_b64 vcc, exec, s[2:3]
	s_cbranch_vccz .LBB70_2816
; %bb.2815:
	v_trunc_f64_e32 v[6:7], v[4:5]
	s_movk_i32 s0, 0xffe0
	v_ldexp_f64 v[16:17], v[6:7], s0
	v_floor_f64_e32 v[16:17], v[16:17]
	v_fmac_f64_e32 v[6:7], 0xc1f00000, v[16:17]
	v_cvt_i32_f64_e32 v21, v[16:17]
	v_cvt_u32_f64_e32 v20, v[6:7]
	global_store_dwordx2 v[0:1], v[20:21], off
	s_mov_b64 s[0:1], 0
.LBB70_2816:
	s_andn2_b64 vcc, exec, s[0:1]
	s_cbranch_vccnz .LBB70_2818
; %bb.2817:
	v_cvt_i32_f64_e32 v3, v[4:5]
	global_store_dword v[0:1], v3, off
.LBB70_2818:
	s_mov_b64 s[0:1], 0
.LBB70_2819:
	s_andn2_b64 vcc, exec, s[0:1]
	s_cbranch_vccnz .LBB70_2821
; %bb.2820:
	v_cvt_i32_f64_e32 v3, v[4:5]
	global_store_short v[0:1], v3, off
.LBB70_2821:
	s_mov_b64 s[0:1], 0
.LBB70_2822:
	s_andn2_b64 vcc, exec, s[0:1]
	s_cbranch_vccnz .LBB70_2827
; %bb.2823:
	v_mov_b32_e32 v3, 0
	v_cmp_gt_i16_sdwa s[2:3], v18, v3 src0_sel:BYTE_0 src1_sel:DWORD
	s_mov_b64 s[0:1], -1
	s_and_b64 vcc, exec, s[2:3]
	s_cbranch_vccz .LBB70_2825
; %bb.2824:
	v_cvt_i32_f64_e32 v3, v[4:5]
	global_store_byte v[0:1], v3, off
	s_mov_b64 s[0:1], 0
.LBB70_2825:
	s_andn2_b64 vcc, exec, s[0:1]
	s_cbranch_vccnz .LBB70_2827
; %bb.2826:
	v_trunc_f64_e32 v[4:5], v[4:5]
	s_movk_i32 s0, 0xffe0
	v_ldexp_f64 v[6:7], v[4:5], s0
	v_floor_f64_e32 v[6:7], v[6:7]
	v_fmac_f64_e32 v[4:5], 0xc1f00000, v[6:7]
	v_cvt_u32_f64_e32 v3, v[4:5]
	global_store_byte v[0:1], v3, off
.LBB70_2827:
	s_mov_b64 s[10:11], -1
.LBB70_2828:
	s_andn2_b64 vcc, exec, s[10:11]
	s_cbranch_vccnz .LBB70_3032
; %bb.2829:
	v_add_u32_e32 v2, s16, v2
	v_ashrrev_i32_e32 v1, 31, v2
	v_mov_b32_e32 v3, s9
	v_add_co_u32_e32 v0, vcc, s8, v2
	s_brev_b32 s0, -2
	v_addc_co_u32_e32 v1, vcc, v3, v1, vcc
	v_mov_b32_e32 v3, 11
	v_bfi_b32 v9, s0, v9, v11
	v_cmp_lt_i16_sdwa s[0:1], v18, v3 src0_sel:BYTE_0 src1_sel:DWORD
	s_and_b64 vcc, exec, s[0:1]
	s_cbranch_vccnz .LBB70_2836
; %bb.2830:
	v_mov_b32_e32 v3, 25
	v_cmp_gt_i16_sdwa s[0:1], v18, v3 src0_sel:BYTE_0 src1_sel:DWORD
	s_mov_b64 s[12:13], -1
	s_mov_b64 s[2:3], 0
	s_and_b64 vcc, exec, s[0:1]
	s_mov_b64 s[10:11], 0
	s_mov_b64 s[0:1], 0
	s_cbranch_vccz .LBB70_2872
; %bb.2831:
	v_mov_b32_e32 v3, 28
	v_cmp_gt_i16_sdwa s[0:1], v18, v3 src0_sel:BYTE_0 src1_sel:DWORD
	s_and_b64 vcc, exec, s[0:1]
	s_cbranch_vccz .LBB70_2837
; %bb.2832:
	v_mov_b32_e32 v3, 43
	v_cmp_gt_i16_sdwa s[0:1], v18, v3 src0_sel:BYTE_0 src1_sel:DWORD
	s_and_b64 vcc, exec, s[0:1]
	;; [unrolled: 5-line block ×3, first 2 shown]
	s_cbranch_vccz .LBB70_2844
; %bb.2834:
	v_mov_b32_e32 v3, 46
	v_cmp_eq_u16_sdwa s[10:11], v18, v3 src0_sel:BYTE_0 src1_sel:DWORD
	s_mov_b64 s[0:1], -1
	s_mov_b64 s[12:13], 0
	s_and_b64 vcc, exec, s[10:11]
	s_mov_b64 s[10:11], 0
	s_cbranch_vccz .LBB70_2845
; %bb.2835:
	v_cvt_f32_f64_e32 v3, v[8:9]
	v_bfe_u32 v4, v3, 16, 1
	s_movk_i32 s0, 0x7fff
	v_add3_u32 v4, v3, v4, s0
	v_lshrrev_b32_e32 v4, 16, v4
	v_mov_b32_e32 v5, 0x7fc0
	v_cmp_o_f32_e32 vcc, v3, v3
	v_cndmask_b32_e32 v3, v5, v4, vcc
	global_store_dword v[0:1], v3, off
	s_mov_b64 s[0:1], 0
	s_mov_b64 s[10:11], -1
	s_branch .LBB70_2845
.LBB70_2836:
	s_mov_b64 s[0:1], -1
	s_mov_b64 s[10:11], 0
	s_branch .LBB70_2916
.LBB70_2837:
	s_mov_b64 s[0:1], 0
	s_branch .LBB70_2855
.LBB70_2838:
	s_or_saveexec_b64 s[14:15], s[14:15]
                                        ; implicit-def: $sgpr17
	s_xor_b64 exec, exec, s[14:15]
	s_cbranch_execz .LBB70_2739
.LBB70_2839:
	s_mov_b32 s17, 0x46000000
	v_add_f32_e64 v6, |v3|, s17
	v_and_b32_e32 v6, 0xff, v6
	v_cmp_ne_u32_e32 vcc, 0, v6
	s_andn2_b64 s[12:13], s[12:13], exec
	s_and_b64 s[20:21], vcc, exec
	s_mov_b32 s17, 0
	s_or_b64 s[12:13], s[12:13], s[20:21]
	s_or_b64 exec, exec, s[14:15]
	v_mov_b32_e32 v7, s17
	s_and_saveexec_b64 s[14:15], s[12:13]
	s_cbranch_execnz .LBB70_2740
	s_branch .LBB70_2741
.LBB70_2840:
	s_mov_b64 s[0:1], 0
	s_branch .LBB70_2851
.LBB70_2841:
	s_trap 2
	s_or_b64 s[18:19], s[18:19], exec
	s_cbranch_execz .LBB70_2787
	s_branch .LBB70_2788
.LBB70_2842:
	s_or_saveexec_b64 s[12:13], s[12:13]
                                        ; implicit-def: $sgpr14
	s_xor_b64 exec, exec, s[12:13]
	s_cbranch_execz .LBB70_2752
.LBB70_2843:
	s_mov_b32 s14, 0x42800000
	v_add_f32_e64 v6, |v3|, s14
	v_and_b32_e32 v6, 0xff, v6
	v_cmp_ne_u32_e32 vcc, 0, v6
	s_andn2_b64 s[10:11], s[10:11], exec
	s_and_b64 s[20:21], vcc, exec
	s_mov_b32 s14, 0
	s_or_b64 s[10:11], s[10:11], s[20:21]
	s_or_b64 exec, exec, s[12:13]
	v_mov_b32_e32 v7, s14
	s_and_saveexec_b64 s[12:13], s[10:11]
	s_cbranch_execnz .LBB70_2753
	s_branch .LBB70_2754
.LBB70_2844:
	s_mov_b64 s[0:1], 0
.LBB70_2845:
	s_and_b64 vcc, exec, s[12:13]
	s_cbranch_vccz .LBB70_2850
; %bb.2846:
	v_mov_b32_e32 v3, 44
	v_cmp_eq_u16_sdwa s[12:13], v18, v3 src0_sel:BYTE_0 src1_sel:DWORD
	s_mov_b64 s[0:1], -1
	s_and_b64 vcc, exec, s[12:13]
	s_cbranch_vccz .LBB70_2850
; %bb.2847:
	v_cvt_f32_f64_e32 v3, v[8:9]
	v_bfe_u32 v4, v3, 23, 8
	s_movk_i32 s0, 0xff
	v_cmp_ne_u32_e32 vcc, s0, v4
	v_mov_b32_e32 v5, 0xff
	s_and_saveexec_b64 s[10:11], vcc
; %bb.2848:
	s_mov_b32 s0, 0x3fffff
	v_lshrrev_b32_e32 v5, 23, v3
	v_and_b32_e32 v6, 0x400000, v3
	v_and_or_b32 v3, v3, s0, v4
	v_cmp_ne_u32_e32 vcc, 0, v6
	v_cmp_ne_u32_e64 s[0:1], 0, v3
	s_and_b64 s[0:1], vcc, s[0:1]
	v_cndmask_b32_e64 v3, 0, 1, s[0:1]
	v_add_u32_e32 v5, v5, v3
; %bb.2849:
	s_or_b64 exec, exec, s[10:11]
	s_mov_b64 s[0:1], 0
	s_mov_b64 s[10:11], -1
	global_store_byte v[0:1], v5, off
.LBB70_2850:
	s_mov_b64 s[12:13], 0
.LBB70_2851:
	s_and_b64 vcc, exec, s[12:13]
	s_cbranch_vccz .LBB70_2854
; %bb.2852:
	v_mov_b32_e32 v3, 29
	v_cmp_eq_u16_sdwa s[12:13], v18, v3 src0_sel:BYTE_0 src1_sel:DWORD
	s_mov_b64 s[0:1], -1
	s_and_b64 vcc, exec, s[12:13]
	s_cbranch_vccz .LBB70_2854
; %bb.2853:
	v_trunc_f64_e32 v[4:5], v[8:9]
	s_movk_i32 s0, 0xffe0
	v_ldexp_f64 v[6:7], v[4:5], s0
	v_floor_f64_e32 v[6:7], v[6:7]
	v_fmac_f64_e32 v[4:5], 0xc1f00000, v[6:7]
	v_cvt_u32_f64_e32 v11, v[6:7]
	v_cvt_u32_f64_e32 v10, v[4:5]
	global_store_dwordx2 v[0:1], v[10:11], off
	s_mov_b64 s[0:1], 0
	s_mov_b64 s[10:11], -1
.LBB70_2854:
	s_mov_b64 s[12:13], 0
.LBB70_2855:
	s_and_b64 vcc, exec, s[12:13]
	s_cbranch_vccz .LBB70_2871
; %bb.2856:
	v_mov_b32_e32 v3, 27
	v_cmp_lt_i16_sdwa s[12:13], v18, v3 src0_sel:BYTE_0 src1_sel:DWORD
	s_mov_b64 s[10:11], -1
	s_and_b64 vcc, exec, s[12:13]
	s_cbranch_vccnz .LBB70_2862
; %bb.2857:
	v_cmp_gt_i16_sdwa s[12:13], v18, v3 src0_sel:BYTE_0 src1_sel:DWORD
	s_and_b64 vcc, exec, s[12:13]
	v_cvt_u32_f64_e32 v3, v[8:9]
	s_cbranch_vccz .LBB70_2859
; %bb.2858:
	s_mov_b64 s[10:11], 0
	global_store_dword v[0:1], v3, off
.LBB70_2859:
	s_andn2_b64 vcc, exec, s[10:11]
	s_cbranch_vccnz .LBB70_2861
; %bb.2860:
	global_store_short v[0:1], v3, off
.LBB70_2861:
	s_mov_b64 s[10:11], 0
.LBB70_2862:
	s_andn2_b64 vcc, exec, s[10:11]
	s_cbranch_vccnz .LBB70_2870
; %bb.2863:
	v_cvt_f32_f64_e32 v3, v[8:9]
	v_and_b32_e32 v4, 0x7fffffff, v3
	s_mov_b32 s10, 0x43800000
	v_cmp_gt_u32_e32 vcc, s10, v4
	v_mov_b32_e32 v5, 0x80
	s_and_saveexec_b64 s[10:11], vcc
	s_cbranch_execz .LBB70_2869
; %bb.2864:
	s_mov_b32 s12, 0x3bffffff
	v_cmp_lt_u32_e32 vcc, s12, v4
	s_mov_b64 s[12:13], 0
                                        ; implicit-def: $vgpr4
	s_and_saveexec_b64 s[14:15], vcc
	s_xor_b64 s[14:15], exec, s[14:15]
	s_cbranch_execz .LBB70_3078
; %bb.2865:
	v_bfe_u32 v4, v3, 20, 1
	s_mov_b32 s17, 0x487ffff
	v_add3_u32 v4, v3, v4, s17
	s_mov_b64 s[12:13], exec
	v_lshrrev_b32_e32 v4, 20, v4
	s_or_saveexec_b64 s[14:15], s[14:15]
                                        ; implicit-def: $sgpr17
	s_xor_b64 exec, exec, s[14:15]
	s_cbranch_execnz .LBB70_3079
.LBB70_2866:
	s_or_b64 exec, exec, s[14:15]
	v_mov_b32_e32 v5, s17
	s_and_saveexec_b64 s[14:15], s[12:13]
.LBB70_2867:
	v_lshrrev_b32_e32 v3, 24, v3
	s_movk_i32 s12, 0x80
	v_and_or_b32 v5, v3, s12, v4
.LBB70_2868:
	s_or_b64 exec, exec, s[14:15]
.LBB70_2869:
	s_or_b64 exec, exec, s[10:11]
	global_store_byte v[0:1], v5, off
.LBB70_2870:
	s_mov_b64 s[10:11], -1
.LBB70_2871:
	s_mov_b64 s[12:13], 0
.LBB70_2872:
	s_and_b64 vcc, exec, s[12:13]
	s_cbranch_vccz .LBB70_2912
; %bb.2873:
	v_mov_b32_e32 v3, 22
	v_cmp_gt_i16_sdwa s[12:13], v18, v3 src0_sel:BYTE_0 src1_sel:DWORD
	s_mov_b64 s[2:3], -1
	s_and_b64 vcc, exec, s[12:13]
	s_cbranch_vccz .LBB70_2905
; %bb.2874:
	v_mov_b32_e32 v3, 24
	v_cmp_lt_i16_sdwa s[10:11], v18, v3 src0_sel:BYTE_0 src1_sel:DWORD
	s_and_b64 vcc, exec, s[10:11]
	s_cbranch_vccnz .LBB70_2894
; %bb.2875:
	v_cmp_gt_i16_sdwa s[10:11], v18, v3 src0_sel:BYTE_0 src1_sel:DWORD
	s_and_b64 vcc, exec, s[10:11]
	s_cbranch_vccz .LBB70_2883
; %bb.2876:
	v_cvt_f32_f64_e32 v3, v[8:9]
	v_and_b32_e32 v4, 0x7fffffff, v3
	s_mov_b32 s2, 0x47800000
	v_cmp_gt_u32_e32 vcc, s2, v4
	v_mov_b32_e32 v5, 0x80
	s_and_saveexec_b64 s[2:3], vcc
	s_cbranch_execz .LBB70_2882
; %bb.2877:
	s_mov_b32 s10, 0x37ffffff
	v_cmp_lt_u32_e32 vcc, s10, v4
	s_mov_b64 s[10:11], 0
                                        ; implicit-def: $vgpr4
	s_and_saveexec_b64 s[12:13], vcc
	s_xor_b64 s[12:13], exec, s[12:13]
	s_cbranch_execz .LBB70_3081
; %bb.2878:
	v_bfe_u32 v4, v3, 21, 1
	s_mov_b32 s14, 0x88fffff
	v_add3_u32 v4, v3, v4, s14
	s_mov_b64 s[10:11], exec
	v_lshrrev_b32_e32 v4, 21, v4
	s_or_saveexec_b64 s[12:13], s[12:13]
                                        ; implicit-def: $sgpr14
	s_xor_b64 exec, exec, s[12:13]
	s_cbranch_execnz .LBB70_3082
.LBB70_2879:
	s_or_b64 exec, exec, s[12:13]
	v_mov_b32_e32 v5, s14
	s_and_saveexec_b64 s[12:13], s[10:11]
.LBB70_2880:
	v_lshrrev_b32_e32 v3, 24, v3
	s_movk_i32 s10, 0x80
	v_and_or_b32 v5, v3, s10, v4
.LBB70_2881:
	s_or_b64 exec, exec, s[12:13]
.LBB70_2882:
	s_or_b64 exec, exec, s[2:3]
	s_mov_b64 s[2:3], 0
	global_store_byte v[0:1], v5, off
.LBB70_2883:
	s_and_b64 vcc, exec, s[2:3]
	s_cbranch_vccz .LBB70_2893
; %bb.2884:
	v_cvt_f32_f64_e32 v3, v[8:9]
	v_and_b32_e32 v5, 0x7fffffff, v3
	s_mov_b32 s2, 0x43f00000
	v_cmp_gt_u32_e32 vcc, s2, v5
                                        ; implicit-def: $vgpr4
	s_and_saveexec_b64 s[2:3], vcc
	s_xor_b64 s[2:3], exec, s[2:3]
	s_cbranch_execz .LBB70_2890
; %bb.2885:
	s_mov_b32 s10, 0x3c7fffff
	v_cmp_lt_u32_e32 vcc, s10, v5
                                        ; implicit-def: $vgpr4
	s_and_saveexec_b64 s[10:11], vcc
	s_xor_b64 s[10:11], exec, s[10:11]
; %bb.2886:
	v_bfe_u32 v4, v3, 20, 1
	s_mov_b32 s12, 0x407ffff
	v_add3_u32 v4, v3, v4, s12
	v_lshrrev_b32_e32 v5, 20, v4
	v_and_b32_e32 v4, 0xff00000, v4
	s_mov_b32 s12, 0x7f00000
	v_mov_b32_e32 v6, 0x7e
	v_cmp_ne_u32_e32 vcc, s12, v4
	v_cndmask_b32_e32 v4, v6, v5, vcc
; %bb.2887:
	s_andn2_saveexec_b64 s[10:11], s[10:11]
; %bb.2888:
	s_mov_b32 s12, 0x46800000
	v_add_f32_e64 v4, |v3|, s12
; %bb.2889:
	s_or_b64 exec, exec, s[10:11]
                                        ; implicit-def: $vgpr5
.LBB70_2890:
	s_andn2_saveexec_b64 s[2:3], s[2:3]
; %bb.2891:
	s_mov_b32 s10, 0x7f800000
	v_mov_b32_e32 v4, 0x7e
	v_mov_b32_e32 v6, 0x7f
	v_cmp_lt_u32_e32 vcc, s10, v5
	v_cndmask_b32_e32 v4, v4, v6, vcc
; %bb.2892:
	s_or_b64 exec, exec, s[2:3]
	v_lshrrev_b32_e32 v3, 24, v3
	s_movk_i32 s2, 0x80
	v_and_or_b32 v3, v3, s2, v4
	global_store_byte v[0:1], v3, off
.LBB70_2893:
	s_mov_b64 s[2:3], 0
.LBB70_2894:
	s_andn2_b64 vcc, exec, s[2:3]
	s_cbranch_vccnz .LBB70_2904
; %bb.2895:
	v_cvt_f32_f64_e32 v3, v[8:9]
	v_and_b32_e32 v5, 0x7fffffff, v3
	s_mov_b32 s2, 0x47800000
	v_cmp_gt_u32_e32 vcc, s2, v5
                                        ; implicit-def: $vgpr4
	s_and_saveexec_b64 s[2:3], vcc
	s_xor_b64 s[2:3], exec, s[2:3]
	s_cbranch_execz .LBB70_2901
; %bb.2896:
	s_mov_b32 s10, 0x387fffff
	v_cmp_lt_u32_e32 vcc, s10, v5
                                        ; implicit-def: $vgpr4
	s_and_saveexec_b64 s[10:11], vcc
	s_xor_b64 s[10:11], exec, s[10:11]
; %bb.2897:
	v_bfe_u32 v4, v3, 21, 1
	s_mov_b32 s12, 0x80fffff
	v_add3_u32 v4, v3, v4, s12
	v_lshrrev_b32_e32 v4, 21, v4
; %bb.2898:
	s_andn2_saveexec_b64 s[10:11], s[10:11]
; %bb.2899:
	s_mov_b32 s12, 0x43000000
	v_add_f32_e64 v4, |v3|, s12
; %bb.2900:
	s_or_b64 exec, exec, s[10:11]
                                        ; implicit-def: $vgpr5
.LBB70_2901:
	s_andn2_saveexec_b64 s[2:3], s[2:3]
; %bb.2902:
	s_mov_b32 s10, 0x7f800000
	v_mov_b32_e32 v4, 0x7c
	v_mov_b32_e32 v6, 0x7f
	v_cmp_lt_u32_e32 vcc, s10, v5
	v_cndmask_b32_e32 v4, v4, v6, vcc
; %bb.2903:
	s_or_b64 exec, exec, s[2:3]
	v_lshrrev_b32_e32 v3, 24, v3
	s_movk_i32 s2, 0x80
	v_and_or_b32 v3, v3, s2, v4
	global_store_byte v[0:1], v3, off
.LBB70_2904:
	s_mov_b64 s[2:3], 0
	s_mov_b64 s[10:11], -1
.LBB70_2905:
	s_andn2_b64 vcc, exec, s[2:3]
	s_mov_b64 s[2:3], 0
	s_cbranch_vccnz .LBB70_2912
; %bb.2906:
	v_mov_b32_e32 v3, 14
	v_cmp_gt_i16_sdwa s[2:3], v18, v3 src0_sel:BYTE_0 src1_sel:DWORD
	s_mov_b64 s[12:13], -1
	s_and_b64 vcc, exec, s[2:3]
	s_cbranch_vccz .LBB70_2910
; %bb.2907:
	v_mov_b32_e32 v3, 15
	v_cmp_eq_u16_sdwa s[2:3], v18, v3 src0_sel:BYTE_0 src1_sel:DWORD
	s_mov_b64 s[0:1], -1
	s_and_b64 vcc, exec, s[2:3]
	s_cbranch_vccz .LBB70_2909
; %bb.2908:
	v_cvt_f32_f64_e32 v3, v[8:9]
	v_bfe_u32 v4, v3, 16, 1
	s_movk_i32 s0, 0x7fff
	v_add3_u32 v4, v3, v4, s0
	v_lshrrev_b32_e32 v4, 16, v4
	v_mov_b32_e32 v5, 0x7fc0
	v_cmp_o_f32_e32 vcc, v3, v3
	v_cndmask_b32_e32 v3, v5, v4, vcc
	global_store_short v[0:1], v3, off
	s_mov_b64 s[0:1], 0
	s_mov_b64 s[10:11], -1
.LBB70_2909:
	s_mov_b64 s[12:13], 0
.LBB70_2910:
	s_mov_b64 s[2:3], 0
	s_and_b64 vcc, exec, s[12:13]
	s_cbranch_vccz .LBB70_2912
; %bb.2911:
	v_mov_b32_e32 v3, 11
	v_cmp_ne_u16_sdwa s[0:1], v18, v3 src0_sel:BYTE_0 src1_sel:DWORD
	s_mov_b64 s[2:3], -1
.LBB70_2912:
	s_and_b64 vcc, exec, s[0:1]
	s_cbranch_vccnz .LBB70_3080
; %bb.2913:
	s_andn2_b64 vcc, exec, s[2:3]
	s_cbranch_vccnz .LBB70_2915
.LBB70_2914:
	v_cmp_neq_f64_e32 vcc, 0, v[8:9]
	v_cndmask_b32_e64 v3, 0, 1, vcc
	s_mov_b64 s[10:11], -1
	global_store_byte v[0:1], v3, off
.LBB70_2915:
	s_mov_b64 s[0:1], 0
.LBB70_2916:
	s_and_b64 vcc, exec, s[0:1]
	s_cbranch_vccz .LBB70_2955
; %bb.2917:
	v_mov_b32_e32 v3, 5
	v_cmp_lt_i16_sdwa s[2:3], v18, v3 src0_sel:BYTE_0 src1_sel:DWORD
	s_mov_b64 s[0:1], -1
	s_and_b64 vcc, exec, s[2:3]
	s_cbranch_vccnz .LBB70_2938
; %bb.2918:
	v_mov_b32_e32 v3, 8
	v_cmp_lt_i16_sdwa s[2:3], v18, v3 src0_sel:BYTE_0 src1_sel:DWORD
	s_and_b64 vcc, exec, s[2:3]
	s_cbranch_vccnz .LBB70_2928
; %bb.2919:
	v_mov_b32_e32 v3, 9
	v_cmp_lt_i16_sdwa s[2:3], v18, v3 src0_sel:BYTE_0 src1_sel:DWORD
	s_and_b64 vcc, exec, s[2:3]
	s_cbranch_vccnz .LBB70_2925
; %bb.2920:
	v_cmp_gt_i16_sdwa s[2:3], v18, v3 src0_sel:BYTE_0 src1_sel:DWORD
	s_and_b64 vcc, exec, s[2:3]
	s_cbranch_vccz .LBB70_2922
; %bb.2921:
	v_mov_b32_e32 v10, 0
	v_mov_b32_e32 v11, v10
	global_store_dwordx4 v[0:1], v[8:11], off
	s_mov_b64 s[0:1], 0
.LBB70_2922:
	s_andn2_b64 vcc, exec, s[0:1]
	s_cbranch_vccnz .LBB70_2924
; %bb.2923:
	v_cvt_f32_f64_e32 v4, v[8:9]
	v_mov_b32_e32 v5, 0
	global_store_dwordx2 v[0:1], v[4:5], off
.LBB70_2924:
	s_mov_b64 s[0:1], 0
.LBB70_2925:
	s_andn2_b64 vcc, exec, s[0:1]
	s_cbranch_vccnz .LBB70_2927
; %bb.2926:
	v_cvt_f32_f64_e32 v3, v[8:9]
	v_cvt_f16_f32_e32 v3, v3
	global_store_dword v[0:1], v3, off
.LBB70_2927:
	s_mov_b64 s[0:1], 0
.LBB70_2928:
	s_andn2_b64 vcc, exec, s[0:1]
	s_cbranch_vccnz .LBB70_2937
; %bb.2929:
	v_mov_b32_e32 v3, 6
	v_cmp_lt_i16_sdwa s[2:3], v18, v3 src0_sel:BYTE_0 src1_sel:DWORD
	s_mov_b64 s[0:1], -1
	s_and_b64 vcc, exec, s[2:3]
	s_cbranch_vccnz .LBB70_2935
; %bb.2930:
	v_cmp_gt_i16_sdwa s[2:3], v18, v3 src0_sel:BYTE_0 src1_sel:DWORD
	s_and_b64 vcc, exec, s[2:3]
	s_cbranch_vccz .LBB70_2932
; %bb.2931:
	global_store_dwordx2 v[0:1], v[8:9], off
	s_mov_b64 s[0:1], 0
.LBB70_2932:
	s_andn2_b64 vcc, exec, s[0:1]
	s_cbranch_vccnz .LBB70_2934
; %bb.2933:
	v_cvt_f32_f64_e32 v3, v[8:9]
	global_store_dword v[0:1], v3, off
.LBB70_2934:
	s_mov_b64 s[0:1], 0
.LBB70_2935:
	s_andn2_b64 vcc, exec, s[0:1]
	s_cbranch_vccnz .LBB70_2937
; %bb.2936:
	v_cvt_f32_f64_e32 v3, v[8:9]
	v_cvt_f16_f32_e32 v3, v3
	global_store_short v[0:1], v3, off
.LBB70_2937:
	s_mov_b64 s[0:1], 0
.LBB70_2938:
	s_andn2_b64 vcc, exec, s[0:1]
	s_cbranch_vccnz .LBB70_2954
; %bb.2939:
	v_mov_b32_e32 v3, 2
	v_cmp_lt_i16_sdwa s[2:3], v18, v3 src0_sel:BYTE_0 src1_sel:DWORD
	s_mov_b64 s[0:1], -1
	s_and_b64 vcc, exec, s[2:3]
	s_cbranch_vccnz .LBB70_2949
; %bb.2940:
	v_mov_b32_e32 v3, 3
	v_cmp_lt_i16_sdwa s[2:3], v18, v3 src0_sel:BYTE_0 src1_sel:DWORD
	s_and_b64 vcc, exec, s[2:3]
	s_cbranch_vccnz .LBB70_2946
; %bb.2941:
	v_cmp_gt_i16_sdwa s[2:3], v18, v3 src0_sel:BYTE_0 src1_sel:DWORD
	s_and_b64 vcc, exec, s[2:3]
	s_cbranch_vccz .LBB70_2943
; %bb.2942:
	v_trunc_f64_e32 v[4:5], v[8:9]
	s_movk_i32 s0, 0xffe0
	v_ldexp_f64 v[6:7], v[4:5], s0
	v_floor_f64_e32 v[6:7], v[6:7]
	v_fmac_f64_e32 v[4:5], 0xc1f00000, v[6:7]
	v_cvt_i32_f64_e32 v11, v[6:7]
	v_cvt_u32_f64_e32 v10, v[4:5]
	global_store_dwordx2 v[0:1], v[10:11], off
	s_mov_b64 s[0:1], 0
.LBB70_2943:
	s_andn2_b64 vcc, exec, s[0:1]
	s_cbranch_vccnz .LBB70_2945
; %bb.2944:
	v_cvt_i32_f64_e32 v3, v[8:9]
	global_store_dword v[0:1], v3, off
.LBB70_2945:
	s_mov_b64 s[0:1], 0
.LBB70_2946:
	s_andn2_b64 vcc, exec, s[0:1]
	s_cbranch_vccnz .LBB70_2948
; %bb.2947:
	v_cvt_i32_f64_e32 v3, v[8:9]
	global_store_short v[0:1], v3, off
.LBB70_2948:
	s_mov_b64 s[0:1], 0
.LBB70_2949:
	s_andn2_b64 vcc, exec, s[0:1]
	s_cbranch_vccnz .LBB70_2954
; %bb.2950:
	v_mov_b32_e32 v3, 0
	v_cmp_gt_i16_sdwa s[2:3], v18, v3 src0_sel:BYTE_0 src1_sel:DWORD
	s_mov_b64 s[0:1], -1
	s_and_b64 vcc, exec, s[2:3]
	s_cbranch_vccz .LBB70_2952
; %bb.2951:
	v_cvt_i32_f64_e32 v3, v[8:9]
	global_store_byte v[0:1], v3, off
	s_mov_b64 s[0:1], 0
.LBB70_2952:
	s_andn2_b64 vcc, exec, s[0:1]
	s_cbranch_vccnz .LBB70_2954
; %bb.2953:
	v_trunc_f64_e32 v[4:5], v[8:9]
	s_movk_i32 s0, 0xffe0
	v_ldexp_f64 v[6:7], v[4:5], s0
	v_floor_f64_e32 v[6:7], v[6:7]
	v_fmac_f64_e32 v[4:5], 0xc1f00000, v[6:7]
	v_cvt_u32_f64_e32 v3, v[4:5]
	global_store_byte v[0:1], v3, off
.LBB70_2954:
	s_mov_b64 s[10:11], -1
.LBB70_2955:
	s_andn2_b64 vcc, exec, s[10:11]
	s_cbranch_vccnz .LBB70_3032
; %bb.2956:
	v_add_u32_e32 v0, s16, v2
	v_ashrrev_i32_e32 v1, 31, v0
	v_mov_b32_e32 v2, s9
	v_add_co_u32_e32 v0, vcc, s8, v0
	v_addc_co_u32_e32 v1, vcc, v2, v1, vcc
	v_and_b32_e32 v2, 0xff, v18
	s_brev_b32 s0, -2
	v_cmp_gt_i16_e32 vcc, 11, v2
	s_waitcnt vmcnt(0)
	v_bfi_b32 v13, s0, v13, v15
	s_cbranch_vccnz .LBB70_3077
; %bb.2957:
	v_cmp_lt_i16_e32 vcc, 25, v2
	s_mov_b64 s[8:9], -1
	s_mov_b64 s[2:3], 0
	s_mov_b64 s[0:1], 0
	s_cbranch_vccz .LBB70_2990
; %bb.2958:
	v_cmp_lt_i16_e32 vcc, 28, v2
	s_cbranch_vccz .LBB70_2974
; %bb.2959:
	v_cmp_lt_i16_e32 vcc, 43, v2
	s_cbranch_vccz .LBB70_2970
; %bb.2960:
	v_cmp_lt_i16_e32 vcc, 45, v2
	s_cbranch_vccz .LBB70_2964
; %bb.2961:
	v_cmp_eq_u16_e32 vcc, 46, v2
	s_mov_b64 s[0:1], -1
	s_cbranch_vccz .LBB70_2963
; %bb.2962:
	v_cvt_f32_f64_e32 v3, v[12:13]
	v_bfe_u32 v4, v3, 16, 1
	s_movk_i32 s0, 0x7fff
	v_add3_u32 v4, v3, v4, s0
	v_lshrrev_b32_e32 v4, 16, v4
	v_mov_b32_e32 v5, 0x7fc0
	v_cmp_o_f32_e32 vcc, v3, v3
	v_cndmask_b32_e32 v3, v5, v4, vcc
	global_store_dword v[0:1], v3, off
	s_mov_b64 s[0:1], 0
.LBB70_2963:
	s_mov_b64 s[8:9], 0
.LBB70_2964:
	s_and_b64 vcc, exec, s[8:9]
	s_cbranch_vccz .LBB70_2969
; %bb.2965:
	v_cmp_eq_u16_e32 vcc, 44, v2
	s_mov_b64 s[0:1], -1
	s_cbranch_vccz .LBB70_2969
; %bb.2966:
	v_cvt_f32_f64_e32 v3, v[12:13]
	v_bfe_u32 v4, v3, 23, 8
	s_movk_i32 s0, 0xff
	v_cmp_ne_u32_e32 vcc, s0, v4
	v_mov_b32_e32 v5, 0xff
	s_and_saveexec_b64 s[8:9], vcc
; %bb.2967:
	s_mov_b32 s0, 0x3fffff
	v_lshrrev_b32_e32 v5, 23, v3
	v_and_b32_e32 v6, 0x400000, v3
	v_and_or_b32 v3, v3, s0, v4
	v_cmp_ne_u32_e32 vcc, 0, v6
	v_cmp_ne_u32_e64 s[0:1], 0, v3
	s_and_b64 s[0:1], vcc, s[0:1]
	v_cndmask_b32_e64 v3, 0, 1, s[0:1]
	v_add_u32_e32 v5, v5, v3
; %bb.2968:
	s_or_b64 exec, exec, s[8:9]
	s_mov_b64 s[0:1], 0
	global_store_byte v[0:1], v5, off
.LBB70_2969:
	s_mov_b64 s[8:9], 0
.LBB70_2970:
	s_and_b64 vcc, exec, s[8:9]
	s_cbranch_vccz .LBB70_2973
; %bb.2971:
	v_cmp_eq_u16_e32 vcc, 29, v2
	s_mov_b64 s[0:1], -1
	s_cbranch_vccz .LBB70_2973
; %bb.2972:
	v_trunc_f64_e32 v[4:5], v[12:13]
	s_movk_i32 s0, 0xffe0
	v_ldexp_f64 v[6:7], v[4:5], s0
	v_floor_f64_e32 v[6:7], v[6:7]
	v_fmac_f64_e32 v[4:5], 0xc1f00000, v[6:7]
	v_cvt_u32_f64_e32 v9, v[6:7]
	v_cvt_u32_f64_e32 v8, v[4:5]
	global_store_dwordx2 v[0:1], v[8:9], off
	s_mov_b64 s[0:1], 0
.LBB70_2973:
	s_mov_b64 s[8:9], 0
.LBB70_2974:
	s_and_b64 vcc, exec, s[8:9]
	s_cbranch_vccz .LBB70_2989
; %bb.2975:
	v_cmp_gt_i16_e32 vcc, 27, v2
	s_mov_b64 s[8:9], -1
	s_cbranch_vccnz .LBB70_2981
; %bb.2976:
	v_cmp_lt_i16_e32 vcc, 27, v2
	v_cvt_u32_f64_e32 v3, v[12:13]
	s_cbranch_vccz .LBB70_2978
; %bb.2977:
	global_store_dword v[0:1], v3, off
	s_mov_b64 s[8:9], 0
.LBB70_2978:
	s_andn2_b64 vcc, exec, s[8:9]
	s_cbranch_vccnz .LBB70_2980
; %bb.2979:
	global_store_short v[0:1], v3, off
.LBB70_2980:
	s_mov_b64 s[8:9], 0
.LBB70_2981:
	s_andn2_b64 vcc, exec, s[8:9]
	s_cbranch_vccnz .LBB70_2989
; %bb.2982:
	v_cvt_f32_f64_e32 v3, v[12:13]
	v_and_b32_e32 v4, 0x7fffffff, v3
	s_mov_b32 s8, 0x43800000
	v_cmp_gt_u32_e32 vcc, s8, v4
	v_mov_b32_e32 v5, 0x80
	s_and_saveexec_b64 s[8:9], vcc
	s_cbranch_execz .LBB70_2988
; %bb.2983:
	s_mov_b32 s10, 0x3bffffff
	v_cmp_lt_u32_e32 vcc, s10, v4
	s_mov_b64 s[10:11], 0
                                        ; implicit-def: $vgpr4
	s_and_saveexec_b64 s[12:13], vcc
	s_xor_b64 s[12:13], exec, s[12:13]
	s_cbranch_execz .LBB70_3083
; %bb.2984:
	v_bfe_u32 v4, v3, 20, 1
	s_mov_b32 s14, 0x487ffff
	v_add3_u32 v4, v3, v4, s14
	s_mov_b64 s[10:11], exec
	v_lshrrev_b32_e32 v4, 20, v4
	s_or_saveexec_b64 s[12:13], s[12:13]
                                        ; implicit-def: $sgpr14
	s_xor_b64 exec, exec, s[12:13]
	s_cbranch_execnz .LBB70_3084
.LBB70_2985:
	s_or_b64 exec, exec, s[12:13]
	v_mov_b32_e32 v5, s14
	s_and_saveexec_b64 s[12:13], s[10:11]
.LBB70_2986:
	v_lshrrev_b32_e32 v3, 24, v3
	s_movk_i32 s10, 0x80
	v_and_or_b32 v5, v3, s10, v4
.LBB70_2987:
	s_or_b64 exec, exec, s[12:13]
.LBB70_2988:
	s_or_b64 exec, exec, s[8:9]
	global_store_byte v[0:1], v5, off
.LBB70_2989:
	s_mov_b64 s[8:9], 0
.LBB70_2990:
	s_and_b64 vcc, exec, s[8:9]
	s_cbranch_vccz .LBB70_3030
; %bb.2991:
	v_cmp_lt_i16_e32 vcc, 22, v2
	s_mov_b64 s[2:3], -1
	s_cbranch_vccz .LBB70_3023
; %bb.2992:
	v_cmp_gt_i16_e32 vcc, 24, v2
	s_cbranch_vccnz .LBB70_3012
; %bb.2993:
	v_cmp_lt_i16_e32 vcc, 24, v2
	s_cbranch_vccz .LBB70_3001
; %bb.2994:
	v_cvt_f32_f64_e32 v3, v[12:13]
	v_and_b32_e32 v4, 0x7fffffff, v3
	s_mov_b32 s2, 0x47800000
	v_cmp_gt_u32_e32 vcc, s2, v4
	v_mov_b32_e32 v5, 0x80
	s_and_saveexec_b64 s[2:3], vcc
	s_cbranch_execz .LBB70_3000
; %bb.2995:
	s_mov_b32 s8, 0x37ffffff
	v_cmp_lt_u32_e32 vcc, s8, v4
	s_mov_b64 s[8:9], 0
                                        ; implicit-def: $vgpr4
	s_and_saveexec_b64 s[10:11], vcc
	s_xor_b64 s[10:11], exec, s[10:11]
	s_cbranch_execz .LBB70_3086
; %bb.2996:
	v_bfe_u32 v4, v3, 21, 1
	s_mov_b32 s12, 0x88fffff
	v_add3_u32 v4, v3, v4, s12
	s_mov_b64 s[8:9], exec
	v_lshrrev_b32_e32 v4, 21, v4
	s_or_saveexec_b64 s[10:11], s[10:11]
                                        ; implicit-def: $sgpr12
	s_xor_b64 exec, exec, s[10:11]
	s_cbranch_execnz .LBB70_3087
.LBB70_2997:
	s_or_b64 exec, exec, s[10:11]
	v_mov_b32_e32 v5, s12
	s_and_saveexec_b64 s[10:11], s[8:9]
.LBB70_2998:
	v_lshrrev_b32_e32 v3, 24, v3
	s_movk_i32 s8, 0x80
	v_and_or_b32 v5, v3, s8, v4
.LBB70_2999:
	s_or_b64 exec, exec, s[10:11]
.LBB70_3000:
	s_or_b64 exec, exec, s[2:3]
	s_mov_b64 s[2:3], 0
	global_store_byte v[0:1], v5, off
.LBB70_3001:
	s_and_b64 vcc, exec, s[2:3]
	s_cbranch_vccz .LBB70_3011
; %bb.3002:
	v_cvt_f32_f64_e32 v3, v[12:13]
	v_and_b32_e32 v5, 0x7fffffff, v3
	s_mov_b32 s2, 0x43f00000
	v_cmp_gt_u32_e32 vcc, s2, v5
                                        ; implicit-def: $vgpr4
	s_and_saveexec_b64 s[2:3], vcc
	s_xor_b64 s[2:3], exec, s[2:3]
	s_cbranch_execz .LBB70_3008
; %bb.3003:
	s_mov_b32 s8, 0x3c7fffff
	v_cmp_lt_u32_e32 vcc, s8, v5
                                        ; implicit-def: $vgpr4
	s_and_saveexec_b64 s[8:9], vcc
	s_xor_b64 s[8:9], exec, s[8:9]
; %bb.3004:
	v_bfe_u32 v4, v3, 20, 1
	s_mov_b32 s10, 0x407ffff
	v_add3_u32 v4, v3, v4, s10
	v_lshrrev_b32_e32 v5, 20, v4
	v_and_b32_e32 v4, 0xff00000, v4
	s_mov_b32 s10, 0x7f00000
	v_mov_b32_e32 v6, 0x7e
	v_cmp_ne_u32_e32 vcc, s10, v4
	v_cndmask_b32_e32 v4, v6, v5, vcc
; %bb.3005:
	s_andn2_saveexec_b64 s[8:9], s[8:9]
; %bb.3006:
	s_mov_b32 s10, 0x46800000
	v_add_f32_e64 v4, |v3|, s10
; %bb.3007:
	s_or_b64 exec, exec, s[8:9]
                                        ; implicit-def: $vgpr5
.LBB70_3008:
	s_andn2_saveexec_b64 s[2:3], s[2:3]
; %bb.3009:
	s_mov_b32 s8, 0x7f800000
	v_mov_b32_e32 v4, 0x7e
	v_mov_b32_e32 v6, 0x7f
	v_cmp_lt_u32_e32 vcc, s8, v5
	v_cndmask_b32_e32 v4, v4, v6, vcc
; %bb.3010:
	s_or_b64 exec, exec, s[2:3]
	v_lshrrev_b32_e32 v3, 24, v3
	s_movk_i32 s2, 0x80
	v_and_or_b32 v3, v3, s2, v4
	global_store_byte v[0:1], v3, off
.LBB70_3011:
	s_mov_b64 s[2:3], 0
.LBB70_3012:
	s_andn2_b64 vcc, exec, s[2:3]
	s_cbranch_vccnz .LBB70_3022
; %bb.3013:
	v_cvt_f32_f64_e32 v3, v[12:13]
	v_and_b32_e32 v5, 0x7fffffff, v3
	s_mov_b32 s2, 0x47800000
	v_cmp_gt_u32_e32 vcc, s2, v5
                                        ; implicit-def: $vgpr4
	s_and_saveexec_b64 s[2:3], vcc
	s_xor_b64 s[2:3], exec, s[2:3]
	s_cbranch_execz .LBB70_3019
; %bb.3014:
	s_mov_b32 s8, 0x387fffff
	v_cmp_lt_u32_e32 vcc, s8, v5
                                        ; implicit-def: $vgpr4
	s_and_saveexec_b64 s[8:9], vcc
	s_xor_b64 s[8:9], exec, s[8:9]
; %bb.3015:
	v_bfe_u32 v4, v3, 21, 1
	s_mov_b32 s10, 0x80fffff
	v_add3_u32 v4, v3, v4, s10
	v_lshrrev_b32_e32 v4, 21, v4
; %bb.3016:
	s_andn2_saveexec_b64 s[8:9], s[8:9]
; %bb.3017:
	s_mov_b32 s10, 0x43000000
	v_add_f32_e64 v4, |v3|, s10
; %bb.3018:
	s_or_b64 exec, exec, s[8:9]
                                        ; implicit-def: $vgpr5
.LBB70_3019:
	s_andn2_saveexec_b64 s[2:3], s[2:3]
; %bb.3020:
	s_mov_b32 s8, 0x7f800000
	v_mov_b32_e32 v4, 0x7c
	v_mov_b32_e32 v6, 0x7f
	v_cmp_lt_u32_e32 vcc, s8, v5
	v_cndmask_b32_e32 v4, v4, v6, vcc
; %bb.3021:
	s_or_b64 exec, exec, s[2:3]
	v_lshrrev_b32_e32 v3, 24, v3
	s_movk_i32 s2, 0x80
	v_and_or_b32 v3, v3, s2, v4
	global_store_byte v[0:1], v3, off
.LBB70_3022:
	s_mov_b64 s[2:3], 0
.LBB70_3023:
	s_andn2_b64 vcc, exec, s[2:3]
	s_mov_b64 s[2:3], 0
	s_cbranch_vccnz .LBB70_3030
; %bb.3024:
	v_cmp_lt_i16_e32 vcc, 14, v2
	s_mov_b64 s[8:9], -1
	s_cbranch_vccz .LBB70_3028
; %bb.3025:
	v_cmp_eq_u16_e32 vcc, 15, v2
	s_mov_b64 s[0:1], -1
	s_cbranch_vccz .LBB70_3027
; %bb.3026:
	v_cvt_f32_f64_e32 v3, v[12:13]
	v_bfe_u32 v4, v3, 16, 1
	s_movk_i32 s0, 0x7fff
	v_add3_u32 v4, v3, v4, s0
	v_lshrrev_b32_e32 v4, 16, v4
	v_mov_b32_e32 v5, 0x7fc0
	v_cmp_o_f32_e32 vcc, v3, v3
	v_cndmask_b32_e32 v3, v5, v4, vcc
	global_store_short v[0:1], v3, off
	s_mov_b64 s[0:1], 0
.LBB70_3027:
	s_mov_b64 s[8:9], 0
.LBB70_3028:
	s_and_b64 vcc, exec, s[8:9]
	s_cbranch_vccz .LBB70_3030
; %bb.3029:
	v_cmp_ne_u16_e64 s[0:1], 11, v2
	s_mov_b64 s[2:3], -1
.LBB70_3030:
	s_and_b64 vcc, exec, s[0:1]
	s_cbranch_vccnz .LBB70_3085
.LBB70_3031:
	s_mov_b64 s[0:1], 0
	s_branch .LBB70_3033
.LBB70_3032:
	s_mov_b64 s[0:1], 0
	s_mov_b64 s[2:3], 0
                                        ; implicit-def: $vgpr2
                                        ; implicit-def: $vgpr0_vgpr1
                                        ; implicit-def: $vgpr12_vgpr13
.LBB70_3033:
	s_and_b64 s[16:17], s[2:3], exec
	s_andn2_b64 s[2:3], s[6:7], exec
	s_and_b64 s[6:7], s[18:19], exec
	s_and_b64 s[0:1], s[0:1], exec
	s_or_b64 s[6:7], s[2:3], s[6:7]
.LBB70_3034:
	s_or_b64 exec, exec, s[4:5]
	s_and_saveexec_b64 s[2:3], s[6:7]
	s_cbranch_execz .LBB70_3037
; %bb.3035:
	; divergent unreachable
	s_or_b64 exec, exec, s[2:3]
	s_and_saveexec_b64 s[2:3], s[16:17]
	s_xor_b64 s[2:3], exec, s[2:3]
	s_cbranch_execnz .LBB70_3038
.LBB70_3036:
	s_or_b64 exec, exec, s[2:3]
	s_and_saveexec_b64 s[2:3], s[0:1]
	s_cbranch_execnz .LBB70_3039
	s_branch .LBB70_3076
.LBB70_3037:
	s_or_b64 exec, exec, s[2:3]
	s_and_saveexec_b64 s[2:3], s[16:17]
	s_xor_b64 s[2:3], exec, s[2:3]
	s_cbranch_execz .LBB70_3036
.LBB70_3038:
	s_waitcnt vmcnt(0)
	v_cmp_neq_f64_e32 vcc, 0, v[12:13]
	v_cndmask_b32_e64 v3, 0, 1, vcc
	global_store_byte v[0:1], v3, off
	s_or_b64 exec, exec, s[2:3]
	s_and_saveexec_b64 s[2:3], s[0:1]
	s_cbranch_execz .LBB70_3076
.LBB70_3039:
	s_waitcnt vmcnt(0)
	v_cmp_gt_i16_e32 vcc, 5, v2
	s_mov_b64 s[0:1], -1
	s_cbranch_vccnz .LBB70_3060
; %bb.3040:
	v_cmp_gt_i16_e32 vcc, 8, v2
	s_cbranch_vccnz .LBB70_3050
; %bb.3041:
	v_cmp_gt_i16_e32 vcc, 9, v2
	s_cbranch_vccnz .LBB70_3047
; %bb.3042:
	v_cmp_lt_i16_e32 vcc, 9, v2
	s_cbranch_vccz .LBB70_3044
; %bb.3043:
	v_mov_b32_e32 v14, 0
	v_mov_b32_e32 v15, v14
	global_store_dwordx4 v[0:1], v[12:15], off
	s_mov_b64 s[0:1], 0
.LBB70_3044:
	s_andn2_b64 vcc, exec, s[0:1]
	s_cbranch_vccnz .LBB70_3046
; %bb.3045:
	v_cvt_f32_f64_e32 v4, v[12:13]
	v_mov_b32_e32 v5, 0
	global_store_dwordx2 v[0:1], v[4:5], off
.LBB70_3046:
	s_mov_b64 s[0:1], 0
.LBB70_3047:
	s_andn2_b64 vcc, exec, s[0:1]
	s_cbranch_vccnz .LBB70_3049
; %bb.3048:
	v_cvt_f32_f64_e32 v3, v[12:13]
	v_cvt_f16_f32_e32 v3, v3
	global_store_dword v[0:1], v3, off
.LBB70_3049:
	s_mov_b64 s[0:1], 0
.LBB70_3050:
	s_andn2_b64 vcc, exec, s[0:1]
	s_cbranch_vccnz .LBB70_3059
; %bb.3051:
	v_cmp_gt_i16_e32 vcc, 6, v2
	s_mov_b64 s[0:1], -1
	s_cbranch_vccnz .LBB70_3057
; %bb.3052:
	v_cmp_lt_i16_e32 vcc, 6, v2
	s_cbranch_vccz .LBB70_3054
; %bb.3053:
	global_store_dwordx2 v[0:1], v[12:13], off
	s_mov_b64 s[0:1], 0
.LBB70_3054:
	s_andn2_b64 vcc, exec, s[0:1]
	s_cbranch_vccnz .LBB70_3056
; %bb.3055:
	v_cvt_f32_f64_e32 v3, v[12:13]
	global_store_dword v[0:1], v3, off
.LBB70_3056:
	s_mov_b64 s[0:1], 0
.LBB70_3057:
	s_andn2_b64 vcc, exec, s[0:1]
	s_cbranch_vccnz .LBB70_3059
; %bb.3058:
	v_cvt_f32_f64_e32 v3, v[12:13]
	v_cvt_f16_f32_e32 v3, v3
	global_store_short v[0:1], v3, off
.LBB70_3059:
	s_mov_b64 s[0:1], 0
.LBB70_3060:
	s_andn2_b64 vcc, exec, s[0:1]
	s_cbranch_vccnz .LBB70_3076
; %bb.3061:
	v_cmp_gt_i16_e32 vcc, 2, v2
	s_mov_b64 s[0:1], -1
	s_cbranch_vccnz .LBB70_3071
; %bb.3062:
	v_cmp_gt_i16_e32 vcc, 3, v2
	s_cbranch_vccnz .LBB70_3068
; %bb.3063:
	v_cmp_lt_i16_e32 vcc, 3, v2
	s_cbranch_vccz .LBB70_3065
; %bb.3064:
	v_trunc_f64_e32 v[4:5], v[12:13]
	s_movk_i32 s0, 0xffe0
	v_ldexp_f64 v[6:7], v[4:5], s0
	v_floor_f64_e32 v[6:7], v[6:7]
	v_fmac_f64_e32 v[4:5], 0xc1f00000, v[6:7]
	v_cvt_i32_f64_e32 v9, v[6:7]
	v_cvt_u32_f64_e32 v8, v[4:5]
	global_store_dwordx2 v[0:1], v[8:9], off
	s_mov_b64 s[0:1], 0
.LBB70_3065:
	s_andn2_b64 vcc, exec, s[0:1]
	s_cbranch_vccnz .LBB70_3067
; %bb.3066:
	v_cvt_i32_f64_e32 v3, v[12:13]
	global_store_dword v[0:1], v3, off
.LBB70_3067:
	s_mov_b64 s[0:1], 0
.LBB70_3068:
	s_andn2_b64 vcc, exec, s[0:1]
	s_cbranch_vccnz .LBB70_3070
; %bb.3069:
	v_cvt_i32_f64_e32 v3, v[12:13]
	global_store_short v[0:1], v3, off
.LBB70_3070:
	s_mov_b64 s[0:1], 0
.LBB70_3071:
	s_andn2_b64 vcc, exec, s[0:1]
	s_cbranch_vccnz .LBB70_3076
; %bb.3072:
	v_cmp_lt_i16_e32 vcc, 0, v2
	s_mov_b64 s[0:1], -1
	s_cbranch_vccz .LBB70_3074
; %bb.3073:
	v_cvt_i32_f64_e32 v2, v[12:13]
	global_store_byte v[0:1], v2, off
	s_mov_b64 s[0:1], 0
.LBB70_3074:
	s_andn2_b64 vcc, exec, s[0:1]
	s_cbranch_vccnz .LBB70_3076
; %bb.3075:
	v_trunc_f64_e32 v[2:3], v[12:13]
	s_movk_i32 s0, 0xffe0
	v_ldexp_f64 v[4:5], v[2:3], s0
	v_floor_f64_e32 v[4:5], v[4:5]
	v_fmac_f64_e32 v[2:3], 0xc1f00000, v[4:5]
	v_cvt_u32_f64_e32 v2, v[2:3]
	global_store_byte v[0:1], v2, off
	s_endpgm
.LBB70_3076:
	s_endpgm
.LBB70_3077:
	s_mov_b64 s[2:3], 0
	s_mov_b64 s[0:1], -1
	s_branch .LBB70_3033
.LBB70_3078:
	s_or_saveexec_b64 s[14:15], s[14:15]
                                        ; implicit-def: $sgpr17
	s_xor_b64 exec, exec, s[14:15]
	s_cbranch_execz .LBB70_2866
.LBB70_3079:
	s_mov_b32 s17, 0x46000000
	v_add_f32_e64 v4, |v3|, s17
	v_and_b32_e32 v4, 0xff, v4
	v_cmp_ne_u32_e32 vcc, 0, v4
	s_andn2_b64 s[12:13], s[12:13], exec
	s_and_b64 s[20:21], vcc, exec
	s_mov_b32 s17, 0
	s_or_b64 s[12:13], s[12:13], s[20:21]
	s_or_b64 exec, exec, s[14:15]
	v_mov_b32_e32 v5, s17
	s_and_saveexec_b64 s[14:15], s[12:13]
	s_cbranch_execnz .LBB70_2867
	s_branch .LBB70_2868
.LBB70_3080:
	s_trap 2
	s_or_b64 s[18:19], s[18:19], exec
	s_cbranch_execz .LBB70_2914
	s_branch .LBB70_2915
.LBB70_3081:
	s_or_saveexec_b64 s[12:13], s[12:13]
                                        ; implicit-def: $sgpr14
	s_xor_b64 exec, exec, s[12:13]
	s_cbranch_execz .LBB70_2879
.LBB70_3082:
	s_mov_b32 s14, 0x42800000
	v_add_f32_e64 v4, |v3|, s14
	v_and_b32_e32 v4, 0xff, v4
	v_cmp_ne_u32_e32 vcc, 0, v4
	s_andn2_b64 s[10:11], s[10:11], exec
	s_and_b64 s[20:21], vcc, exec
	s_mov_b32 s14, 0
	s_or_b64 s[10:11], s[10:11], s[20:21]
	s_or_b64 exec, exec, s[12:13]
	v_mov_b32_e32 v5, s14
	s_and_saveexec_b64 s[12:13], s[10:11]
	s_cbranch_execnz .LBB70_2880
	s_branch .LBB70_2881
.LBB70_3083:
	s_or_saveexec_b64 s[12:13], s[12:13]
                                        ; implicit-def: $sgpr14
	s_xor_b64 exec, exec, s[12:13]
	s_cbranch_execz .LBB70_2985
.LBB70_3084:
	s_mov_b32 s14, 0x46000000
	v_add_f32_e64 v4, |v3|, s14
	v_and_b32_e32 v4, 0xff, v4
	v_cmp_ne_u32_e32 vcc, 0, v4
	s_andn2_b64 s[10:11], s[10:11], exec
	s_and_b64 s[16:17], vcc, exec
	s_mov_b32 s14, 0
	s_or_b64 s[10:11], s[10:11], s[16:17]
	s_or_b64 exec, exec, s[12:13]
	v_mov_b32_e32 v5, s14
	s_and_saveexec_b64 s[12:13], s[10:11]
	s_cbranch_execnz .LBB70_2986
	s_branch .LBB70_2987
.LBB70_3085:
	s_mov_b64 s[2:3], 0
	s_or_b64 s[18:19], s[18:19], exec
	s_trap 2
	s_branch .LBB70_3031
.LBB70_3086:
	s_or_saveexec_b64 s[10:11], s[10:11]
                                        ; implicit-def: $sgpr12
	s_xor_b64 exec, exec, s[10:11]
	s_cbranch_execz .LBB70_2997
.LBB70_3087:
	s_mov_b32 s12, 0x42800000
	v_add_f32_e64 v4, |v3|, s12
	v_and_b32_e32 v4, 0xff, v4
	v_cmp_ne_u32_e32 vcc, 0, v4
	s_andn2_b64 s[8:9], s[8:9], exec
	s_and_b64 s[14:15], vcc, exec
	s_mov_b32 s12, 0
	s_or_b64 s[8:9], s[8:9], s[14:15]
	s_or_b64 exec, exec, s[10:11]
	v_mov_b32_e32 v5, s12
	s_and_saveexec_b64 s[10:11], s[8:9]
	s_cbranch_execnz .LBB70_2998
	s_branch .LBB70_2999
	.section	.rodata,"a",@progbits
	.p2align	6, 0x0
	.amdhsa_kernel _ZN2at6native32elementwise_kernel_manual_unrollILi128ELi4EZNS0_15gpu_kernel_implINS0_13BinaryFunctorIdddZZZNS0_20copysign_kernel_cudaERNS_18TensorIteratorBaseEENKUlvE_clEvENKUlvE_clEvEUlddE_EEEEvS5_RKT_EUlibE_EEviT1_
		.amdhsa_group_segment_fixed_size 0
		.amdhsa_private_segment_fixed_size 0
		.amdhsa_kernarg_size 48
		.amdhsa_user_sgpr_count 6
		.amdhsa_user_sgpr_private_segment_buffer 1
		.amdhsa_user_sgpr_dispatch_ptr 0
		.amdhsa_user_sgpr_queue_ptr 0
		.amdhsa_user_sgpr_kernarg_segment_ptr 1
		.amdhsa_user_sgpr_dispatch_id 0
		.amdhsa_user_sgpr_flat_scratch_init 0
		.amdhsa_user_sgpr_kernarg_preload_length 0
		.amdhsa_user_sgpr_kernarg_preload_offset 0
		.amdhsa_user_sgpr_private_segment_size 0
		.amdhsa_uses_dynamic_stack 0
		.amdhsa_system_sgpr_private_segment_wavefront_offset 0
		.amdhsa_system_sgpr_workgroup_id_x 1
		.amdhsa_system_sgpr_workgroup_id_y 0
		.amdhsa_system_sgpr_workgroup_id_z 0
		.amdhsa_system_sgpr_workgroup_info 0
		.amdhsa_system_vgpr_workitem_id 0
		.amdhsa_next_free_vgpr 24
		.amdhsa_next_free_sgpr 54
		.amdhsa_accum_offset 24
		.amdhsa_reserve_vcc 1
		.amdhsa_reserve_flat_scratch 0
		.amdhsa_float_round_mode_32 0
		.amdhsa_float_round_mode_16_64 0
		.amdhsa_float_denorm_mode_32 3
		.amdhsa_float_denorm_mode_16_64 3
		.amdhsa_dx10_clamp 1
		.amdhsa_ieee_mode 1
		.amdhsa_fp16_overflow 0
		.amdhsa_tg_split 0
		.amdhsa_exception_fp_ieee_invalid_op 0
		.amdhsa_exception_fp_denorm_src 0
		.amdhsa_exception_fp_ieee_div_zero 0
		.amdhsa_exception_fp_ieee_overflow 0
		.amdhsa_exception_fp_ieee_underflow 0
		.amdhsa_exception_fp_ieee_inexact 0
		.amdhsa_exception_int_div_zero 0
	.end_amdhsa_kernel
	.section	.text._ZN2at6native32elementwise_kernel_manual_unrollILi128ELi4EZNS0_15gpu_kernel_implINS0_13BinaryFunctorIdddZZZNS0_20copysign_kernel_cudaERNS_18TensorIteratorBaseEENKUlvE_clEvENKUlvE_clEvEUlddE_EEEEvS5_RKT_EUlibE_EEviT1_,"axG",@progbits,_ZN2at6native32elementwise_kernel_manual_unrollILi128ELi4EZNS0_15gpu_kernel_implINS0_13BinaryFunctorIdddZZZNS0_20copysign_kernel_cudaERNS_18TensorIteratorBaseEENKUlvE_clEvENKUlvE_clEvEUlddE_EEEEvS5_RKT_EUlibE_EEviT1_,comdat
.Lfunc_end70:
	.size	_ZN2at6native32elementwise_kernel_manual_unrollILi128ELi4EZNS0_15gpu_kernel_implINS0_13BinaryFunctorIdddZZZNS0_20copysign_kernel_cudaERNS_18TensorIteratorBaseEENKUlvE_clEvENKUlvE_clEvEUlddE_EEEEvS5_RKT_EUlibE_EEviT1_, .Lfunc_end70-_ZN2at6native32elementwise_kernel_manual_unrollILi128ELi4EZNS0_15gpu_kernel_implINS0_13BinaryFunctorIdddZZZNS0_20copysign_kernel_cudaERNS_18TensorIteratorBaseEENKUlvE_clEvENKUlvE_clEvEUlddE_EEEEvS5_RKT_EUlibE_EEviT1_
                                        ; -- End function
	.section	.AMDGPU.csdata,"",@progbits
; Kernel info:
; codeLenInByte = 54060
; NumSgprs: 58
; NumVgprs: 24
; NumAgprs: 0
; TotalNumVgprs: 24
; ScratchSize: 0
; MemoryBound: 1
; FloatMode: 240
; IeeeMode: 1
; LDSByteSize: 0 bytes/workgroup (compile time only)
; SGPRBlocks: 7
; VGPRBlocks: 2
; NumSGPRsForWavesPerEU: 58
; NumVGPRsForWavesPerEU: 24
; AccumOffset: 24
; Occupancy: 8
; WaveLimiterHint : 0
; COMPUTE_PGM_RSRC2:SCRATCH_EN: 0
; COMPUTE_PGM_RSRC2:USER_SGPR: 6
; COMPUTE_PGM_RSRC2:TRAP_HANDLER: 0
; COMPUTE_PGM_RSRC2:TGID_X_EN: 1
; COMPUTE_PGM_RSRC2:TGID_Y_EN: 0
; COMPUTE_PGM_RSRC2:TGID_Z_EN: 0
; COMPUTE_PGM_RSRC2:TIDIG_COMP_CNT: 0
; COMPUTE_PGM_RSRC3_GFX90A:ACCUM_OFFSET: 5
; COMPUTE_PGM_RSRC3_GFX90A:TG_SPLIT: 0
	.section	.text._ZN2at6native32elementwise_kernel_manual_unrollILi128ELi4EZNS0_15gpu_kernel_implINS0_13BinaryFunctorIdddZZZNS0_20copysign_kernel_cudaERNS_18TensorIteratorBaseEENKUlvE_clEvENKUlvE_clEvEUlddE_EEEEvS5_RKT_EUlibE0_EEviT1_,"axG",@progbits,_ZN2at6native32elementwise_kernel_manual_unrollILi128ELi4EZNS0_15gpu_kernel_implINS0_13BinaryFunctorIdddZZZNS0_20copysign_kernel_cudaERNS_18TensorIteratorBaseEENKUlvE_clEvENKUlvE_clEvEUlddE_EEEEvS5_RKT_EUlibE0_EEviT1_,comdat
	.globl	_ZN2at6native32elementwise_kernel_manual_unrollILi128ELi4EZNS0_15gpu_kernel_implINS0_13BinaryFunctorIdddZZZNS0_20copysign_kernel_cudaERNS_18TensorIteratorBaseEENKUlvE_clEvENKUlvE_clEvEUlddE_EEEEvS5_RKT_EUlibE0_EEviT1_ ; -- Begin function _ZN2at6native32elementwise_kernel_manual_unrollILi128ELi4EZNS0_15gpu_kernel_implINS0_13BinaryFunctorIdddZZZNS0_20copysign_kernel_cudaERNS_18TensorIteratorBaseEENKUlvE_clEvENKUlvE_clEvEUlddE_EEEEvS5_RKT_EUlibE0_EEviT1_
	.p2align	8
	.type	_ZN2at6native32elementwise_kernel_manual_unrollILi128ELi4EZNS0_15gpu_kernel_implINS0_13BinaryFunctorIdddZZZNS0_20copysign_kernel_cudaERNS_18TensorIteratorBaseEENKUlvE_clEvENKUlvE_clEvEUlddE_EEEEvS5_RKT_EUlibE0_EEviT1_,@function
_ZN2at6native32elementwise_kernel_manual_unrollILi128ELi4EZNS0_15gpu_kernel_implINS0_13BinaryFunctorIdddZZZNS0_20copysign_kernel_cudaERNS_18TensorIteratorBaseEENKUlvE_clEvENKUlvE_clEvEUlddE_EEEEvS5_RKT_EUlibE0_EEviT1_: ; @_ZN2at6native32elementwise_kernel_manual_unrollILi128ELi4EZNS0_15gpu_kernel_implINS0_13BinaryFunctorIdddZZZNS0_20copysign_kernel_cudaERNS_18TensorIteratorBaseEENKUlvE_clEvENKUlvE_clEvEUlddE_EEEEvS5_RKT_EUlibE0_EEviT1_
; %bb.0:
	s_load_dword s66, s[4:5], 0x0
	s_load_dword s33, s[4:5], 0x8
	s_or_b32 s2, s4, 8
	v_lshl_or_b32 v8, s6, 9, v0
	v_or_b32_e32 v24, 0x180, v8
	s_mov_b32 s3, s5
	s_waitcnt lgkmcnt(0)
	s_add_i32 s68, s33, -1
	s_cmp_gt_u32 s68, 1
	v_cmp_le_i32_e32 vcc, s66, v24
	s_cselect_b64 s[20:21], -1, 0
	s_mov_b64 s[6:7], 0
	s_mov_b64 s[12:13], 0
	s_and_saveexec_b64 s[0:1], vcc
	s_xor_b64 s[22:23], exec, s[0:1]
	s_cbranch_execz .LBB71_1585
; %bb.1:
	v_mov_b32_e32 v0, 0
	global_load_ushort v10, v0, s[2:3] offset:417
	global_load_sbyte v11, v0, s[2:3] offset:419
	s_load_dwordx4 s[16:19], s[2:3], 0x4
	s_load_dwordx2 s[28:29], s[2:3], 0x14
	s_load_dwordx4 s[12:15], s[2:3], 0xc4
	s_load_dwordx2 s[26:27], s[2:3], 0xd4
	s_load_dwordx2 s[24:25], s[2:3], 0x198
	s_load_dwordx4 s[8:11], s[2:3], 0x188
	s_cmp_lg_u32 s33, 0
	s_cselect_b64 s[34:35], -1, 0
	s_min_u32 s69, s68, 15
	s_cmp_gt_u32 s33, 1
	v_cmp_gt_i32_e32 vcc, s66, v8
	s_mov_b64 s[0:1], -1
	s_mov_b64 s[46:47], 0
	s_mov_b64 s[40:41], 0
	;; [unrolled: 1-line block ×3, first 2 shown]
	s_cselect_b64 s[30:31], -1, 0
	s_mov_b64 s[36:37], 0
	s_waitcnt vmcnt(1)
	v_lshrrev_b32_e32 v9, 8, v10
	s_and_saveexec_b64 s[42:43], vcc
	s_cbranch_execz .LBB71_393
; %bb.2:
	s_andn2_b64 vcc, exec, s[20:21]
	s_cbranch_vccnz .LBB71_9
; %bb.3:
	s_andn2_b64 vcc, exec, s[34:35]
	v_mov_b32_e32 v4, 0
	v_mov_b32_e32 v0, 0
	;; [unrolled: 1-line block ×3, first 2 shown]
	s_cbranch_vccnz .LBB71_8
; %bb.4:
	s_add_i32 s0, s69, 1
	s_and_b32 s36, s0, 30
	s_add_u32 s0, s2, 0xffffffec
	s_addc_u32 s1, s3, -1
	v_mov_b32_e32 v2, 0
	v_mov_b32_e32 v1, v8
	;; [unrolled: 1-line block ×4, first 2 shown]
.LBB71_5:                               ; =>This Inner Loop Header: Depth=1
	s_mov_b64 s[38:39], s[0:1]
	s_load_dwordx4 s[48:51], s[38:39], 0x18
	s_load_dwordx2 s[40:41], s[38:39], 0x28
	s_load_dwordx2 s[44:45], s[38:39], 0xe8
	s_load_dwordx4 s[52:55], s[38:39], 0xd8
	s_add_u32 s0, s38, 24
	s_waitcnt lgkmcnt(0)
	v_mul_hi_u32 v3, s49, v1
	v_add_u32_e32 v3, v1, v3
	v_lshrrev_b32_e32 v3, s50, v3
	v_mul_lo_u32 v5, v3, s48
	v_mul_hi_u32 v6, s40, v3
	v_sub_u32_e32 v1, v1, v5
	v_add_u32_e32 v5, v3, v6
	v_mul_lo_u32 v6, v1, s52
	v_mul_lo_u32 v7, v1, s53
	;; [unrolled: 1-line block ×3, first 2 shown]
	v_lshrrev_b32_e32 v1, s41, v5
	v_mul_lo_u32 v5, v1, s51
	v_sub_u32_e32 v3, v3, v5
	s_addc_u32 s1, s39, 0
	s_add_i32 s36, s36, -2
	v_mul_lo_u32 v5, v3, s55
	v_mul_lo_u32 v13, v3, s44
	;; [unrolled: 1-line block ×3, first 2 shown]
	s_cmp_lg_u32 s36, 0
	v_add3_u32 v2, v6, v2, v5
	v_add3_u32 v4, v12, v4, v3
	;; [unrolled: 1-line block ×3, first 2 shown]
	s_cbranch_scc1 .LBB71_5
; %bb.6:
	s_bitcmp1_b32 s69, 0
	s_cselect_b64 s[36:37], -1, 0
	s_and_b64 vcc, exec, s[36:37]
	s_cbranch_vccnz .LBB71_8
; %bb.7:
	s_load_dwordx2 s[36:37], s[0:1], 0x18
	s_load_dword s38, s[0:1], 0x20
	s_load_dword s39, s[0:1], 0xe0
	s_nop 0
	s_load_dwordx2 s[0:1], s[0:1], 0xd8
	s_waitcnt lgkmcnt(0)
	v_mul_hi_u32 v3, s37, v1
	v_add_u32_e32 v3, v1, v3
	v_lshrrev_b32_e32 v3, s38, v3
	v_mul_lo_u32 v3, v3, s36
	v_sub_u32_e32 v5, v1, v3
	v_mad_u64_u32 v[2:3], s[36:37], v5, s0, v[2:3]
	v_mad_u64_u32 v[0:1], s[0:1], v5, s1, v[0:1]
	;; [unrolled: 1-line block ×3, first 2 shown]
.LBB71_8:
	s_cbranch_execz .LBB71_10
	s_branch .LBB71_12
.LBB71_9:
                                        ; implicit-def: $vgpr4
                                        ; implicit-def: $vgpr0
                                        ; implicit-def: $vgpr2
	s_andn2_b64 vcc, exec, s[0:1]
	s_cbranch_vccnz .LBB71_12
.LBB71_10:
	s_waitcnt lgkmcnt(0)
	v_mul_hi_u32 v0, s17, v8
	v_add_u32_e32 v0, v8, v0
	v_lshrrev_b32_e32 v1, s18, v0
	v_mul_lo_u32 v0, v1, s16
	v_sub_u32_e32 v0, v8, v0
	v_mul_lo_u32 v2, v0, s12
	v_mul_lo_u32 v4, v0, s14
	s_andn2_b64 vcc, exec, s[30:31]
	v_mul_lo_u32 v0, v0, s13
	s_cbranch_vccnz .LBB71_12
; %bb.11:
	v_mul_hi_u32 v3, s28, v1
	v_add_u32_e32 v3, v1, v3
	v_lshrrev_b32_e32 v3, s29, v3
	v_mul_lo_u32 v3, v3, s19
	v_sub_u32_e32 v5, v1, v3
	v_mad_u64_u32 v[2:3], s[0:1], v5, s15, v[2:3]
	v_mad_u64_u32 v[0:1], s[0:1], v5, s26, v[0:1]
	;; [unrolled: 1-line block ×3, first 2 shown]
.LBB71_12:
	s_waitcnt lgkmcnt(0)
	v_mov_b32_e32 v1, s11
	v_add_co_u32_e32 v6, vcc, s10, v0
	v_mov_b32_e32 v0, 11
	v_addc_co_u32_e32 v7, vcc, 0, v1, vcc
	v_cmp_lt_i16_sdwa s[0:1], v9, v0 src0_sel:BYTE_0 src1_sel:DWORD
	s_and_b64 vcc, exec, s[0:1]
	s_cbranch_vccnz .LBB71_19
; %bb.13:
	v_mov_b32_e32 v0, 25
	v_cmp_gt_i16_sdwa s[0:1], v9, v0 src0_sel:BYTE_0 src1_sel:DWORD
	s_and_b64 vcc, exec, s[0:1]
	s_cbranch_vccz .LBB71_28
; %bb.14:
	v_mov_b32_e32 v0, 28
	v_cmp_gt_i16_sdwa s[0:1], v9, v0 src0_sel:BYTE_0 src1_sel:DWORD
	s_and_b64 vcc, exec, s[0:1]
	s_cbranch_vccz .LBB71_38
	;; [unrolled: 5-line block ×4, first 2 shown]
; %bb.17:
	v_mov_b32_e32 v0, 46
	v_cmp_eq_u16_sdwa s[0:1], v9, v0 src0_sel:BYTE_0 src1_sel:DWORD
	s_mov_b64 s[36:37], 0
	s_and_b64 vcc, exec, s[0:1]
	s_cbranch_vccz .LBB71_47
; %bb.18:
	global_load_dword v0, v[6:7], off
	s_mov_b64 s[0:1], -1
	s_mov_b64 s[40:41], 0
	s_waitcnt vmcnt(0)
	v_lshlrev_b32_e32 v0, 16, v0
	v_cvt_f64_f32_e32 v[0:1], v0
	s_branch .LBB71_49
.LBB71_19:
	s_mov_b64 s[40:41], 0
                                        ; implicit-def: $vgpr0_vgpr1
	s_mov_b64 s[0:1], 0
	s_cbranch_execnz .LBB71_115
.LBB71_20:
	s_andn2_b64 vcc, exec, s[0:1]
	s_cbranch_vccnz .LBB71_162
.LBB71_21:
	v_mov_b32_e32 v3, s25
	v_add_co_u32_e32 v4, vcc, s24, v4
	v_addc_co_u32_e32 v5, vcc, 0, v3, vcc
	v_mov_b32_e32 v3, 11
	s_waitcnt vmcnt(0)
	v_cmp_lt_i16_sdwa s[0:1], v11, v3 src0_sel:BYTE_0 src1_sel:DWORD
	s_and_b64 vcc, exec, s[0:1]
	s_cbranch_vccnz .LBB71_29
; %bb.22:
	v_mov_b32_e32 v3, 25
	v_cmp_gt_i16_sdwa s[0:1], v11, v3 src0_sel:BYTE_0 src1_sel:DWORD
	s_and_b64 vcc, exec, s[0:1]
	s_cbranch_vccz .LBB71_39
; %bb.23:
	v_mov_b32_e32 v3, 28
	v_cmp_gt_i16_sdwa s[0:1], v11, v3 src0_sel:BYTE_0 src1_sel:DWORD
	s_and_b64 vcc, exec, s[0:1]
	s_cbranch_vccz .LBB71_42
	;; [unrolled: 5-line block ×4, first 2 shown]
; %bb.26:
	v_mov_b32_e32 v3, 46
	v_cmp_eq_u16_sdwa s[0:1], v11, v3 src0_sel:BYTE_0 src1_sel:DWORD
	s_mov_b64 s[36:37], 0
	s_and_b64 vcc, exec, s[0:1]
	s_cbranch_vccz .LBB71_163
; %bb.27:
	global_load_dword v3, v[4:5], off
	s_mov_b64 s[0:1], -1
	s_mov_b64 s[38:39], 0
	s_waitcnt vmcnt(0)
	v_lshlrev_b32_e32 v3, 16, v3
	v_cvt_f64_f32_e32 v[6:7], v3
	s_branch .LBB71_165
.LBB71_28:
	s_mov_b64 s[40:41], 0
	s_mov_b64 s[0:1], 0
                                        ; implicit-def: $vgpr0_vgpr1
	s_cbranch_execnz .LBB71_80
	s_branch .LBB71_114
.LBB71_29:
	s_mov_b64 s[38:39], 0
                                        ; implicit-def: $vgpr6_vgpr7
	s_mov_b64 s[0:1], 0
	s_cbranch_execnz .LBB71_342
.LBB71_30:
	s_andn2_b64 vcc, exec, s[0:1]
	s_cbranch_vccnz .LBB71_390
.LBB71_31:
	s_brev_b32 s0, -2
	v_mov_b32_e32 v3, s9
	v_add_co_u32_e32 v4, vcc, s8, v2
	v_mov_b32_e32 v2, 11
	s_waitcnt vmcnt(0)
	v_bfi_b32 v1, s0, v1, v7
	v_addc_co_u32_e32 v5, vcc, 0, v3, vcc
	v_cmp_lt_i16_sdwa s[0:1], v10, v2 src0_sel:BYTE_0 src1_sel:DWORD
	s_and_b64 vcc, exec, s[0:1]
	s_cbranch_vccnz .LBB71_40
; %bb.32:
	v_mov_b32_e32 v2, 25
	v_cmp_gt_i16_sdwa s[0:1], v10, v2 src0_sel:BYTE_0 src1_sel:DWORD
	s_and_b64 vcc, exec, s[0:1]
	s_cbranch_vccz .LBB71_43
; %bb.33:
	v_mov_b32_e32 v2, 28
	v_cmp_gt_i16_sdwa s[0:1], v10, v2 src0_sel:BYTE_0 src1_sel:DWORD
	s_and_b64 vcc, exec, s[0:1]
	s_cbranch_vccz .LBB71_46
	;; [unrolled: 5-line block ×4, first 2 shown]
; %bb.36:
	v_mov_b32_e32 v2, 46
	v_cmp_eq_u16_sdwa s[36:37], v10, v2 src0_sel:BYTE_0 src1_sel:DWORD
	s_mov_b64 s[44:45], 0
	s_mov_b64 s[0:1], -1
	s_and_b64 vcc, exec, s[36:37]
	s_mov_b64 s[36:37], 0
	s_cbranch_vccz .LBB71_169
; %bb.37:
	v_cvt_f32_f64_e32 v2, v[0:1]
	v_bfe_u32 v3, v2, 16, 1
	s_movk_i32 s0, 0x7fff
	v_add3_u32 v3, v2, v3, s0
	v_lshrrev_b32_e32 v3, 16, v3
	v_mov_b32_e32 v6, 0x7fc0
	v_cmp_o_f32_e32 vcc, v2, v2
	v_cndmask_b32_e32 v2, v6, v3, vcc
	global_store_dword v[4:5], v2, off
	s_mov_b64 s[36:37], -1
	s_mov_b64 s[0:1], 0
	s_branch .LBB71_169
.LBB71_38:
	s_mov_b64 s[36:37], -1
	s_mov_b64 s[40:41], 0
	s_mov_b64 s[0:1], 0
                                        ; implicit-def: $vgpr0_vgpr1
	s_branch .LBB71_61
.LBB71_39:
	s_mov_b64 s[36:37], -1
	s_mov_b64 s[38:39], 0
	s_mov_b64 s[0:1], 0
                                        ; implicit-def: $vgpr6_vgpr7
	s_branch .LBB71_306
.LBB71_40:
	s_mov_b64 s[44:45], -1
	s_mov_b64 s[0:1], 0
	s_mov_b64 s[36:37], 0
	s_branch .LBB71_238
.LBB71_41:
	s_mov_b64 s[36:37], -1
	s_mov_b64 s[40:41], 0
	s_mov_b64 s[0:1], 0
                                        ; implicit-def: $vgpr0_vgpr1
	s_branch .LBB71_56
.LBB71_42:
	s_mov_b64 s[36:37], -1
	s_mov_b64 s[38:39], 0
	s_mov_b64 s[0:1], 0
                                        ; implicit-def: $vgpr6_vgpr7
	s_branch .LBB71_287
.LBB71_43:
	s_mov_b64 s[44:45], -1
	s_mov_b64 s[0:1], 0
	s_mov_b64 s[36:37], 0
	s_branch .LBB71_196
.LBB71_44:
	s_mov_b64 s[36:37], -1
	s_mov_b64 s[40:41], 0
	s_branch .LBB71_48
.LBB71_45:
	s_mov_b64 s[36:37], -1
	s_mov_b64 s[38:39], 0
	s_mov_b64 s[0:1], 0
                                        ; implicit-def: $vgpr6_vgpr7
	s_branch .LBB71_282
.LBB71_46:
	s_mov_b64 s[44:45], -1
	s_mov_b64 s[0:1], 0
	s_mov_b64 s[36:37], 0
	s_branch .LBB71_179
.LBB71_47:
	s_mov_b64 s[40:41], -1
.LBB71_48:
	s_mov_b64 s[0:1], 0
                                        ; implicit-def: $vgpr0_vgpr1
.LBB71_49:
	s_and_b64 vcc, exec, s[36:37]
	s_cbranch_vccz .LBB71_55
; %bb.50:
	v_mov_b32_e32 v0, 44
	v_cmp_eq_u16_sdwa s[36:37], v9, v0 src0_sel:BYTE_0 src1_sel:DWORD
	s_and_b64 vcc, exec, s[36:37]
	s_cbranch_vccz .LBB71_54
; %bb.51:
	global_load_ubyte v3, v[6:7], off
	s_movk_i32 s36, 0xff
	v_bfrev_b32_e32 v5, 4
	v_mov_b32_e32 v12, 0x7ff80000
	v_bfrev_b32_e32 v13, 28
	s_mov_b64 s[0:1], -1
	s_mov_b64 s[40:41], 0
	s_waitcnt vmcnt(0)
	v_lshlrev_b32_e32 v0, 23, v3
	v_cvt_f64_f32_e32 v[0:1], v0
	v_cmp_ne_u32_e32 vcc, s36, v3
	v_cndmask_b32_e32 v0, v5, v0, vcc
	v_cndmask_b32_e32 v1, v12, v1, vcc
	v_cmp_ne_u32_e32 vcc, 0, v3
	v_cndmask_b32_e32 v1, v13, v1, vcc
	v_cndmask_b32_e32 v0, 0, v0, vcc
	s_branch .LBB71_55
.LBB71_52:
	s_mov_b64 s[36:37], -1
	s_mov_b64 s[38:39], 0
	s_branch .LBB71_164
.LBB71_53:
	s_mov_b64 s[44:45], -1
	s_mov_b64 s[0:1], 0
	s_mov_b64 s[36:37], 0
	s_branch .LBB71_175
.LBB71_54:
	s_mov_b64 s[40:41], -1
                                        ; implicit-def: $vgpr0_vgpr1
.LBB71_55:
	s_mov_b64 s[36:37], 0
.LBB71_56:
	s_and_b64 vcc, exec, s[36:37]
	s_cbranch_vccz .LBB71_60
; %bb.57:
	v_mov_b32_e32 v0, 29
	v_cmp_eq_u16_sdwa s[36:37], v9, v0 src0_sel:BYTE_0 src1_sel:DWORD
	s_and_b64 vcc, exec, s[36:37]
	s_cbranch_vccz .LBB71_59
; %bb.58:
	global_load_dwordx2 v[0:1], v[6:7], off
	s_mov_b64 s[0:1], -1
	s_mov_b64 s[40:41], 0
	s_mov_b64 s[36:37], 0
	s_waitcnt vmcnt(0)
	v_cvt_f64_u32_e32 v[12:13], v1
	v_cvt_f64_u32_e32 v[0:1], v0
	v_ldexp_f64 v[12:13], v[12:13], 32
	v_add_f64 v[0:1], v[12:13], v[0:1]
	s_branch .LBB71_61
.LBB71_59:
	s_mov_b64 s[40:41], -1
                                        ; implicit-def: $vgpr0_vgpr1
.LBB71_60:
	s_mov_b64 s[36:37], 0
.LBB71_61:
	s_and_b64 vcc, exec, s[36:37]
	s_cbranch_vccz .LBB71_79
; %bb.62:
	v_mov_b32_e32 v0, 27
	v_cmp_lt_i16_sdwa s[0:1], v9, v0 src0_sel:BYTE_0 src1_sel:DWORD
	s_and_b64 vcc, exec, s[0:1]
	s_cbranch_vccnz .LBB71_65
; %bb.63:
	v_cmp_gt_i16_sdwa s[0:1], v9, v0 src0_sel:BYTE_0 src1_sel:DWORD
	s_and_b64 vcc, exec, s[0:1]
	s_cbranch_vccz .LBB71_66
; %bb.64:
	global_load_dword v0, v[6:7], off
	s_mov_b64 s[0:1], 0
	s_waitcnt vmcnt(0)
	v_cvt_f64_u32_e32 v[0:1], v0
	s_branch .LBB71_67
.LBB71_65:
	s_mov_b64 s[0:1], -1
                                        ; implicit-def: $vgpr0_vgpr1
	s_branch .LBB71_70
.LBB71_66:
	s_mov_b64 s[0:1], -1
                                        ; implicit-def: $vgpr0_vgpr1
.LBB71_67:
	s_andn2_b64 vcc, exec, s[0:1]
	s_cbranch_vccnz .LBB71_69
; %bb.68:
	global_load_ushort v0, v[6:7], off
	s_waitcnt vmcnt(0)
	v_cvt_f64_u32_e32 v[0:1], v0
.LBB71_69:
	s_mov_b64 s[0:1], 0
.LBB71_70:
	s_andn2_b64 vcc, exec, s[0:1]
	s_cbranch_vccnz .LBB71_78
; %bb.71:
	global_load_ubyte v3, v[6:7], off
	s_movk_i32 s0, 0x7f
                                        ; implicit-def: $sgpr36_sgpr37
	s_waitcnt vmcnt(0)
	v_cmp_lt_i16_e32 vcc, s0, v3
	s_mov_b64 s[0:1], 0
	s_and_saveexec_b64 s[38:39], vcc
	s_xor_b64 s[38:39], exec, s[38:39]
	s_cbranch_execz .LBB71_91
; %bb.72:
	s_movk_i32 s0, 0x80
	v_cmp_eq_u16_e32 vcc, s0, v3
	s_mov_b64 s[44:45], -1
                                        ; implicit-def: $sgpr36_sgpr37
	s_and_saveexec_b64 s[0:1], vcc
; %bb.73:
	s_mov_b32 s37, 0x7ff80000
	s_brev_b32 s36, 4
	s_xor_b64 s[44:45], exec, -1
; %bb.74:
	s_or_b64 exec, exec, s[0:1]
	s_and_b64 s[0:1], s[44:45], exec
	s_or_saveexec_b64 s[38:39], s[38:39]
	v_pk_mov_b32 v[0:1], s[36:37], s[36:37] op_sel:[0,1]
	s_xor_b64 exec, exec, s[38:39]
	s_cbranch_execnz .LBB71_92
.LBB71_75:
	s_or_b64 exec, exec, s[38:39]
	s_and_saveexec_b64 s[36:37], s[0:1]
	s_cbranch_execz .LBB71_77
.LBB71_76:
	v_and_b32_e32 v1, 0xffff, v3
	v_lshlrev_b32_e32 v0, 24, v3
	v_and_b32_e32 v3, 7, v1
	v_ffbh_u32_e32 v12, v3
	v_min_u32_e32 v12, 32, v12
	v_subrev_u32_e32 v13, 28, v12
	v_bfe_u32 v5, v1, 3, 4
	v_lshlrev_b32_e32 v1, v13, v1
	v_sub_u32_e32 v12, 29, v12
	v_and_b32_e32 v1, 7, v1
	v_cmp_eq_u32_e32 vcc, 0, v5
	v_cndmask_b32_e32 v5, v5, v12, vcc
	v_cndmask_b32_e32 v1, v3, v1, vcc
	v_mov_b32_e32 v3, 0x3b800000
	v_lshlrev_b32_e32 v1, 20, v1
	v_and_b32_e32 v0, 0x80000000, v0
	v_lshl_add_u32 v3, v5, 23, v3
	v_or3_b32 v0, v0, v3, v1
	v_cvt_f64_f32_e32 v[0:1], v0
.LBB71_77:
	s_or_b64 exec, exec, s[36:37]
.LBB71_78:
	s_mov_b64 s[0:1], -1
.LBB71_79:
	s_branch .LBB71_114
.LBB71_80:
	v_mov_b32_e32 v0, 22
	v_cmp_gt_i16_sdwa s[36:37], v9, v0 src0_sel:BYTE_0 src1_sel:DWORD
	s_and_b64 vcc, exec, s[36:37]
	s_cbranch_vccz .LBB71_90
; %bb.81:
	v_mov_b32_e32 v0, 24
	v_cmp_lt_i16_sdwa s[0:1], v9, v0 src0_sel:BYTE_0 src1_sel:DWORD
	s_and_b64 vcc, exec, s[0:1]
	s_cbranch_vccnz .LBB71_93
; %bb.82:
	v_cmp_gt_i16_sdwa s[0:1], v9, v0 src0_sel:BYTE_0 src1_sel:DWORD
	s_and_b64 vcc, exec, s[0:1]
	s_cbranch_vccz .LBB71_94
; %bb.83:
	global_load_ubyte v3, v[6:7], off
	s_movk_i32 s0, 0x7f
                                        ; implicit-def: $sgpr36_sgpr37
	s_waitcnt vmcnt(0)
	v_cmp_lt_i16_e32 vcc, s0, v3
	s_mov_b64 s[0:1], 0
	s_and_saveexec_b64 s[38:39], vcc
	s_xor_b64 s[38:39], exec, s[38:39]
	s_cbranch_execz .LBB71_106
; %bb.84:
	s_movk_i32 s0, 0x80
	v_cmp_eq_u16_e32 vcc, s0, v3
	s_mov_b64 s[44:45], -1
                                        ; implicit-def: $sgpr36_sgpr37
	s_and_saveexec_b64 s[0:1], vcc
; %bb.85:
	s_mov_b32 s37, 0x7ff80000
	s_brev_b32 s36, 4
	s_xor_b64 s[44:45], exec, -1
; %bb.86:
	s_or_b64 exec, exec, s[0:1]
	s_and_b64 s[0:1], s[44:45], exec
	s_or_saveexec_b64 s[38:39], s[38:39]
	v_pk_mov_b32 v[0:1], s[36:37], s[36:37] op_sel:[0,1]
	s_xor_b64 exec, exec, s[38:39]
	s_cbranch_execnz .LBB71_107
.LBB71_87:
	s_or_b64 exec, exec, s[38:39]
	s_and_saveexec_b64 s[36:37], s[0:1]
	s_cbranch_execz .LBB71_89
.LBB71_88:
	v_and_b32_e32 v1, 0xffff, v3
	v_lshlrev_b32_e32 v0, 24, v3
	v_and_b32_e32 v3, 3, v1
	v_ffbh_u32_e32 v12, v3
	v_min_u32_e32 v12, 32, v12
	v_subrev_u32_e32 v13, 29, v12
	v_bfe_u32 v5, v1, 2, 5
	v_lshlrev_b32_e32 v1, v13, v1
	v_sub_u32_e32 v12, 30, v12
	v_and_b32_e32 v1, 3, v1
	v_cmp_eq_u32_e32 vcc, 0, v5
	v_cndmask_b32_e32 v5, v5, v12, vcc
	v_cndmask_b32_e32 v1, v3, v1, vcc
	v_mov_b32_e32 v3, 0x37800000
	v_lshlrev_b32_e32 v1, 21, v1
	v_and_b32_e32 v0, 0x80000000, v0
	v_lshl_add_u32 v3, v5, 23, v3
	v_or3_b32 v0, v0, v3, v1
	v_cvt_f64_f32_e32 v[0:1], v0
.LBB71_89:
	s_or_b64 exec, exec, s[36:37]
	s_mov_b64 s[0:1], 0
	s_branch .LBB71_95
.LBB71_90:
	s_mov_b64 s[36:37], -1
                                        ; implicit-def: $vgpr0_vgpr1
	s_branch .LBB71_101
.LBB71_91:
	s_or_saveexec_b64 s[38:39], s[38:39]
	v_pk_mov_b32 v[0:1], s[36:37], s[36:37] op_sel:[0,1]
	s_xor_b64 exec, exec, s[38:39]
	s_cbranch_execz .LBB71_75
.LBB71_92:
	v_cmp_ne_u16_e32 vcc, 0, v3
	s_andn2_b64 s[0:1], s[0:1], exec
	s_and_b64 s[36:37], vcc, exec
	v_pk_mov_b32 v[0:1], 0, 0
	s_or_b64 s[0:1], s[0:1], s[36:37]
	s_or_b64 exec, exec, s[38:39]
	s_and_saveexec_b64 s[36:37], s[0:1]
	s_cbranch_execnz .LBB71_76
	s_branch .LBB71_77
.LBB71_93:
	s_mov_b64 s[0:1], -1
                                        ; implicit-def: $vgpr0_vgpr1
	s_branch .LBB71_98
.LBB71_94:
	s_mov_b64 s[0:1], -1
                                        ; implicit-def: $vgpr0_vgpr1
.LBB71_95:
	s_and_b64 vcc, exec, s[0:1]
	s_cbranch_vccz .LBB71_97
; %bb.96:
	global_load_ubyte v0, v[6:7], off
	s_mov_b32 s0, 0x7f800000
	s_waitcnt vmcnt(0)
	v_lshlrev_b32_e32 v0, 24, v0
	v_and_b32_e32 v1, 0x7f000000, v0
	v_ffbh_u32_e32 v3, v1
	v_min_u32_e32 v3, 32, v3
	v_sub_u32_e64 v3, v3, 4 clamp
	v_lshlrev_b32_e32 v12, v3, v1
	v_lshlrev_b32_e32 v3, 23, v3
	v_lshrrev_b32_e32 v12, 4, v12
	v_add_u32_e32 v5, 0x1000000, v1
	v_sub_u32_e32 v3, v12, v3
	v_ashrrev_i32_e32 v5, 8, v5
	v_add_u32_e32 v3, 0x3c000000, v3
	v_and_or_b32 v3, v5, s0, v3
	v_cmp_ne_u32_e32 vcc, 0, v1
	v_cndmask_b32_e32 v1, 0, v3, vcc
	s_brev_b32 s0, 1
	v_and_or_b32 v0, v0, s0, v1
	v_cvt_f64_f32_e32 v[0:1], v0
.LBB71_97:
	s_mov_b64 s[0:1], 0
.LBB71_98:
	s_andn2_b64 vcc, exec, s[0:1]
	s_cbranch_vccnz .LBB71_100
; %bb.99:
	global_load_ubyte v0, v[6:7], off
	s_movk_i32 s0, 0x7f00
	s_brev_b32 s1, 16
	s_waitcnt vmcnt(0)
	v_lshlrev_b16_e32 v1, 8, v0
	v_lshlrev_b32_e32 v0, 25, v0
	v_lshrrev_b32_e32 v3, 4, v0
	v_and_or_b32 v5, v1, s0, 0.5
	v_or_b32_e32 v3, 0x70000000, v3
	v_add_f32_e32 v5, -0.5, v5
	v_mul_f32_e32 v3, 0x7800000, v3
	v_cmp_gt_u32_e32 vcc, s1, v0
	v_bfe_i32 v1, v1, 0, 16
	v_cndmask_b32_e32 v0, v3, v5, vcc
	s_brev_b32 s0, 1
	v_and_or_b32 v0, v1, s0, v0
	v_cvt_f64_f32_e32 v[0:1], v0
.LBB71_100:
	s_mov_b64 s[36:37], 0
	s_mov_b64 s[0:1], -1
.LBB71_101:
	s_andn2_b64 vcc, exec, s[36:37]
	s_cbranch_vccnz .LBB71_114
; %bb.102:
	v_mov_b32_e32 v0, 14
	v_cmp_gt_i16_sdwa s[36:37], v9, v0 src0_sel:BYTE_0 src1_sel:DWORD
	s_and_b64 vcc, exec, s[36:37]
	s_cbranch_vccz .LBB71_105
; %bb.103:
	v_mov_b32_e32 v0, 15
	v_cmp_eq_u16_sdwa s[36:37], v9, v0 src0_sel:BYTE_0 src1_sel:DWORD
	s_and_b64 vcc, exec, s[36:37]
	s_cbranch_vccz .LBB71_108
; %bb.104:
	global_load_ushort v0, v[6:7], off
	s_mov_b64 s[0:1], -1
	s_mov_b64 s[40:41], 0
	s_waitcnt vmcnt(0)
	v_lshlrev_b32_e32 v0, 16, v0
	v_cvt_f64_f32_e32 v[0:1], v0
	s_branch .LBB71_109
.LBB71_105:
	s_mov_b64 s[36:37], -1
                                        ; implicit-def: $vgpr0_vgpr1
	s_branch .LBB71_110
.LBB71_106:
	s_or_saveexec_b64 s[38:39], s[38:39]
	v_pk_mov_b32 v[0:1], s[36:37], s[36:37] op_sel:[0,1]
	s_xor_b64 exec, exec, s[38:39]
	s_cbranch_execz .LBB71_87
.LBB71_107:
	v_cmp_ne_u16_e32 vcc, 0, v3
	s_andn2_b64 s[0:1], s[0:1], exec
	s_and_b64 s[36:37], vcc, exec
	v_pk_mov_b32 v[0:1], 0, 0
	s_or_b64 s[0:1], s[0:1], s[36:37]
	s_or_b64 exec, exec, s[38:39]
	s_and_saveexec_b64 s[36:37], s[0:1]
	s_cbranch_execnz .LBB71_88
	s_branch .LBB71_89
.LBB71_108:
	s_mov_b64 s[40:41], -1
                                        ; implicit-def: $vgpr0_vgpr1
.LBB71_109:
	s_mov_b64 s[36:37], 0
.LBB71_110:
	s_and_b64 vcc, exec, s[36:37]
	s_cbranch_vccz .LBB71_114
; %bb.111:
	v_mov_b32_e32 v0, 11
	v_cmp_eq_u16_sdwa s[36:37], v9, v0 src0_sel:BYTE_0 src1_sel:DWORD
	s_and_b64 vcc, exec, s[36:37]
	s_cbranch_vccz .LBB71_113
; %bb.112:
	global_load_ubyte v1, v[6:7], off
	v_mov_b32_e32 v3, 0x3ff00000
	v_mov_b32_e32 v0, 0
	s_mov_b64 s[0:1], -1
	s_mov_b64 s[40:41], 0
	s_waitcnt vmcnt(0)
	v_cmp_ne_u16_e32 vcc, 0, v1
	v_cndmask_b32_e32 v1, 0, v3, vcc
	s_branch .LBB71_114
.LBB71_113:
	s_mov_b64 s[40:41], -1
                                        ; implicit-def: $vgpr0_vgpr1
.LBB71_114:
	s_branch .LBB71_20
.LBB71_115:
	v_mov_b32_e32 v0, 5
	v_cmp_lt_i16_sdwa s[0:1], v9, v0 src0_sel:BYTE_0 src1_sel:DWORD
	s_and_b64 vcc, exec, s[0:1]
	s_cbranch_vccnz .LBB71_120
; %bb.116:
	v_mov_b32_e32 v0, 8
	v_cmp_lt_i16_sdwa s[0:1], v9, v0 src0_sel:BYTE_0 src1_sel:DWORD
	s_and_b64 vcc, exec, s[0:1]
	s_cbranch_vccnz .LBB71_121
; %bb.117:
	;; [unrolled: 5-line block ×3, first 2 shown]
	v_cmp_gt_i16_sdwa s[0:1], v9, v0 src0_sel:BYTE_0 src1_sel:DWORD
	s_and_b64 vcc, exec, s[0:1]
	s_cbranch_vccz .LBB71_123
; %bb.119:
	global_load_dwordx2 v[0:1], v[6:7], off
	s_mov_b64 s[0:1], 0
	s_branch .LBB71_124
.LBB71_120:
                                        ; implicit-def: $vgpr0_vgpr1
	s_branch .LBB71_142
.LBB71_121:
	s_mov_b64 s[0:1], -1
                                        ; implicit-def: $vgpr0_vgpr1
	s_branch .LBB71_130
.LBB71_122:
	s_mov_b64 s[0:1], -1
                                        ; implicit-def: $vgpr0_vgpr1
	s_branch .LBB71_127
.LBB71_123:
	s_mov_b64 s[0:1], -1
                                        ; implicit-def: $vgpr0_vgpr1
.LBB71_124:
	s_andn2_b64 vcc, exec, s[0:1]
	s_cbranch_vccnz .LBB71_126
; %bb.125:
	global_load_dword v0, v[6:7], off
	s_waitcnt vmcnt(0)
	v_cvt_f64_f32_e32 v[0:1], v0
.LBB71_126:
	s_mov_b64 s[0:1], 0
.LBB71_127:
	s_andn2_b64 vcc, exec, s[0:1]
	s_cbranch_vccnz .LBB71_129
; %bb.128:
	global_load_dword v0, v[6:7], off
	s_waitcnt vmcnt(0)
	v_cvt_f32_f16_e32 v0, v0
	v_cvt_f64_f32_e32 v[0:1], v0
.LBB71_129:
	s_mov_b64 s[0:1], 0
.LBB71_130:
	s_andn2_b64 vcc, exec, s[0:1]
	s_cbranch_vccnz .LBB71_141
; %bb.131:
	s_waitcnt vmcnt(0)
	v_mov_b32_e32 v0, 6
	v_cmp_lt_i16_sdwa s[0:1], v9, v0 src0_sel:BYTE_0 src1_sel:DWORD
	s_and_b64 vcc, exec, s[0:1]
	s_cbranch_vccnz .LBB71_134
; %bb.132:
	v_cmp_gt_i16_sdwa s[0:1], v9, v0 src0_sel:BYTE_0 src1_sel:DWORD
	s_and_b64 vcc, exec, s[0:1]
	s_cbranch_vccz .LBB71_135
; %bb.133:
	global_load_dwordx2 v[0:1], v[6:7], off
	s_mov_b64 s[0:1], 0
	s_branch .LBB71_136
.LBB71_134:
	s_mov_b64 s[0:1], -1
                                        ; implicit-def: $vgpr0_vgpr1
	s_branch .LBB71_139
.LBB71_135:
	s_mov_b64 s[0:1], -1
                                        ; implicit-def: $vgpr0_vgpr1
.LBB71_136:
	s_andn2_b64 vcc, exec, s[0:1]
	s_cbranch_vccnz .LBB71_138
; %bb.137:
	global_load_dword v0, v[6:7], off
	s_waitcnt vmcnt(0)
	v_cvt_f64_f32_e32 v[0:1], v0
.LBB71_138:
	s_mov_b64 s[0:1], 0
.LBB71_139:
	s_andn2_b64 vcc, exec, s[0:1]
	s_cbranch_vccnz .LBB71_141
; %bb.140:
	global_load_ushort v0, v[6:7], off
	s_waitcnt vmcnt(0)
	v_cvt_f32_f16_e32 v0, v0
	v_cvt_f64_f32_e32 v[0:1], v0
.LBB71_141:
	s_cbranch_execnz .LBB71_161
.LBB71_142:
	s_waitcnt vmcnt(0)
	v_mov_b32_e32 v0, 2
	v_cmp_lt_i16_sdwa s[0:1], v9, v0 src0_sel:BYTE_0 src1_sel:DWORD
	s_and_b64 vcc, exec, s[0:1]
	s_cbranch_vccnz .LBB71_146
; %bb.143:
	v_mov_b32_e32 v0, 3
	v_cmp_lt_i16_sdwa s[0:1], v9, v0 src0_sel:BYTE_0 src1_sel:DWORD
	s_and_b64 vcc, exec, s[0:1]
	s_cbranch_vccnz .LBB71_147
; %bb.144:
	v_cmp_gt_i16_sdwa s[0:1], v9, v0 src0_sel:BYTE_0 src1_sel:DWORD
	s_and_b64 vcc, exec, s[0:1]
	s_cbranch_vccz .LBB71_148
; %bb.145:
	global_load_dwordx2 v[0:1], v[6:7], off
	s_mov_b64 s[0:1], 0
	s_waitcnt vmcnt(0)
	v_cvt_f64_i32_e32 v[12:13], v1
	v_cvt_f64_u32_e32 v[0:1], v0
	v_ldexp_f64 v[12:13], v[12:13], 32
	v_add_f64 v[0:1], v[12:13], v[0:1]
	s_branch .LBB71_149
.LBB71_146:
	s_mov_b64 s[0:1], -1
                                        ; implicit-def: $vgpr0_vgpr1
	s_branch .LBB71_155
.LBB71_147:
	s_mov_b64 s[0:1], -1
                                        ; implicit-def: $vgpr0_vgpr1
	s_branch .LBB71_152
.LBB71_148:
	s_mov_b64 s[0:1], -1
                                        ; implicit-def: $vgpr0_vgpr1
.LBB71_149:
	s_andn2_b64 vcc, exec, s[0:1]
	s_cbranch_vccnz .LBB71_151
; %bb.150:
	global_load_dword v0, v[6:7], off
	s_waitcnt vmcnt(0)
	v_cvt_f64_i32_e32 v[0:1], v0
.LBB71_151:
	s_mov_b64 s[0:1], 0
.LBB71_152:
	s_andn2_b64 vcc, exec, s[0:1]
	s_cbranch_vccnz .LBB71_154
; %bb.153:
	global_load_sshort v0, v[6:7], off
	s_waitcnt vmcnt(0)
	v_cvt_f64_i32_e32 v[0:1], v0
.LBB71_154:
	s_mov_b64 s[0:1], 0
.LBB71_155:
	s_andn2_b64 vcc, exec, s[0:1]
	s_cbranch_vccnz .LBB71_161
; %bb.156:
	v_mov_b32_e32 v0, 0
	v_cmp_gt_i16_sdwa s[0:1], v9, v0 src0_sel:BYTE_0 src1_sel:DWORD
	s_and_b64 vcc, exec, s[0:1]
	s_cbranch_vccz .LBB71_158
; %bb.157:
	global_load_sbyte v0, v[6:7], off
	s_mov_b64 s[0:1], 0
	s_waitcnt vmcnt(0)
	v_cvt_f64_i32_e32 v[0:1], v0
	s_branch .LBB71_159
.LBB71_158:
	s_mov_b64 s[0:1], -1
                                        ; implicit-def: $vgpr0_vgpr1
.LBB71_159:
	s_andn2_b64 vcc, exec, s[0:1]
	s_cbranch_vccnz .LBB71_161
; %bb.160:
	global_load_ubyte v0, v[6:7], off
	s_waitcnt vmcnt(0)
	v_cvt_f64_u32_e32 v[0:1], v0
.LBB71_161:
	s_branch .LBB71_21
.LBB71_162:
	s_mov_b64 s[0:1], 0
	s_mov_b64 s[38:39], 0
	s_branch .LBB71_391
.LBB71_163:
	s_mov_b64 s[38:39], -1
.LBB71_164:
	s_mov_b64 s[0:1], 0
                                        ; implicit-def: $vgpr6_vgpr7
.LBB71_165:
	s_and_b64 vcc, exec, s[36:37]
	s_cbranch_vccz .LBB71_281
; %bb.166:
	v_mov_b32_e32 v3, 44
	v_cmp_eq_u16_sdwa s[36:37], v11, v3 src0_sel:BYTE_0 src1_sel:DWORD
	s_and_b64 vcc, exec, s[36:37]
	s_cbranch_vccz .LBB71_280
; %bb.167:
	global_load_ubyte v3, v[4:5], off
	s_movk_i32 s36, 0xff
	v_mov_b32_e32 v12, 0x7ff80000
	v_bfrev_b32_e32 v13, 28
	s_mov_b64 s[0:1], -1
	s_mov_b64 s[38:39], 0
	s_waitcnt vmcnt(0)
	v_lshlrev_b32_e32 v6, 23, v3
	v_cvt_f64_f32_e32 v[6:7], v6
	v_cmp_ne_u32_e32 vcc, s36, v3
	v_cndmask_b32_e32 v6, v12, v7, vcc
	v_cmp_ne_u32_e32 vcc, 0, v3
	v_cndmask_b32_e32 v7, v13, v6, vcc
	s_branch .LBB71_281
.LBB71_168:
	s_mov_b64 s[44:45], -1
	s_mov_b64 s[0:1], 0
	s_mov_b64 s[36:37], 0
.LBB71_169:
	s_and_b64 vcc, exec, s[44:45]
	s_cbranch_vccz .LBB71_174
; %bb.170:
	v_mov_b32_e32 v2, 44
	v_cmp_eq_u16_sdwa s[44:45], v10, v2 src0_sel:BYTE_0 src1_sel:DWORD
	s_mov_b64 s[0:1], -1
	s_and_b64 vcc, exec, s[44:45]
	s_cbranch_vccz .LBB71_174
; %bb.171:
	v_cvt_f32_f64_e32 v2, v[0:1]
	v_bfe_u32 v3, v2, 23, 8
	s_movk_i32 s0, 0xff
	v_cmp_ne_u32_e32 vcc, s0, v3
	v_mov_b32_e32 v6, 0xff
	s_and_saveexec_b64 s[36:37], vcc
; %bb.172:
	s_mov_b32 s0, 0x3fffff
	v_lshrrev_b32_e32 v6, 23, v2
	v_and_b32_e32 v7, 0x400000, v2
	v_and_or_b32 v2, v2, s0, v3
	v_cmp_ne_u32_e32 vcc, 0, v7
	v_cmp_ne_u32_e64 s[0:1], 0, v2
	s_and_b64 s[0:1], vcc, s[0:1]
	v_cndmask_b32_e64 v2, 0, 1, s[0:1]
	v_add_u32_e32 v6, v6, v2
; %bb.173:
	s_or_b64 exec, exec, s[36:37]
	s_mov_b64 s[36:37], -1
	s_mov_b64 s[0:1], 0
	global_store_byte v[4:5], v6, off
.LBB71_174:
	s_mov_b64 s[44:45], 0
.LBB71_175:
	s_and_b64 vcc, exec, s[44:45]
	s_cbranch_vccz .LBB71_178
; %bb.176:
	v_mov_b32_e32 v2, 29
	v_cmp_eq_u16_sdwa s[44:45], v10, v2 src0_sel:BYTE_0 src1_sel:DWORD
	s_mov_b64 s[0:1], -1
	s_and_b64 vcc, exec, s[44:45]
	s_cbranch_vccz .LBB71_178
; %bb.177:
	v_trunc_f64_e32 v[2:3], v[0:1]
	s_movk_i32 s0, 0xffe0
	v_ldexp_f64 v[6:7], v[2:3], s0
	v_floor_f64_e32 v[6:7], v[6:7]
	v_fmac_f64_e32 v[2:3], 0xc1f00000, v[6:7]
	v_cvt_u32_f64_e32 v13, v[6:7]
	v_cvt_u32_f64_e32 v12, v[2:3]
	global_store_dwordx2 v[4:5], v[12:13], off
	s_mov_b64 s[36:37], -1
	s_mov_b64 s[0:1], 0
.LBB71_178:
	s_mov_b64 s[44:45], 0
.LBB71_179:
	s_and_b64 vcc, exec, s[44:45]
	s_cbranch_vccz .LBB71_195
; %bb.180:
	v_mov_b32_e32 v2, 27
	v_cmp_lt_i16_sdwa s[44:45], v10, v2 src0_sel:BYTE_0 src1_sel:DWORD
	s_mov_b64 s[36:37], -1
	s_and_b64 vcc, exec, s[44:45]
	s_cbranch_vccnz .LBB71_186
; %bb.181:
	v_cmp_gt_i16_sdwa s[44:45], v10, v2 src0_sel:BYTE_0 src1_sel:DWORD
	s_and_b64 vcc, exec, s[44:45]
	v_cvt_u32_f64_e32 v2, v[0:1]
	s_cbranch_vccz .LBB71_183
; %bb.182:
	s_mov_b64 s[36:37], 0
	global_store_dword v[4:5], v2, off
.LBB71_183:
	s_andn2_b64 vcc, exec, s[36:37]
	s_cbranch_vccnz .LBB71_185
; %bb.184:
	global_store_short v[4:5], v2, off
.LBB71_185:
	s_mov_b64 s[36:37], 0
.LBB71_186:
	s_andn2_b64 vcc, exec, s[36:37]
	s_cbranch_vccnz .LBB71_194
; %bb.187:
	v_cvt_f32_f64_e32 v2, v[0:1]
	v_and_b32_e32 v3, 0x7fffffff, v2
	s_mov_b32 s36, 0x43800000
	v_cmp_gt_u32_e32 vcc, s36, v3
	v_mov_b32_e32 v6, 0x80
	s_and_saveexec_b64 s[36:37], vcc
	s_cbranch_execz .LBB71_193
; %bb.188:
	s_mov_b32 s44, 0x3bffffff
	v_cmp_lt_u32_e32 vcc, s44, v3
	s_mov_b64 s[44:45], 0
                                        ; implicit-def: $vgpr3
	s_and_saveexec_b64 s[48:49], vcc
	s_xor_b64 s[48:49], exec, s[48:49]
	s_cbranch_execz .LBB71_432
; %bb.189:
	v_bfe_u32 v3, v2, 20, 1
	s_mov_b32 s50, 0x487ffff
	v_add3_u32 v3, v2, v3, s50
	s_mov_b64 s[44:45], exec
	v_lshrrev_b32_e32 v3, 20, v3
	s_or_saveexec_b64 s[48:49], s[48:49]
                                        ; implicit-def: $sgpr50
	s_xor_b64 exec, exec, s[48:49]
	s_cbranch_execnz .LBB71_433
.LBB71_190:
	s_or_b64 exec, exec, s[48:49]
	v_mov_b32_e32 v6, s50
	s_and_saveexec_b64 s[48:49], s[44:45]
.LBB71_191:
	v_lshrrev_b32_e32 v2, 24, v2
	s_movk_i32 s44, 0x80
	v_and_or_b32 v6, v2, s44, v3
.LBB71_192:
	s_or_b64 exec, exec, s[48:49]
.LBB71_193:
	s_or_b64 exec, exec, s[36:37]
	global_store_byte v[4:5], v6, off
.LBB71_194:
	s_mov_b64 s[36:37], -1
.LBB71_195:
	s_mov_b64 s[44:45], 0
.LBB71_196:
	s_and_b64 vcc, exec, s[44:45]
	s_cbranch_vccz .LBB71_237
; %bb.197:
	v_mov_b32_e32 v2, 22
	v_cmp_gt_i16_sdwa s[48:49], v10, v2 src0_sel:BYTE_0 src1_sel:DWORD
	s_mov_b64 s[44:45], -1
	s_and_b64 vcc, exec, s[48:49]
	s_cbranch_vccz .LBB71_229
; %bb.198:
	v_mov_b32_e32 v2, 24
	v_cmp_lt_i16_sdwa s[44:45], v10, v2 src0_sel:BYTE_0 src1_sel:DWORD
	s_mov_b64 s[36:37], -1
	s_and_b64 vcc, exec, s[44:45]
	s_cbranch_vccnz .LBB71_218
; %bb.199:
	v_cmp_gt_i16_sdwa s[44:45], v10, v2 src0_sel:BYTE_0 src1_sel:DWORD
	s_and_b64 vcc, exec, s[44:45]
	s_cbranch_vccz .LBB71_207
; %bb.200:
	v_cvt_f32_f64_e32 v2, v[0:1]
	v_and_b32_e32 v3, 0x7fffffff, v2
	s_mov_b32 s36, 0x47800000
	v_cmp_gt_u32_e32 vcc, s36, v3
	v_mov_b32_e32 v6, 0x80
	s_and_saveexec_b64 s[36:37], vcc
	s_cbranch_execz .LBB71_206
; %bb.201:
	s_mov_b32 s44, 0x37ffffff
	v_cmp_lt_u32_e32 vcc, s44, v3
	s_mov_b64 s[44:45], 0
                                        ; implicit-def: $vgpr3
	s_and_saveexec_b64 s[48:49], vcc
	s_xor_b64 s[48:49], exec, s[48:49]
	s_cbranch_execz .LBB71_551
; %bb.202:
	v_bfe_u32 v3, v2, 21, 1
	s_mov_b32 s50, 0x88fffff
	v_add3_u32 v3, v2, v3, s50
	s_mov_b64 s[44:45], exec
	v_lshrrev_b32_e32 v3, 21, v3
	s_or_saveexec_b64 s[48:49], s[48:49]
                                        ; implicit-def: $sgpr50
	s_xor_b64 exec, exec, s[48:49]
	s_cbranch_execnz .LBB71_552
.LBB71_203:
	s_or_b64 exec, exec, s[48:49]
	v_mov_b32_e32 v6, s50
	s_and_saveexec_b64 s[48:49], s[44:45]
.LBB71_204:
	v_lshrrev_b32_e32 v2, 24, v2
	s_movk_i32 s44, 0x80
	v_and_or_b32 v6, v2, s44, v3
.LBB71_205:
	s_or_b64 exec, exec, s[48:49]
.LBB71_206:
	s_or_b64 exec, exec, s[36:37]
	s_mov_b64 s[36:37], 0
	global_store_byte v[4:5], v6, off
.LBB71_207:
	s_and_b64 vcc, exec, s[36:37]
	s_cbranch_vccz .LBB71_217
; %bb.208:
	v_cvt_f32_f64_e32 v2, v[0:1]
	v_and_b32_e32 v6, 0x7fffffff, v2
	s_mov_b32 s36, 0x43f00000
	v_cmp_gt_u32_e32 vcc, s36, v6
                                        ; implicit-def: $vgpr3
	s_and_saveexec_b64 s[36:37], vcc
	s_xor_b64 s[36:37], exec, s[36:37]
	s_cbranch_execz .LBB71_214
; %bb.209:
	s_mov_b32 s44, 0x3c7fffff
	v_cmp_lt_u32_e32 vcc, s44, v6
                                        ; implicit-def: $vgpr3
	s_and_saveexec_b64 s[44:45], vcc
	s_xor_b64 s[44:45], exec, s[44:45]
; %bb.210:
	v_bfe_u32 v3, v2, 20, 1
	s_mov_b32 s48, 0x407ffff
	v_add3_u32 v3, v2, v3, s48
	v_lshrrev_b32_e32 v6, 20, v3
	v_and_b32_e32 v3, 0xff00000, v3
	s_mov_b32 s48, 0x7f00000
	v_mov_b32_e32 v7, 0x7e
	v_cmp_ne_u32_e32 vcc, s48, v3
	v_cndmask_b32_e32 v3, v7, v6, vcc
; %bb.211:
	s_andn2_saveexec_b64 s[44:45], s[44:45]
; %bb.212:
	s_mov_b32 s48, 0x46800000
	v_add_f32_e64 v3, |v2|, s48
; %bb.213:
	s_or_b64 exec, exec, s[44:45]
                                        ; implicit-def: $vgpr6
.LBB71_214:
	s_andn2_saveexec_b64 s[36:37], s[36:37]
; %bb.215:
	s_mov_b32 s44, 0x7f800000
	v_mov_b32_e32 v3, 0x7e
	v_mov_b32_e32 v7, 0x7f
	v_cmp_lt_u32_e32 vcc, s44, v6
	v_cndmask_b32_e32 v3, v3, v7, vcc
; %bb.216:
	s_or_b64 exec, exec, s[36:37]
	v_lshrrev_b32_e32 v2, 24, v2
	s_movk_i32 s36, 0x80
	v_and_or_b32 v2, v2, s36, v3
	global_store_byte v[4:5], v2, off
.LBB71_217:
	s_mov_b64 s[36:37], 0
.LBB71_218:
	s_andn2_b64 vcc, exec, s[36:37]
	s_cbranch_vccnz .LBB71_228
; %bb.219:
	v_cvt_f32_f64_e32 v2, v[0:1]
	v_and_b32_e32 v6, 0x7fffffff, v2
	s_mov_b32 s36, 0x47800000
	v_cmp_gt_u32_e32 vcc, s36, v6
                                        ; implicit-def: $vgpr3
	s_and_saveexec_b64 s[36:37], vcc
	s_xor_b64 s[36:37], exec, s[36:37]
	s_cbranch_execz .LBB71_225
; %bb.220:
	s_mov_b32 s44, 0x387fffff
	v_cmp_lt_u32_e32 vcc, s44, v6
                                        ; implicit-def: $vgpr3
	s_and_saveexec_b64 s[44:45], vcc
	s_xor_b64 s[44:45], exec, s[44:45]
; %bb.221:
	v_bfe_u32 v3, v2, 21, 1
	s_mov_b32 s48, 0x80fffff
	v_add3_u32 v3, v2, v3, s48
	v_lshrrev_b32_e32 v3, 21, v3
; %bb.222:
	s_andn2_saveexec_b64 s[44:45], s[44:45]
; %bb.223:
	s_mov_b32 s48, 0x43000000
	v_add_f32_e64 v3, |v2|, s48
; %bb.224:
	s_or_b64 exec, exec, s[44:45]
                                        ; implicit-def: $vgpr6
.LBB71_225:
	s_andn2_saveexec_b64 s[36:37], s[36:37]
; %bb.226:
	s_mov_b32 s44, 0x7f800000
	v_mov_b32_e32 v3, 0x7c
	v_mov_b32_e32 v7, 0x7f
	v_cmp_lt_u32_e32 vcc, s44, v6
	v_cndmask_b32_e32 v3, v3, v7, vcc
; %bb.227:
	s_or_b64 exec, exec, s[36:37]
	v_lshrrev_b32_e32 v2, 24, v2
	s_movk_i32 s36, 0x80
	v_and_or_b32 v2, v2, s36, v3
	global_store_byte v[4:5], v2, off
.LBB71_228:
	s_mov_b64 s[44:45], 0
	s_mov_b64 s[36:37], -1
.LBB71_229:
	s_andn2_b64 vcc, exec, s[44:45]
	s_cbranch_vccnz .LBB71_237
; %bb.230:
	v_mov_b32_e32 v2, 14
	v_cmp_gt_i16_sdwa s[48:49], v10, v2 src0_sel:BYTE_0 src1_sel:DWORD
	s_mov_b64 s[44:45], -1
	s_and_b64 vcc, exec, s[48:49]
	s_cbranch_vccz .LBB71_234
; %bb.231:
	v_mov_b32_e32 v2, 15
	v_cmp_eq_u16_sdwa s[44:45], v10, v2 src0_sel:BYTE_0 src1_sel:DWORD
	s_mov_b64 s[0:1], -1
	s_and_b64 vcc, exec, s[44:45]
	s_cbranch_vccz .LBB71_233
; %bb.232:
	v_cvt_f32_f64_e32 v2, v[0:1]
	v_bfe_u32 v3, v2, 16, 1
	s_movk_i32 s0, 0x7fff
	v_add3_u32 v3, v2, v3, s0
	v_lshrrev_b32_e32 v3, 16, v3
	v_mov_b32_e32 v6, 0x7fc0
	v_cmp_o_f32_e32 vcc, v2, v2
	v_cndmask_b32_e32 v2, v6, v3, vcc
	global_store_short v[4:5], v2, off
	s_mov_b64 s[36:37], -1
	s_mov_b64 s[0:1], 0
.LBB71_233:
	s_mov_b64 s[44:45], 0
.LBB71_234:
	s_and_b64 vcc, exec, s[44:45]
	s_cbranch_vccz .LBB71_237
; %bb.235:
	v_mov_b32_e32 v2, 11
	v_cmp_eq_u16_sdwa s[44:45], v10, v2 src0_sel:BYTE_0 src1_sel:DWORD
	s_mov_b64 s[0:1], -1
	s_and_b64 vcc, exec, s[44:45]
	s_cbranch_vccz .LBB71_237
; %bb.236:
	v_cmp_neq_f64_e32 vcc, 0, v[0:1]
	s_mov_b64 s[0:1], 0
	v_cndmask_b32_e64 v2, 0, 1, vcc
	s_mov_b64 s[36:37], -1
	global_store_byte v[4:5], v2, off
.LBB71_237:
	s_mov_b64 s[44:45], 0
.LBB71_238:
	s_and_b64 vcc, exec, s[44:45]
	s_cbranch_vccz .LBB71_277
; %bb.239:
	v_mov_b32_e32 v2, 5
	v_cmp_lt_i16_sdwa s[44:45], v10, v2 src0_sel:BYTE_0 src1_sel:DWORD
	s_mov_b64 s[36:37], -1
	s_and_b64 vcc, exec, s[44:45]
	s_cbranch_vccnz .LBB71_260
; %bb.240:
	v_mov_b32_e32 v2, 8
	v_cmp_lt_i16_sdwa s[44:45], v10, v2 src0_sel:BYTE_0 src1_sel:DWORD
	s_and_b64 vcc, exec, s[44:45]
	s_cbranch_vccnz .LBB71_250
; %bb.241:
	v_mov_b32_e32 v2, 9
	v_cmp_lt_i16_sdwa s[44:45], v10, v2 src0_sel:BYTE_0 src1_sel:DWORD
	s_and_b64 vcc, exec, s[44:45]
	s_cbranch_vccnz .LBB71_247
; %bb.242:
	v_cmp_gt_i16_sdwa s[44:45], v10, v2 src0_sel:BYTE_0 src1_sel:DWORD
	s_and_b64 vcc, exec, s[44:45]
	s_cbranch_vccz .LBB71_244
; %bb.243:
	v_mov_b32_e32 v2, 0
	v_mov_b32_e32 v3, v2
	global_store_dwordx4 v[4:5], v[0:3], off
	s_mov_b64 s[36:37], 0
.LBB71_244:
	s_andn2_b64 vcc, exec, s[36:37]
	s_cbranch_vccnz .LBB71_246
; %bb.245:
	v_cvt_f32_f64_e32 v2, v[0:1]
	v_mov_b32_e32 v3, 0
	global_store_dwordx2 v[4:5], v[2:3], off
.LBB71_246:
	s_mov_b64 s[36:37], 0
.LBB71_247:
	s_andn2_b64 vcc, exec, s[36:37]
	s_cbranch_vccnz .LBB71_249
; %bb.248:
	v_cvt_f32_f64_e32 v2, v[0:1]
	v_cvt_f16_f32_e32 v2, v2
	global_store_dword v[4:5], v2, off
.LBB71_249:
	s_mov_b64 s[36:37], 0
.LBB71_250:
	s_andn2_b64 vcc, exec, s[36:37]
	s_cbranch_vccnz .LBB71_259
; %bb.251:
	v_mov_b32_e32 v2, 6
	v_cmp_lt_i16_sdwa s[44:45], v10, v2 src0_sel:BYTE_0 src1_sel:DWORD
	s_mov_b64 s[36:37], -1
	s_and_b64 vcc, exec, s[44:45]
	s_cbranch_vccnz .LBB71_257
; %bb.252:
	v_cmp_gt_i16_sdwa s[44:45], v10, v2 src0_sel:BYTE_0 src1_sel:DWORD
	s_and_b64 vcc, exec, s[44:45]
	s_cbranch_vccz .LBB71_254
; %bb.253:
	global_store_dwordx2 v[4:5], v[0:1], off
	s_mov_b64 s[36:37], 0
.LBB71_254:
	s_andn2_b64 vcc, exec, s[36:37]
	s_cbranch_vccnz .LBB71_256
; %bb.255:
	v_cvt_f32_f64_e32 v2, v[0:1]
	global_store_dword v[4:5], v2, off
.LBB71_256:
	s_mov_b64 s[36:37], 0
.LBB71_257:
	s_andn2_b64 vcc, exec, s[36:37]
	s_cbranch_vccnz .LBB71_259
; %bb.258:
	v_cvt_f32_f64_e32 v2, v[0:1]
	v_cvt_f16_f32_e32 v2, v2
	global_store_short v[4:5], v2, off
.LBB71_259:
	s_mov_b64 s[36:37], 0
.LBB71_260:
	s_andn2_b64 vcc, exec, s[36:37]
	s_cbranch_vccnz .LBB71_276
; %bb.261:
	v_mov_b32_e32 v2, 2
	v_cmp_lt_i16_sdwa s[44:45], v10, v2 src0_sel:BYTE_0 src1_sel:DWORD
	s_mov_b64 s[36:37], -1
	s_and_b64 vcc, exec, s[44:45]
	s_cbranch_vccnz .LBB71_271
; %bb.262:
	v_mov_b32_e32 v2, 3
	v_cmp_lt_i16_sdwa s[44:45], v10, v2 src0_sel:BYTE_0 src1_sel:DWORD
	s_and_b64 vcc, exec, s[44:45]
	s_cbranch_vccnz .LBB71_268
; %bb.263:
	v_cmp_gt_i16_sdwa s[44:45], v10, v2 src0_sel:BYTE_0 src1_sel:DWORD
	s_and_b64 vcc, exec, s[44:45]
	s_cbranch_vccz .LBB71_265
; %bb.264:
	v_trunc_f64_e32 v[2:3], v[0:1]
	s_movk_i32 s36, 0xffe0
	v_ldexp_f64 v[6:7], v[2:3], s36
	v_floor_f64_e32 v[6:7], v[6:7]
	v_fmac_f64_e32 v[2:3], 0xc1f00000, v[6:7]
	v_cvt_i32_f64_e32 v13, v[6:7]
	v_cvt_u32_f64_e32 v12, v[2:3]
	global_store_dwordx2 v[4:5], v[12:13], off
	s_mov_b64 s[36:37], 0
.LBB71_265:
	s_andn2_b64 vcc, exec, s[36:37]
	s_cbranch_vccnz .LBB71_267
; %bb.266:
	v_cvt_i32_f64_e32 v2, v[0:1]
	global_store_dword v[4:5], v2, off
.LBB71_267:
	s_mov_b64 s[36:37], 0
.LBB71_268:
	s_andn2_b64 vcc, exec, s[36:37]
	s_cbranch_vccnz .LBB71_270
; %bb.269:
	v_cvt_i32_f64_e32 v2, v[0:1]
	global_store_short v[4:5], v2, off
.LBB71_270:
	s_mov_b64 s[36:37], 0
.LBB71_271:
	s_andn2_b64 vcc, exec, s[36:37]
	s_cbranch_vccnz .LBB71_276
; %bb.272:
	v_mov_b32_e32 v2, 0
	v_cmp_gt_i16_sdwa s[44:45], v10, v2 src0_sel:BYTE_0 src1_sel:DWORD
	s_mov_b64 s[36:37], -1
	s_and_b64 vcc, exec, s[44:45]
	s_cbranch_vccz .LBB71_274
; %bb.273:
	v_cvt_i32_f64_e32 v2, v[0:1]
	global_store_byte v[4:5], v2, off
	s_mov_b64 s[36:37], 0
.LBB71_274:
	s_andn2_b64 vcc, exec, s[36:37]
	s_cbranch_vccnz .LBB71_276
; %bb.275:
	v_trunc_f64_e32 v[0:1], v[0:1]
	s_movk_i32 s36, 0xffe0
	v_ldexp_f64 v[2:3], v[0:1], s36
	v_floor_f64_e32 v[2:3], v[2:3]
	v_fmac_f64_e32 v[0:1], 0xc1f00000, v[2:3]
	v_cvt_u32_f64_e32 v0, v[0:1]
	global_store_byte v[4:5], v0, off
.LBB71_276:
	s_mov_b64 s[36:37], -1
.LBB71_277:
	s_andn2_b64 vcc, exec, s[36:37]
	s_cbranch_vccnz .LBB71_279
; %bb.278:
	v_add_u32_e32 v8, 0x80, v8
	s_mov_b64 s[44:45], -1
	s_branch .LBB71_392
.LBB71_279:
	s_mov_b64 s[44:45], 0
                                        ; implicit-def: $vgpr8
	s_branch .LBB71_392
.LBB71_280:
	s_mov_b64 s[38:39], -1
                                        ; implicit-def: $vgpr6_vgpr7
.LBB71_281:
	s_mov_b64 s[36:37], 0
.LBB71_282:
	s_and_b64 vcc, exec, s[36:37]
	s_cbranch_vccz .LBB71_286
; %bb.283:
	v_mov_b32_e32 v3, 29
	v_cmp_eq_u16_sdwa s[36:37], v11, v3 src0_sel:BYTE_0 src1_sel:DWORD
	s_and_b64 vcc, exec, s[36:37]
	s_cbranch_vccz .LBB71_285
; %bb.284:
	global_load_dwordx2 v[6:7], v[4:5], off
	s_mov_b64 s[0:1], -1
	s_mov_b64 s[38:39], 0
	s_mov_b64 s[36:37], 0
	s_waitcnt vmcnt(0)
	v_cvt_f64_u32_e32 v[12:13], v7
	v_cvt_f64_u32_e32 v[6:7], v6
	v_ldexp_f64 v[12:13], v[12:13], 32
	v_add_f64 v[6:7], v[12:13], v[6:7]
	s_branch .LBB71_287
.LBB71_285:
	s_mov_b64 s[38:39], -1
                                        ; implicit-def: $vgpr6_vgpr7
.LBB71_286:
	s_mov_b64 s[36:37], 0
.LBB71_287:
	s_and_b64 vcc, exec, s[36:37]
	s_cbranch_vccz .LBB71_305
; %bb.288:
	v_mov_b32_e32 v3, 27
	v_cmp_lt_i16_sdwa s[0:1], v11, v3 src0_sel:BYTE_0 src1_sel:DWORD
	s_and_b64 vcc, exec, s[0:1]
	s_cbranch_vccnz .LBB71_291
; %bb.289:
	v_cmp_gt_i16_sdwa s[0:1], v11, v3 src0_sel:BYTE_0 src1_sel:DWORD
	s_and_b64 vcc, exec, s[0:1]
	s_cbranch_vccz .LBB71_292
; %bb.290:
	global_load_dword v3, v[4:5], off
	s_mov_b64 s[0:1], 0
	s_waitcnt vmcnt(0)
	v_cvt_f64_u32_e32 v[6:7], v3
	s_branch .LBB71_293
.LBB71_291:
	s_mov_b64 s[0:1], -1
                                        ; implicit-def: $vgpr6_vgpr7
	s_branch .LBB71_296
.LBB71_292:
	s_mov_b64 s[0:1], -1
                                        ; implicit-def: $vgpr6_vgpr7
.LBB71_293:
	s_andn2_b64 vcc, exec, s[0:1]
	s_cbranch_vccnz .LBB71_295
; %bb.294:
	global_load_ushort v3, v[4:5], off
	s_waitcnt vmcnt(0)
	v_cvt_f64_u32_e32 v[6:7], v3
.LBB71_295:
	s_mov_b64 s[0:1], 0
.LBB71_296:
	s_andn2_b64 vcc, exec, s[0:1]
	s_cbranch_vccnz .LBB71_304
; %bb.297:
	global_load_ubyte v3, v[4:5], off
	s_movk_i32 s0, 0x7f
                                        ; implicit-def: $sgpr36_sgpr37
	s_waitcnt vmcnt(0)
	v_cmp_lt_i16_e32 vcc, s0, v3
	s_mov_b64 s[0:1], 0
	s_and_saveexec_b64 s[44:45], vcc
	s_xor_b64 s[44:45], exec, s[44:45]
	s_cbranch_execz .LBB71_318
; %bb.298:
	s_movk_i32 s0, 0x80
	v_cmp_eq_u16_e32 vcc, s0, v3
	s_mov_b64 s[48:49], -1
                                        ; implicit-def: $sgpr36_sgpr37
	s_and_saveexec_b64 s[0:1], vcc
; %bb.299:
	s_mov_b32 s37, 0x7ff80000
	s_brev_b32 s36, 4
	s_xor_b64 s[48:49], exec, -1
; %bb.300:
	s_or_b64 exec, exec, s[0:1]
	s_and_b64 s[0:1], s[48:49], exec
	s_or_saveexec_b64 s[44:45], s[44:45]
	v_pk_mov_b32 v[6:7], s[36:37], s[36:37] op_sel:[0,1]
	s_xor_b64 exec, exec, s[44:45]
	s_cbranch_execnz .LBB71_319
.LBB71_301:
	s_or_b64 exec, exec, s[44:45]
	s_and_saveexec_b64 s[36:37], s[0:1]
	s_cbranch_execz .LBB71_303
.LBB71_302:
	v_lshlrev_b32_e32 v6, 24, v3
	v_and_b32_e32 v3, 0xffff, v3
	v_and_b32_e32 v7, 7, v3
	v_ffbh_u32_e32 v13, v7
	v_min_u32_e32 v13, 32, v13
	v_subrev_u32_e32 v14, 28, v13
	v_bfe_u32 v12, v3, 3, 4
	v_lshlrev_b32_e32 v3, v14, v3
	v_sub_u32_e32 v13, 29, v13
	v_and_b32_e32 v3, 7, v3
	v_cmp_eq_u32_e32 vcc, 0, v12
	v_cndmask_b32_e32 v12, v12, v13, vcc
	v_cndmask_b32_e32 v3, v7, v3, vcc
	v_mov_b32_e32 v7, 0x3b800000
	v_lshlrev_b32_e32 v3, 20, v3
	v_and_b32_e32 v6, 0x80000000, v6
	v_lshl_add_u32 v7, v12, 23, v7
	v_or3_b32 v3, v6, v7, v3
	v_cvt_f64_f32_e32 v[6:7], v3
.LBB71_303:
	s_or_b64 exec, exec, s[36:37]
.LBB71_304:
	s_mov_b64 s[0:1], -1
.LBB71_305:
	s_mov_b64 s[36:37], 0
.LBB71_306:
	s_and_b64 vcc, exec, s[36:37]
	s_cbranch_vccz .LBB71_341
; %bb.307:
	v_mov_b32_e32 v3, 22
	v_cmp_gt_i16_sdwa s[36:37], v11, v3 src0_sel:BYTE_0 src1_sel:DWORD
	s_and_b64 vcc, exec, s[36:37]
	s_cbranch_vccz .LBB71_317
; %bb.308:
	v_mov_b32_e32 v3, 24
	v_cmp_lt_i16_sdwa s[0:1], v11, v3 src0_sel:BYTE_0 src1_sel:DWORD
	s_and_b64 vcc, exec, s[0:1]
	s_cbranch_vccnz .LBB71_320
; %bb.309:
	v_cmp_gt_i16_sdwa s[0:1], v11, v3 src0_sel:BYTE_0 src1_sel:DWORD
	s_and_b64 vcc, exec, s[0:1]
	s_cbranch_vccz .LBB71_321
; %bb.310:
	global_load_ubyte v3, v[4:5], off
	s_movk_i32 s0, 0x7f
                                        ; implicit-def: $sgpr36_sgpr37
	s_waitcnt vmcnt(0)
	v_cmp_lt_i16_e32 vcc, s0, v3
	s_mov_b64 s[0:1], 0
	s_and_saveexec_b64 s[44:45], vcc
	s_xor_b64 s[44:45], exec, s[44:45]
	s_cbranch_execz .LBB71_333
; %bb.311:
	s_movk_i32 s0, 0x80
	v_cmp_eq_u16_e32 vcc, s0, v3
	s_mov_b64 s[48:49], -1
                                        ; implicit-def: $sgpr36_sgpr37
	s_and_saveexec_b64 s[0:1], vcc
; %bb.312:
	s_mov_b32 s37, 0x7ff80000
	s_brev_b32 s36, 4
	s_xor_b64 s[48:49], exec, -1
; %bb.313:
	s_or_b64 exec, exec, s[0:1]
	s_and_b64 s[0:1], s[48:49], exec
	s_or_saveexec_b64 s[44:45], s[44:45]
	v_pk_mov_b32 v[6:7], s[36:37], s[36:37] op_sel:[0,1]
	s_xor_b64 exec, exec, s[44:45]
	s_cbranch_execnz .LBB71_334
.LBB71_314:
	s_or_b64 exec, exec, s[44:45]
	s_and_saveexec_b64 s[36:37], s[0:1]
	s_cbranch_execz .LBB71_316
.LBB71_315:
	v_lshlrev_b32_e32 v6, 24, v3
	v_and_b32_e32 v3, 0xffff, v3
	v_and_b32_e32 v7, 3, v3
	v_ffbh_u32_e32 v13, v7
	v_min_u32_e32 v13, 32, v13
	v_subrev_u32_e32 v14, 29, v13
	v_bfe_u32 v12, v3, 2, 5
	v_lshlrev_b32_e32 v3, v14, v3
	v_sub_u32_e32 v13, 30, v13
	v_and_b32_e32 v3, 3, v3
	v_cmp_eq_u32_e32 vcc, 0, v12
	v_cndmask_b32_e32 v12, v12, v13, vcc
	v_cndmask_b32_e32 v3, v7, v3, vcc
	v_mov_b32_e32 v7, 0x37800000
	v_lshlrev_b32_e32 v3, 21, v3
	v_and_b32_e32 v6, 0x80000000, v6
	v_lshl_add_u32 v7, v12, 23, v7
	v_or3_b32 v3, v6, v7, v3
	v_cvt_f64_f32_e32 v[6:7], v3
.LBB71_316:
	s_or_b64 exec, exec, s[36:37]
	s_mov_b64 s[0:1], 0
	s_branch .LBB71_322
.LBB71_317:
	s_mov_b64 s[36:37], -1
                                        ; implicit-def: $vgpr6_vgpr7
	s_branch .LBB71_328
.LBB71_318:
	s_or_saveexec_b64 s[44:45], s[44:45]
	v_pk_mov_b32 v[6:7], s[36:37], s[36:37] op_sel:[0,1]
	s_xor_b64 exec, exec, s[44:45]
	s_cbranch_execz .LBB71_301
.LBB71_319:
	v_cmp_ne_u16_e32 vcc, 0, v3
	s_andn2_b64 s[0:1], s[0:1], exec
	s_and_b64 s[36:37], vcc, exec
	v_pk_mov_b32 v[6:7], 0, 0
	s_or_b64 s[0:1], s[0:1], s[36:37]
	s_or_b64 exec, exec, s[44:45]
	s_and_saveexec_b64 s[36:37], s[0:1]
	s_cbranch_execnz .LBB71_302
	s_branch .LBB71_303
.LBB71_320:
	s_mov_b64 s[0:1], -1
                                        ; implicit-def: $vgpr6_vgpr7
	s_branch .LBB71_325
.LBB71_321:
	s_mov_b64 s[0:1], -1
                                        ; implicit-def: $vgpr6_vgpr7
.LBB71_322:
	s_and_b64 vcc, exec, s[0:1]
	s_cbranch_vccz .LBB71_324
; %bb.323:
	global_load_ubyte v3, v[4:5], off
	s_mov_b32 s0, 0x7f800000
	s_waitcnt vmcnt(0)
	v_lshlrev_b32_e32 v3, 24, v3
	v_and_b32_e32 v6, 0x7f000000, v3
	v_ffbh_u32_e32 v7, v6
	v_min_u32_e32 v7, 32, v7
	v_sub_u32_e64 v7, v7, 4 clamp
	v_lshlrev_b32_e32 v13, v7, v6
	v_lshlrev_b32_e32 v7, 23, v7
	v_lshrrev_b32_e32 v13, 4, v13
	v_add_u32_e32 v12, 0x1000000, v6
	v_sub_u32_e32 v7, v13, v7
	v_ashrrev_i32_e32 v12, 8, v12
	v_add_u32_e32 v7, 0x3c000000, v7
	v_and_or_b32 v7, v12, s0, v7
	v_cmp_ne_u32_e32 vcc, 0, v6
	v_cndmask_b32_e32 v6, 0, v7, vcc
	s_brev_b32 s0, 1
	v_and_or_b32 v3, v3, s0, v6
	v_cvt_f64_f32_e32 v[6:7], v3
.LBB71_324:
	s_mov_b64 s[0:1], 0
.LBB71_325:
	s_andn2_b64 vcc, exec, s[0:1]
	s_cbranch_vccnz .LBB71_327
; %bb.326:
	global_load_ubyte v3, v[4:5], off
	s_movk_i32 s0, 0x7f00
	s_brev_b32 s1, 16
	s_waitcnt vmcnt(0)
	v_lshlrev_b16_e32 v6, 8, v3
	v_lshlrev_b32_e32 v3, 25, v3
	v_lshrrev_b32_e32 v7, 4, v3
	v_and_or_b32 v12, v6, s0, 0.5
	v_or_b32_e32 v7, 0x70000000, v7
	v_add_f32_e32 v12, -0.5, v12
	v_mul_f32_e32 v7, 0x7800000, v7
	v_cmp_gt_u32_e32 vcc, s1, v3
	v_bfe_i32 v6, v6, 0, 16
	v_cndmask_b32_e32 v3, v7, v12, vcc
	s_brev_b32 s0, 1
	v_and_or_b32 v3, v6, s0, v3
	v_cvt_f64_f32_e32 v[6:7], v3
.LBB71_327:
	s_mov_b64 s[36:37], 0
	s_mov_b64 s[0:1], -1
.LBB71_328:
	s_andn2_b64 vcc, exec, s[36:37]
	s_cbranch_vccnz .LBB71_341
; %bb.329:
	v_mov_b32_e32 v3, 14
	v_cmp_gt_i16_sdwa s[36:37], v11, v3 src0_sel:BYTE_0 src1_sel:DWORD
	s_and_b64 vcc, exec, s[36:37]
	s_cbranch_vccz .LBB71_332
; %bb.330:
	v_mov_b32_e32 v3, 15
	v_cmp_eq_u16_sdwa s[36:37], v11, v3 src0_sel:BYTE_0 src1_sel:DWORD
	s_and_b64 vcc, exec, s[36:37]
	s_cbranch_vccz .LBB71_335
; %bb.331:
	global_load_ushort v3, v[4:5], off
	s_mov_b64 s[0:1], -1
	s_mov_b64 s[38:39], 0
	s_waitcnt vmcnt(0)
	v_lshlrev_b32_e32 v3, 16, v3
	v_cvt_f64_f32_e32 v[6:7], v3
	s_branch .LBB71_336
.LBB71_332:
	s_mov_b64 s[36:37], -1
                                        ; implicit-def: $vgpr6_vgpr7
	s_branch .LBB71_337
.LBB71_333:
	s_or_saveexec_b64 s[44:45], s[44:45]
	v_pk_mov_b32 v[6:7], s[36:37], s[36:37] op_sel:[0,1]
	s_xor_b64 exec, exec, s[44:45]
	s_cbranch_execz .LBB71_314
.LBB71_334:
	v_cmp_ne_u16_e32 vcc, 0, v3
	s_andn2_b64 s[0:1], s[0:1], exec
	s_and_b64 s[36:37], vcc, exec
	v_pk_mov_b32 v[6:7], 0, 0
	s_or_b64 s[0:1], s[0:1], s[36:37]
	s_or_b64 exec, exec, s[44:45]
	s_and_saveexec_b64 s[36:37], s[0:1]
	s_cbranch_execnz .LBB71_315
	s_branch .LBB71_316
.LBB71_335:
	s_mov_b64 s[38:39], -1
                                        ; implicit-def: $vgpr6_vgpr7
.LBB71_336:
	s_mov_b64 s[36:37], 0
.LBB71_337:
	s_and_b64 vcc, exec, s[36:37]
	s_cbranch_vccz .LBB71_341
; %bb.338:
	v_mov_b32_e32 v3, 11
	v_cmp_eq_u16_sdwa s[36:37], v11, v3 src0_sel:BYTE_0 src1_sel:DWORD
	s_and_b64 vcc, exec, s[36:37]
	s_cbranch_vccz .LBB71_340
; %bb.339:
	global_load_ubyte v3, v[4:5], off
	v_mov_b32_e32 v6, 0x3ff00000
	s_mov_b64 s[0:1], -1
	s_mov_b64 s[38:39], 0
	s_waitcnt vmcnt(0)
	v_cmp_ne_u16_e32 vcc, 0, v3
	v_cndmask_b32_e32 v7, 0, v6, vcc
	s_branch .LBB71_341
.LBB71_340:
	s_mov_b64 s[38:39], -1
                                        ; implicit-def: $vgpr6_vgpr7
.LBB71_341:
	s_branch .LBB71_30
.LBB71_342:
	v_mov_b32_e32 v3, 5
	v_cmp_lt_i16_sdwa s[0:1], v11, v3 src0_sel:BYTE_0 src1_sel:DWORD
	s_and_b64 vcc, exec, s[0:1]
	s_cbranch_vccnz .LBB71_347
; %bb.343:
	v_mov_b32_e32 v3, 8
	v_cmp_lt_i16_sdwa s[0:1], v11, v3 src0_sel:BYTE_0 src1_sel:DWORD
	s_and_b64 vcc, exec, s[0:1]
	s_cbranch_vccnz .LBB71_348
; %bb.344:
	;; [unrolled: 5-line block ×3, first 2 shown]
	v_cmp_gt_i16_sdwa s[0:1], v11, v3 src0_sel:BYTE_0 src1_sel:DWORD
	s_and_b64 vcc, exec, s[0:1]
	s_cbranch_vccz .LBB71_350
; %bb.346:
	global_load_dwordx2 v[6:7], v[4:5], off
	s_mov_b64 s[0:1], 0
	s_branch .LBB71_351
.LBB71_347:
	s_mov_b64 s[0:1], -1
                                        ; implicit-def: $vgpr6_vgpr7
	s_branch .LBB71_369
.LBB71_348:
	s_mov_b64 s[0:1], -1
                                        ; implicit-def: $vgpr6_vgpr7
	s_branch .LBB71_357
.LBB71_349:
	s_mov_b64 s[0:1], -1
                                        ; implicit-def: $vgpr6_vgpr7
	s_branch .LBB71_354
.LBB71_350:
	s_mov_b64 s[0:1], -1
                                        ; implicit-def: $vgpr6_vgpr7
.LBB71_351:
	s_andn2_b64 vcc, exec, s[0:1]
	s_cbranch_vccnz .LBB71_353
; %bb.352:
	global_load_dword v3, v[4:5], off
	s_waitcnt vmcnt(0)
	v_cvt_f64_f32_e32 v[6:7], v3
.LBB71_353:
	s_mov_b64 s[0:1], 0
.LBB71_354:
	s_andn2_b64 vcc, exec, s[0:1]
	s_cbranch_vccnz .LBB71_356
; %bb.355:
	global_load_dword v3, v[4:5], off
	s_waitcnt vmcnt(0)
	v_cvt_f32_f16_e32 v3, v3
	v_cvt_f64_f32_e32 v[6:7], v3
.LBB71_356:
	s_mov_b64 s[0:1], 0
.LBB71_357:
	s_andn2_b64 vcc, exec, s[0:1]
	s_cbranch_vccnz .LBB71_368
; %bb.358:
	v_mov_b32_e32 v3, 6
	v_cmp_lt_i16_sdwa s[0:1], v11, v3 src0_sel:BYTE_0 src1_sel:DWORD
	s_and_b64 vcc, exec, s[0:1]
	s_cbranch_vccnz .LBB71_361
; %bb.359:
	v_cmp_gt_i16_sdwa s[0:1], v11, v3 src0_sel:BYTE_0 src1_sel:DWORD
	s_and_b64 vcc, exec, s[0:1]
	s_cbranch_vccz .LBB71_362
; %bb.360:
	global_load_dwordx2 v[6:7], v[4:5], off
	s_mov_b64 s[0:1], 0
	s_branch .LBB71_363
.LBB71_361:
	s_mov_b64 s[0:1], -1
                                        ; implicit-def: $vgpr6_vgpr7
	s_branch .LBB71_366
.LBB71_362:
	s_mov_b64 s[0:1], -1
                                        ; implicit-def: $vgpr6_vgpr7
.LBB71_363:
	s_andn2_b64 vcc, exec, s[0:1]
	s_cbranch_vccnz .LBB71_365
; %bb.364:
	global_load_dword v3, v[4:5], off
	s_waitcnt vmcnt(0)
	v_cvt_f64_f32_e32 v[6:7], v3
.LBB71_365:
	s_mov_b64 s[0:1], 0
.LBB71_366:
	s_andn2_b64 vcc, exec, s[0:1]
	s_cbranch_vccnz .LBB71_368
; %bb.367:
	global_load_ushort v3, v[4:5], off
	s_waitcnt vmcnt(0)
	v_cvt_f32_f16_e32 v3, v3
	v_cvt_f64_f32_e32 v[6:7], v3
.LBB71_368:
	s_mov_b64 s[0:1], 0
.LBB71_369:
	s_andn2_b64 vcc, exec, s[0:1]
	s_cbranch_vccnz .LBB71_389
; %bb.370:
	v_mov_b32_e32 v3, 2
	v_cmp_lt_i16_sdwa s[0:1], v11, v3 src0_sel:BYTE_0 src1_sel:DWORD
	s_and_b64 vcc, exec, s[0:1]
	s_cbranch_vccnz .LBB71_374
; %bb.371:
	v_mov_b32_e32 v3, 3
	v_cmp_lt_i16_sdwa s[0:1], v11, v3 src0_sel:BYTE_0 src1_sel:DWORD
	s_and_b64 vcc, exec, s[0:1]
	s_cbranch_vccnz .LBB71_375
; %bb.372:
	v_cmp_gt_i16_sdwa s[0:1], v11, v3 src0_sel:BYTE_0 src1_sel:DWORD
	s_and_b64 vcc, exec, s[0:1]
	s_cbranch_vccz .LBB71_376
; %bb.373:
	global_load_dwordx2 v[6:7], v[4:5], off
	s_mov_b64 s[0:1], 0
	s_waitcnt vmcnt(0)
	v_cvt_f64_i32_e32 v[12:13], v7
	v_cvt_f64_u32_e32 v[6:7], v6
	v_ldexp_f64 v[12:13], v[12:13], 32
	v_add_f64 v[6:7], v[12:13], v[6:7]
	s_branch .LBB71_377
.LBB71_374:
	s_mov_b64 s[0:1], -1
                                        ; implicit-def: $vgpr6_vgpr7
	s_branch .LBB71_383
.LBB71_375:
	s_mov_b64 s[0:1], -1
                                        ; implicit-def: $vgpr6_vgpr7
	s_branch .LBB71_380
.LBB71_376:
	s_mov_b64 s[0:1], -1
                                        ; implicit-def: $vgpr6_vgpr7
.LBB71_377:
	s_andn2_b64 vcc, exec, s[0:1]
	s_cbranch_vccnz .LBB71_379
; %bb.378:
	global_load_dword v3, v[4:5], off
	s_waitcnt vmcnt(0)
	v_cvt_f64_i32_e32 v[6:7], v3
.LBB71_379:
	s_mov_b64 s[0:1], 0
.LBB71_380:
	s_andn2_b64 vcc, exec, s[0:1]
	s_cbranch_vccnz .LBB71_382
; %bb.381:
	global_load_sshort v3, v[4:5], off
	s_waitcnt vmcnt(0)
	v_cvt_f64_i32_e32 v[6:7], v3
.LBB71_382:
	s_mov_b64 s[0:1], 0
.LBB71_383:
	s_andn2_b64 vcc, exec, s[0:1]
	s_cbranch_vccnz .LBB71_389
; %bb.384:
	v_mov_b32_e32 v3, 0
	v_cmp_gt_i16_sdwa s[0:1], v11, v3 src0_sel:BYTE_0 src1_sel:DWORD
	s_and_b64 vcc, exec, s[0:1]
	s_cbranch_vccz .LBB71_386
; %bb.385:
	global_load_sbyte v3, v[4:5], off
	s_mov_b64 s[0:1], 0
	s_waitcnt vmcnt(0)
	v_cvt_f64_i32_e32 v[6:7], v3
	s_branch .LBB71_387
.LBB71_386:
	s_mov_b64 s[0:1], -1
                                        ; implicit-def: $vgpr6_vgpr7
.LBB71_387:
	s_andn2_b64 vcc, exec, s[0:1]
	s_cbranch_vccnz .LBB71_389
; %bb.388:
	global_load_ubyte v3, v[4:5], off
	s_waitcnt vmcnt(0)
	v_cvt_f64_u32_e32 v[6:7], v3
.LBB71_389:
	s_branch .LBB71_31
.LBB71_390:
	s_mov_b64 s[0:1], 0
.LBB71_391:
                                        ; implicit-def: $vgpr8
	s_mov_b64 s[44:45], 0
.LBB71_392:
	s_and_b64 s[36:37], s[0:1], exec
	s_and_b64 s[38:39], s[38:39], exec
	;; [unrolled: 1-line block ×3, first 2 shown]
	s_orn2_b64 s[0:1], s[44:45], exec
.LBB71_393:
	s_or_b64 exec, exec, s[42:43]
	s_mov_b64 s[50:51], 0
	s_mov_b64 s[48:49], 0
                                        ; implicit-def: $vgpr3
                                        ; implicit-def: $vgpr6_vgpr7
                                        ; implicit-def: $vgpr4
                                        ; implicit-def: $vgpr2
                                        ; implicit-def: $vgpr0_vgpr1
	s_and_saveexec_b64 s[42:43], s[0:1]
	s_cbranch_execz .LBB71_402
; %bb.394:
	v_cmp_gt_i32_e32 vcc, s66, v8
	s_mov_b64 s[0:1], -1
	s_mov_b64 s[44:45], s[40:41]
	s_mov_b64 s[46:47], s[38:39]
	;; [unrolled: 1-line block ×3, first 2 shown]
	s_and_saveexec_b64 s[50:51], vcc
	s_cbranch_execz .LBB71_793
; %bb.395:
	s_andn2_b64 vcc, exec, s[20:21]
	s_cbranch_vccnz .LBB71_405
; %bb.396:
	s_andn2_b64 vcc, exec, s[34:35]
	v_mov_b32_e32 v4, 0
	s_waitcnt vmcnt(0)
	v_mov_b32_e32 v0, 0
	v_mov_b32_e32 v2, 0
	s_cbranch_vccnz .LBB71_401
; %bb.397:
	s_add_i32 s0, s69, 1
	s_and_b32 s44, s0, 30
	s_add_u32 s0, s2, 0xffffffec
	s_addc_u32 s1, s3, -1
	v_mov_b32_e32 v2, 0
	v_mov_b32_e32 v1, v8
	;; [unrolled: 1-line block ×4, first 2 shown]
.LBB71_398:                             ; =>This Inner Loop Header: Depth=1
	s_mov_b64 s[46:47], s[0:1]
	s_load_dwordx4 s[52:55], s[46:47], 0x18
	s_load_dwordx2 s[48:49], s[46:47], 0x28
	s_load_dwordx2 s[60:61], s[46:47], 0xe8
	s_load_dwordx4 s[56:59], s[46:47], 0xd8
	s_add_u32 s0, s46, 24
	s_waitcnt lgkmcnt(0)
	v_mul_hi_u32 v3, s53, v1
	v_add_u32_e32 v3, v1, v3
	v_lshrrev_b32_e32 v3, s54, v3
	v_mul_lo_u32 v5, v3, s52
	v_mul_hi_u32 v6, s48, v3
	v_sub_u32_e32 v1, v1, v5
	v_add_u32_e32 v5, v3, v6
	v_mul_lo_u32 v6, v1, s56
	v_mul_lo_u32 v7, v1, s57
	;; [unrolled: 1-line block ×3, first 2 shown]
	v_lshrrev_b32_e32 v1, s49, v5
	v_mul_lo_u32 v5, v1, s55
	v_sub_u32_e32 v3, v3, v5
	s_addc_u32 s1, s47, 0
	s_add_i32 s44, s44, -2
	v_mul_lo_u32 v5, v3, s59
	v_mul_lo_u32 v13, v3, s60
	;; [unrolled: 1-line block ×3, first 2 shown]
	s_cmp_eq_u32 s44, 0
	v_add3_u32 v2, v6, v2, v5
	v_add3_u32 v4, v12, v4, v3
	;; [unrolled: 1-line block ×3, first 2 shown]
	s_cbranch_scc0 .LBB71_398
; %bb.399:
	s_bitcmp1_b32 s69, 0
	s_cselect_b64 s[44:45], -1, 0
	s_and_b64 vcc, exec, s[44:45]
	s_cbranch_vccnz .LBB71_401
; %bb.400:
	s_load_dwordx2 s[44:45], s[0:1], 0x18
	s_load_dword s46, s[0:1], 0x20
	s_load_dword s47, s[0:1], 0xe0
	s_nop 0
	s_load_dwordx2 s[0:1], s[0:1], 0xd8
	s_waitcnt lgkmcnt(0)
	v_mul_hi_u32 v3, s45, v1
	v_add_u32_e32 v3, v1, v3
	v_lshrrev_b32_e32 v3, s46, v3
	v_mul_lo_u32 v3, v3, s44
	v_sub_u32_e32 v5, v1, v3
	v_mad_u64_u32 v[2:3], s[44:45], v5, s0, v[2:3]
	v_mad_u64_u32 v[0:1], s[0:1], v5, s1, v[0:1]
	;; [unrolled: 1-line block ×3, first 2 shown]
.LBB71_401:
	s_cbranch_execz .LBB71_406
	s_branch .LBB71_408
.LBB71_402:
	s_or_b64 exec, exec, s[42:43]
	s_waitcnt lgkmcnt(0)
	s_mov_b64 s[10:11], 0
	s_and_saveexec_b64 s[0:1], s[40:41]
	s_cbranch_execnz .LBB71_1289
.LBB71_403:
	s_or_b64 exec, exec, s[0:1]
	s_and_saveexec_b64 s[0:1], s[46:47]
	s_xor_b64 s[0:1], exec, s[0:1]
	s_cbranch_execz .LBB71_1290
.LBB71_404:
	s_waitcnt vmcnt(0)
	global_load_ubyte v1, v[6:7], off
	v_mov_b32_e32 v5, 0x3ff00000
	v_mov_b32_e32 v0, 0
	s_or_b64 s[48:49], s[48:49], exec
	s_waitcnt vmcnt(0)
	v_cmp_ne_u16_e32 vcc, 0, v1
	v_cndmask_b32_e32 v1, 0, v5, vcc
	s_or_b64 exec, exec, s[0:1]
	s_and_saveexec_b64 s[0:1], s[50:51]
	s_cbranch_execz .LBB71_1336
	s_branch .LBB71_1291
.LBB71_405:
                                        ; implicit-def: $vgpr4
                                        ; implicit-def: $vgpr0
                                        ; implicit-def: $vgpr2
	s_andn2_b64 vcc, exec, s[0:1]
	s_cbranch_vccnz .LBB71_408
.LBB71_406:
	s_waitcnt vmcnt(0) lgkmcnt(0)
	v_mul_hi_u32 v0, s17, v8
	v_add_u32_e32 v0, v8, v0
	v_lshrrev_b32_e32 v1, s18, v0
	v_mul_lo_u32 v0, v1, s16
	v_sub_u32_e32 v0, v8, v0
	v_mul_lo_u32 v2, v0, s12
	v_mul_lo_u32 v4, v0, s14
	s_andn2_b64 vcc, exec, s[30:31]
	v_mul_lo_u32 v0, v0, s13
	s_cbranch_vccnz .LBB71_408
; %bb.407:
	v_mul_hi_u32 v3, s28, v1
	v_add_u32_e32 v3, v1, v3
	v_lshrrev_b32_e32 v3, s29, v3
	v_mul_lo_u32 v3, v3, s19
	v_sub_u32_e32 v5, v1, v3
	v_mad_u64_u32 v[2:3], s[0:1], v5, s15, v[2:3]
	v_mad_u64_u32 v[0:1], s[0:1], v5, s26, v[0:1]
	;; [unrolled: 1-line block ×3, first 2 shown]
.LBB71_408:
	s_waitcnt vmcnt(0) lgkmcnt(0)
	v_mov_b32_e32 v1, s11
	v_add_co_u32_e32 v6, vcc, s10, v0
	v_mov_b32_e32 v0, 11
	v_addc_co_u32_e32 v7, vcc, 0, v1, vcc
	v_cmp_lt_i16_sdwa s[0:1], v9, v0 src0_sel:BYTE_0 src1_sel:DWORD
	s_and_b64 vcc, exec, s[0:1]
	s_cbranch_vccnz .LBB71_415
; %bb.409:
	v_mov_b32_e32 v0, 25
	v_cmp_gt_i16_sdwa s[0:1], v9, v0 src0_sel:BYTE_0 src1_sel:DWORD
	s_and_b64 vcc, exec, s[0:1]
	s_cbranch_vccz .LBB71_424
; %bb.410:
	v_mov_b32_e32 v0, 28
	v_cmp_gt_i16_sdwa s[0:1], v9, v0 src0_sel:BYTE_0 src1_sel:DWORD
	s_and_b64 vcc, exec, s[0:1]
	s_cbranch_vccz .LBB71_426
; %bb.411:
	v_mov_b32_e32 v0, 43
	v_cmp_gt_i16_sdwa s[0:1], v9, v0 src0_sel:BYTE_0 src1_sel:DWORD
	s_and_b64 vcc, exec, s[0:1]
	s_cbranch_vccz .LBB71_428
; %bb.412:
	v_mov_b32_e32 v0, 45
	v_cmp_gt_i16_sdwa s[0:1], v9, v0 src0_sel:BYTE_0 src1_sel:DWORD
	s_and_b64 vcc, exec, s[0:1]
	s_cbranch_vccz .LBB71_430
; %bb.413:
	v_mov_b32_e32 v0, 46
	v_cmp_eq_u16_sdwa s[0:1], v9, v0 src0_sel:BYTE_0 src1_sel:DWORD
	s_mov_b64 s[46:47], 0
	s_and_b64 vcc, exec, s[0:1]
	s_cbranch_vccz .LBB71_434
; %bb.414:
	global_load_dword v0, v[6:7], off
	s_mov_b64 s[0:1], -1
	s_mov_b64 s[44:45], 0
	s_waitcnt vmcnt(0)
	v_lshlrev_b32_e32 v0, 16, v0
	v_cvt_f64_f32_e32 v[0:1], v0
	s_branch .LBB71_435
.LBB71_415:
	s_mov_b64 s[0:1], 0
                                        ; implicit-def: $vgpr0_vgpr1
	s_mov_b64 s[44:45], s[40:41]
	s_cbranch_execnz .LBB71_501
.LBB71_416:
	s_andn2_b64 vcc, exec, s[0:1]
	s_cbranch_vccnz .LBB71_549
.LBB71_417:
	v_mov_b32_e32 v3, s25
	v_add_co_u32_e32 v4, vcc, s24, v4
	v_addc_co_u32_e32 v5, vcc, 0, v3, vcc
	v_mov_b32_e32 v3, 11
	v_cmp_lt_i16_sdwa s[0:1], v11, v3 src0_sel:BYTE_0 src1_sel:DWORD
	s_and_b64 vcc, exec, s[0:1]
	s_cbranch_vccnz .LBB71_425
; %bb.418:
	v_mov_b32_e32 v3, 25
	v_cmp_gt_i16_sdwa s[0:1], v11, v3 src0_sel:BYTE_0 src1_sel:DWORD
	s_and_b64 vcc, exec, s[0:1]
	s_cbranch_vccz .LBB71_427
; %bb.419:
	v_mov_b32_e32 v3, 28
	v_cmp_gt_i16_sdwa s[0:1], v11, v3 src0_sel:BYTE_0 src1_sel:DWORD
	s_and_b64 vcc, exec, s[0:1]
	s_cbranch_vccz .LBB71_429
	;; [unrolled: 5-line block ×4, first 2 shown]
; %bb.422:
	v_mov_b32_e32 v3, 46
	v_cmp_eq_u16_sdwa s[0:1], v11, v3 src0_sel:BYTE_0 src1_sel:DWORD
	s_mov_b64 s[48:49], 0
	s_and_b64 vcc, exec, s[0:1]
	s_cbranch_vccz .LBB71_553
; %bb.423:
	global_load_dword v3, v[4:5], off
	s_mov_b64 s[0:1], -1
	s_mov_b64 s[46:47], 0
	s_waitcnt vmcnt(0)
	v_lshlrev_b32_e32 v3, 16, v3
	v_cvt_f64_f32_e32 v[6:7], v3
	s_branch .LBB71_554
.LBB71_424:
	s_mov_b64 s[46:47], -1
	s_mov_b64 s[0:1], 0
	s_mov_b64 s[44:45], s[40:41]
                                        ; implicit-def: $vgpr0_vgpr1
	s_branch .LBB71_465
.LBB71_425:
	s_mov_b64 s[48:49], -1
	s_mov_b64 s[0:1], 0
                                        ; implicit-def: $vgpr6_vgpr7
	s_mov_b64 s[46:47], s[38:39]
	s_branch .LBB71_619
.LBB71_426:
	s_mov_b64 s[46:47], -1
	s_mov_b64 s[0:1], 0
	s_mov_b64 s[44:45], s[40:41]
                                        ; implicit-def: $vgpr0_vgpr1
	s_branch .LBB71_446
.LBB71_427:
	s_mov_b64 s[48:49], -1
	s_mov_b64 s[0:1], 0
	s_mov_b64 s[46:47], s[38:39]
                                        ; implicit-def: $vgpr6_vgpr7
	s_branch .LBB71_583
.LBB71_428:
	s_mov_b64 s[46:47], -1
	s_mov_b64 s[0:1], 0
	s_mov_b64 s[44:45], s[40:41]
                                        ; implicit-def: $vgpr0_vgpr1
	s_branch .LBB71_441
.LBB71_429:
	s_mov_b64 s[48:49], -1
	s_mov_b64 s[0:1], 0
	s_mov_b64 s[46:47], s[38:39]
                                        ; implicit-def: $vgpr6_vgpr7
	s_branch .LBB71_564
.LBB71_430:
	s_mov_b64 s[46:47], -1
	s_mov_b64 s[0:1], 0
	s_mov_b64 s[44:45], s[40:41]
                                        ; implicit-def: $vgpr0_vgpr1
	s_branch .LBB71_435
.LBB71_431:
	s_mov_b64 s[48:49], -1
	s_mov_b64 s[0:1], 0
	s_mov_b64 s[46:47], s[38:39]
                                        ; implicit-def: $vgpr6_vgpr7
	s_branch .LBB71_559
.LBB71_432:
	s_or_saveexec_b64 s[48:49], s[48:49]
                                        ; implicit-def: $sgpr50
	s_xor_b64 exec, exec, s[48:49]
	s_cbranch_execz .LBB71_190
.LBB71_433:
	s_mov_b32 s50, 0x46000000
	v_add_f32_e64 v3, |v2|, s50
	v_and_b32_e32 v3, 0xff, v3
	v_cmp_ne_u32_e32 vcc, 0, v3
	s_andn2_b64 s[44:45], s[44:45], exec
	s_and_b64 s[52:53], vcc, exec
	s_mov_b32 s50, 0
	s_or_b64 s[44:45], s[44:45], s[52:53]
	s_or_b64 exec, exec, s[48:49]
	v_mov_b32_e32 v6, s50
	s_and_saveexec_b64 s[48:49], s[44:45]
	s_cbranch_execnz .LBB71_191
	s_branch .LBB71_192
.LBB71_434:
	s_mov_b64 s[44:45], -1
                                        ; implicit-def: $vgpr0_vgpr1
	s_mov_b64 s[0:1], 0
.LBB71_435:
	s_and_b64 vcc, exec, s[46:47]
	s_cbranch_vccz .LBB71_440
; %bb.436:
	v_mov_b32_e32 v0, 44
	v_cmp_eq_u16_sdwa s[44:45], v9, v0 src0_sel:BYTE_0 src1_sel:DWORD
	s_and_b64 vcc, exec, s[44:45]
	s_cbranch_vccz .LBB71_439
; %bb.437:
	global_load_ubyte v3, v[6:7], off
	s_movk_i32 s44, 0xff
	v_bfrev_b32_e32 v5, 4
	v_mov_b32_e32 v12, 0x7ff80000
	v_bfrev_b32_e32 v13, 28
	s_mov_b64 s[0:1], -1
	s_waitcnt vmcnt(0)
	v_lshlrev_b32_e32 v0, 23, v3
	v_cvt_f64_f32_e32 v[0:1], v0
	v_cmp_ne_u32_e32 vcc, s44, v3
	v_cndmask_b32_e32 v0, v5, v0, vcc
	v_cndmask_b32_e32 v1, v12, v1, vcc
	v_cmp_ne_u32_e32 vcc, 0, v3
	v_cndmask_b32_e32 v1, v13, v1, vcc
	v_cndmask_b32_e32 v0, 0, v0, vcc
	s_mov_b64 s[44:45], 0
	s_branch .LBB71_440
.LBB71_438:
	s_mov_b64 s[48:49], -1
	s_mov_b64 s[0:1], 0
	s_mov_b64 s[46:47], s[38:39]
                                        ; implicit-def: $vgpr6_vgpr7
	s_branch .LBB71_554
.LBB71_439:
	s_mov_b64 s[44:45], -1
                                        ; implicit-def: $vgpr0_vgpr1
.LBB71_440:
	s_mov_b64 s[46:47], 0
.LBB71_441:
	s_and_b64 vcc, exec, s[46:47]
	s_cbranch_vccz .LBB71_445
; %bb.442:
	v_mov_b32_e32 v0, 29
	v_cmp_eq_u16_sdwa s[44:45], v9, v0 src0_sel:BYTE_0 src1_sel:DWORD
	s_and_b64 vcc, exec, s[44:45]
	s_cbranch_vccz .LBB71_444
; %bb.443:
	global_load_dwordx2 v[0:1], v[6:7], off
	s_mov_b64 s[0:1], -1
	s_mov_b64 s[44:45], 0
	s_mov_b64 s[46:47], 0
	s_waitcnt vmcnt(0)
	v_cvt_f64_u32_e32 v[12:13], v1
	v_cvt_f64_u32_e32 v[0:1], v0
	v_ldexp_f64 v[12:13], v[12:13], 32
	v_add_f64 v[0:1], v[12:13], v[0:1]
	s_branch .LBB71_446
.LBB71_444:
	s_mov_b64 s[44:45], -1
                                        ; implicit-def: $vgpr0_vgpr1
.LBB71_445:
	s_mov_b64 s[46:47], 0
.LBB71_446:
	s_and_b64 vcc, exec, s[46:47]
	s_cbranch_vccz .LBB71_464
; %bb.447:
	v_mov_b32_e32 v0, 27
	v_cmp_lt_i16_sdwa s[0:1], v9, v0 src0_sel:BYTE_0 src1_sel:DWORD
	s_and_b64 vcc, exec, s[0:1]
	s_cbranch_vccnz .LBB71_450
; %bb.448:
	v_cmp_gt_i16_sdwa s[0:1], v9, v0 src0_sel:BYTE_0 src1_sel:DWORD
	s_and_b64 vcc, exec, s[0:1]
	s_cbranch_vccz .LBB71_451
; %bb.449:
	global_load_dword v0, v[6:7], off
	s_mov_b64 s[0:1], 0
	s_waitcnt vmcnt(0)
	v_cvt_f64_u32_e32 v[0:1], v0
	s_branch .LBB71_452
.LBB71_450:
	s_mov_b64 s[0:1], -1
                                        ; implicit-def: $vgpr0_vgpr1
	s_branch .LBB71_455
.LBB71_451:
	s_mov_b64 s[0:1], -1
                                        ; implicit-def: $vgpr0_vgpr1
.LBB71_452:
	s_andn2_b64 vcc, exec, s[0:1]
	s_cbranch_vccnz .LBB71_454
; %bb.453:
	global_load_ushort v0, v[6:7], off
	s_waitcnt vmcnt(0)
	v_cvt_f64_u32_e32 v[0:1], v0
.LBB71_454:
	s_mov_b64 s[0:1], 0
.LBB71_455:
	s_andn2_b64 vcc, exec, s[0:1]
	s_cbranch_vccnz .LBB71_463
; %bb.456:
	global_load_ubyte v3, v[6:7], off
	s_movk_i32 s0, 0x7f
                                        ; implicit-def: $sgpr46_sgpr47
	s_waitcnt vmcnt(0)
	v_cmp_lt_i16_e32 vcc, s0, v3
	s_mov_b64 s[0:1], 0
	s_and_saveexec_b64 s[48:49], vcc
	s_xor_b64 s[48:49], exec, s[48:49]
	s_cbranch_execz .LBB71_477
; %bb.457:
	s_movk_i32 s0, 0x80
	v_cmp_eq_u16_e32 vcc, s0, v3
	s_mov_b64 s[52:53], -1
                                        ; implicit-def: $sgpr46_sgpr47
	s_and_saveexec_b64 s[0:1], vcc
; %bb.458:
	s_mov_b32 s47, 0x7ff80000
	s_brev_b32 s46, 4
	s_xor_b64 s[52:53], exec, -1
; %bb.459:
	s_or_b64 exec, exec, s[0:1]
	s_and_b64 s[0:1], s[52:53], exec
	s_or_saveexec_b64 s[48:49], s[48:49]
	v_pk_mov_b32 v[0:1], s[46:47], s[46:47] op_sel:[0,1]
	s_xor_b64 exec, exec, s[48:49]
	s_cbranch_execnz .LBB71_478
.LBB71_460:
	s_or_b64 exec, exec, s[48:49]
	s_and_saveexec_b64 s[46:47], s[0:1]
	s_cbranch_execz .LBB71_462
.LBB71_461:
	v_and_b32_e32 v1, 0xffff, v3
	v_lshlrev_b32_e32 v0, 24, v3
	v_and_b32_e32 v3, 7, v1
	v_ffbh_u32_e32 v12, v3
	v_min_u32_e32 v12, 32, v12
	v_subrev_u32_e32 v13, 28, v12
	v_bfe_u32 v5, v1, 3, 4
	v_lshlrev_b32_e32 v1, v13, v1
	v_sub_u32_e32 v12, 29, v12
	v_and_b32_e32 v1, 7, v1
	v_cmp_eq_u32_e32 vcc, 0, v5
	v_cndmask_b32_e32 v5, v5, v12, vcc
	v_cndmask_b32_e32 v1, v3, v1, vcc
	v_mov_b32_e32 v3, 0x3b800000
	v_lshlrev_b32_e32 v1, 20, v1
	v_and_b32_e32 v0, 0x80000000, v0
	v_lshl_add_u32 v3, v5, 23, v3
	v_or3_b32 v0, v0, v3, v1
	v_cvt_f64_f32_e32 v[0:1], v0
.LBB71_462:
	s_or_b64 exec, exec, s[46:47]
.LBB71_463:
	s_mov_b64 s[0:1], -1
.LBB71_464:
	s_mov_b64 s[46:47], 0
.LBB71_465:
	s_and_b64 vcc, exec, s[46:47]
	s_cbranch_vccz .LBB71_500
; %bb.466:
	v_mov_b32_e32 v0, 22
	v_cmp_gt_i16_sdwa s[46:47], v9, v0 src0_sel:BYTE_0 src1_sel:DWORD
	s_and_b64 vcc, exec, s[46:47]
	s_cbranch_vccz .LBB71_476
; %bb.467:
	v_mov_b32_e32 v0, 24
	v_cmp_lt_i16_sdwa s[0:1], v9, v0 src0_sel:BYTE_0 src1_sel:DWORD
	s_and_b64 vcc, exec, s[0:1]
	s_cbranch_vccnz .LBB71_479
; %bb.468:
	v_cmp_gt_i16_sdwa s[0:1], v9, v0 src0_sel:BYTE_0 src1_sel:DWORD
	s_and_b64 vcc, exec, s[0:1]
	s_cbranch_vccz .LBB71_480
; %bb.469:
	global_load_ubyte v3, v[6:7], off
	s_movk_i32 s0, 0x7f
                                        ; implicit-def: $sgpr46_sgpr47
	s_waitcnt vmcnt(0)
	v_cmp_lt_i16_e32 vcc, s0, v3
	s_mov_b64 s[0:1], 0
	s_and_saveexec_b64 s[48:49], vcc
	s_xor_b64 s[48:49], exec, s[48:49]
	s_cbranch_execz .LBB71_492
; %bb.470:
	s_movk_i32 s0, 0x80
	v_cmp_eq_u16_e32 vcc, s0, v3
	s_mov_b64 s[52:53], -1
                                        ; implicit-def: $sgpr46_sgpr47
	s_and_saveexec_b64 s[0:1], vcc
; %bb.471:
	s_mov_b32 s47, 0x7ff80000
	s_brev_b32 s46, 4
	s_xor_b64 s[52:53], exec, -1
; %bb.472:
	s_or_b64 exec, exec, s[0:1]
	s_and_b64 s[0:1], s[52:53], exec
	s_or_saveexec_b64 s[48:49], s[48:49]
	v_pk_mov_b32 v[0:1], s[46:47], s[46:47] op_sel:[0,1]
	s_xor_b64 exec, exec, s[48:49]
	s_cbranch_execnz .LBB71_493
.LBB71_473:
	s_or_b64 exec, exec, s[48:49]
	s_and_saveexec_b64 s[46:47], s[0:1]
	s_cbranch_execz .LBB71_475
.LBB71_474:
	v_and_b32_e32 v1, 0xffff, v3
	v_lshlrev_b32_e32 v0, 24, v3
	v_and_b32_e32 v3, 3, v1
	v_ffbh_u32_e32 v12, v3
	v_min_u32_e32 v12, 32, v12
	v_subrev_u32_e32 v13, 29, v12
	v_bfe_u32 v5, v1, 2, 5
	v_lshlrev_b32_e32 v1, v13, v1
	v_sub_u32_e32 v12, 30, v12
	v_and_b32_e32 v1, 3, v1
	v_cmp_eq_u32_e32 vcc, 0, v5
	v_cndmask_b32_e32 v5, v5, v12, vcc
	v_cndmask_b32_e32 v1, v3, v1, vcc
	v_mov_b32_e32 v3, 0x37800000
	v_lshlrev_b32_e32 v1, 21, v1
	v_and_b32_e32 v0, 0x80000000, v0
	v_lshl_add_u32 v3, v5, 23, v3
	v_or3_b32 v0, v0, v3, v1
	v_cvt_f64_f32_e32 v[0:1], v0
.LBB71_475:
	s_or_b64 exec, exec, s[46:47]
	s_mov_b64 s[0:1], 0
	s_branch .LBB71_481
.LBB71_476:
	s_mov_b64 s[46:47], -1
                                        ; implicit-def: $vgpr0_vgpr1
	s_branch .LBB71_487
.LBB71_477:
	s_or_saveexec_b64 s[48:49], s[48:49]
	v_pk_mov_b32 v[0:1], s[46:47], s[46:47] op_sel:[0,1]
	s_xor_b64 exec, exec, s[48:49]
	s_cbranch_execz .LBB71_460
.LBB71_478:
	v_cmp_ne_u16_e32 vcc, 0, v3
	s_andn2_b64 s[0:1], s[0:1], exec
	s_and_b64 s[46:47], vcc, exec
	v_pk_mov_b32 v[0:1], 0, 0
	s_or_b64 s[0:1], s[0:1], s[46:47]
	s_or_b64 exec, exec, s[48:49]
	s_and_saveexec_b64 s[46:47], s[0:1]
	s_cbranch_execnz .LBB71_461
	s_branch .LBB71_462
.LBB71_479:
	s_mov_b64 s[0:1], -1
                                        ; implicit-def: $vgpr0_vgpr1
	s_branch .LBB71_484
.LBB71_480:
	s_mov_b64 s[0:1], -1
                                        ; implicit-def: $vgpr0_vgpr1
.LBB71_481:
	s_and_b64 vcc, exec, s[0:1]
	s_cbranch_vccz .LBB71_483
; %bb.482:
	global_load_ubyte v0, v[6:7], off
	s_mov_b32 s0, 0x7f800000
	s_waitcnt vmcnt(0)
	v_lshlrev_b32_e32 v0, 24, v0
	v_and_b32_e32 v1, 0x7f000000, v0
	v_ffbh_u32_e32 v3, v1
	v_min_u32_e32 v3, 32, v3
	v_sub_u32_e64 v3, v3, 4 clamp
	v_lshlrev_b32_e32 v12, v3, v1
	v_lshlrev_b32_e32 v3, 23, v3
	v_lshrrev_b32_e32 v12, 4, v12
	v_add_u32_e32 v5, 0x1000000, v1
	v_sub_u32_e32 v3, v12, v3
	v_ashrrev_i32_e32 v5, 8, v5
	v_add_u32_e32 v3, 0x3c000000, v3
	v_and_or_b32 v3, v5, s0, v3
	v_cmp_ne_u32_e32 vcc, 0, v1
	v_cndmask_b32_e32 v1, 0, v3, vcc
	s_brev_b32 s0, 1
	v_and_or_b32 v0, v0, s0, v1
	v_cvt_f64_f32_e32 v[0:1], v0
.LBB71_483:
	s_mov_b64 s[0:1], 0
.LBB71_484:
	s_andn2_b64 vcc, exec, s[0:1]
	s_cbranch_vccnz .LBB71_486
; %bb.485:
	global_load_ubyte v0, v[6:7], off
	s_movk_i32 s0, 0x7f00
	s_brev_b32 s1, 16
	s_waitcnt vmcnt(0)
	v_lshlrev_b16_e32 v1, 8, v0
	v_lshlrev_b32_e32 v0, 25, v0
	v_lshrrev_b32_e32 v3, 4, v0
	v_and_or_b32 v5, v1, s0, 0.5
	v_or_b32_e32 v3, 0x70000000, v3
	v_add_f32_e32 v5, -0.5, v5
	v_mul_f32_e32 v3, 0x7800000, v3
	v_cmp_gt_u32_e32 vcc, s1, v0
	v_bfe_i32 v1, v1, 0, 16
	v_cndmask_b32_e32 v0, v3, v5, vcc
	s_brev_b32 s0, 1
	v_and_or_b32 v0, v1, s0, v0
	v_cvt_f64_f32_e32 v[0:1], v0
.LBB71_486:
	s_mov_b64 s[46:47], 0
	s_mov_b64 s[0:1], -1
.LBB71_487:
	s_andn2_b64 vcc, exec, s[46:47]
	s_cbranch_vccnz .LBB71_500
; %bb.488:
	v_mov_b32_e32 v0, 14
	v_cmp_gt_i16_sdwa s[46:47], v9, v0 src0_sel:BYTE_0 src1_sel:DWORD
	s_and_b64 vcc, exec, s[46:47]
	s_cbranch_vccz .LBB71_491
; %bb.489:
	v_mov_b32_e32 v0, 15
	v_cmp_eq_u16_sdwa s[44:45], v9, v0 src0_sel:BYTE_0 src1_sel:DWORD
	s_and_b64 vcc, exec, s[44:45]
	s_cbranch_vccz .LBB71_494
; %bb.490:
	global_load_ushort v0, v[6:7], off
	s_mov_b64 s[0:1], -1
	s_mov_b64 s[44:45], 0
	s_waitcnt vmcnt(0)
	v_lshlrev_b32_e32 v0, 16, v0
	v_cvt_f64_f32_e32 v[0:1], v0
	s_branch .LBB71_495
.LBB71_491:
	s_mov_b64 s[46:47], -1
                                        ; implicit-def: $vgpr0_vgpr1
	s_branch .LBB71_496
.LBB71_492:
	s_or_saveexec_b64 s[48:49], s[48:49]
	v_pk_mov_b32 v[0:1], s[46:47], s[46:47] op_sel:[0,1]
	s_xor_b64 exec, exec, s[48:49]
	s_cbranch_execz .LBB71_473
.LBB71_493:
	v_cmp_ne_u16_e32 vcc, 0, v3
	s_andn2_b64 s[0:1], s[0:1], exec
	s_and_b64 s[46:47], vcc, exec
	v_pk_mov_b32 v[0:1], 0, 0
	s_or_b64 s[0:1], s[0:1], s[46:47]
	s_or_b64 exec, exec, s[48:49]
	s_and_saveexec_b64 s[46:47], s[0:1]
	s_cbranch_execnz .LBB71_474
	s_branch .LBB71_475
.LBB71_494:
	s_mov_b64 s[44:45], -1
                                        ; implicit-def: $vgpr0_vgpr1
.LBB71_495:
	s_mov_b64 s[46:47], 0
.LBB71_496:
	s_and_b64 vcc, exec, s[46:47]
	s_cbranch_vccz .LBB71_500
; %bb.497:
	v_mov_b32_e32 v0, 11
	v_cmp_eq_u16_sdwa s[44:45], v9, v0 src0_sel:BYTE_0 src1_sel:DWORD
	s_and_b64 vcc, exec, s[44:45]
	s_cbranch_vccz .LBB71_499
; %bb.498:
	global_load_ubyte v1, v[6:7], off
	v_mov_b32_e32 v3, 0x3ff00000
	v_mov_b32_e32 v0, 0
	s_mov_b64 s[0:1], -1
	s_mov_b64 s[44:45], 0
	s_waitcnt vmcnt(0)
	v_cmp_ne_u16_e32 vcc, 0, v1
	v_cndmask_b32_e32 v1, 0, v3, vcc
	s_branch .LBB71_500
.LBB71_499:
	s_mov_b64 s[44:45], -1
                                        ; implicit-def: $vgpr0_vgpr1
.LBB71_500:
	s_branch .LBB71_416
.LBB71_501:
	v_mov_b32_e32 v0, 5
	v_cmp_lt_i16_sdwa s[0:1], v9, v0 src0_sel:BYTE_0 src1_sel:DWORD
	s_and_b64 vcc, exec, s[0:1]
	s_cbranch_vccnz .LBB71_506
; %bb.502:
	v_mov_b32_e32 v0, 8
	v_cmp_lt_i16_sdwa s[0:1], v9, v0 src0_sel:BYTE_0 src1_sel:DWORD
	s_and_b64 vcc, exec, s[0:1]
	s_cbranch_vccnz .LBB71_507
; %bb.503:
	;; [unrolled: 5-line block ×3, first 2 shown]
	v_cmp_gt_i16_sdwa s[0:1], v9, v0 src0_sel:BYTE_0 src1_sel:DWORD
	s_and_b64 vcc, exec, s[0:1]
	s_cbranch_vccz .LBB71_509
; %bb.505:
	global_load_dwordx2 v[0:1], v[6:7], off
	s_mov_b64 s[0:1], 0
	s_branch .LBB71_510
.LBB71_506:
	s_mov_b64 s[0:1], -1
                                        ; implicit-def: $vgpr0_vgpr1
	s_branch .LBB71_528
.LBB71_507:
	s_mov_b64 s[0:1], -1
                                        ; implicit-def: $vgpr0_vgpr1
	s_branch .LBB71_516
.LBB71_508:
	s_mov_b64 s[0:1], -1
                                        ; implicit-def: $vgpr0_vgpr1
	s_branch .LBB71_513
.LBB71_509:
	s_mov_b64 s[0:1], -1
                                        ; implicit-def: $vgpr0_vgpr1
.LBB71_510:
	s_andn2_b64 vcc, exec, s[0:1]
	s_cbranch_vccnz .LBB71_512
; %bb.511:
	global_load_dword v0, v[6:7], off
	s_waitcnt vmcnt(0)
	v_cvt_f64_f32_e32 v[0:1], v0
.LBB71_512:
	s_mov_b64 s[0:1], 0
.LBB71_513:
	s_andn2_b64 vcc, exec, s[0:1]
	s_cbranch_vccnz .LBB71_515
; %bb.514:
	global_load_dword v0, v[6:7], off
	s_waitcnt vmcnt(0)
	v_cvt_f32_f16_e32 v0, v0
	v_cvt_f64_f32_e32 v[0:1], v0
.LBB71_515:
	s_mov_b64 s[0:1], 0
.LBB71_516:
	s_andn2_b64 vcc, exec, s[0:1]
	s_cbranch_vccnz .LBB71_527
; %bb.517:
	s_waitcnt vmcnt(0)
	v_mov_b32_e32 v0, 6
	v_cmp_lt_i16_sdwa s[0:1], v9, v0 src0_sel:BYTE_0 src1_sel:DWORD
	s_and_b64 vcc, exec, s[0:1]
	s_cbranch_vccnz .LBB71_520
; %bb.518:
	v_cmp_gt_i16_sdwa s[0:1], v9, v0 src0_sel:BYTE_0 src1_sel:DWORD
	s_and_b64 vcc, exec, s[0:1]
	s_cbranch_vccz .LBB71_521
; %bb.519:
	global_load_dwordx2 v[0:1], v[6:7], off
	s_mov_b64 s[0:1], 0
	s_branch .LBB71_522
.LBB71_520:
	s_mov_b64 s[0:1], -1
                                        ; implicit-def: $vgpr0_vgpr1
	s_branch .LBB71_525
.LBB71_521:
	s_mov_b64 s[0:1], -1
                                        ; implicit-def: $vgpr0_vgpr1
.LBB71_522:
	s_andn2_b64 vcc, exec, s[0:1]
	s_cbranch_vccnz .LBB71_524
; %bb.523:
	global_load_dword v0, v[6:7], off
	s_waitcnt vmcnt(0)
	v_cvt_f64_f32_e32 v[0:1], v0
.LBB71_524:
	s_mov_b64 s[0:1], 0
.LBB71_525:
	s_andn2_b64 vcc, exec, s[0:1]
	s_cbranch_vccnz .LBB71_527
; %bb.526:
	global_load_ushort v0, v[6:7], off
	s_waitcnt vmcnt(0)
	v_cvt_f32_f16_e32 v0, v0
	v_cvt_f64_f32_e32 v[0:1], v0
.LBB71_527:
	s_mov_b64 s[0:1], 0
.LBB71_528:
	s_andn2_b64 vcc, exec, s[0:1]
	s_cbranch_vccnz .LBB71_548
; %bb.529:
	s_waitcnt vmcnt(0)
	v_mov_b32_e32 v0, 2
	v_cmp_lt_i16_sdwa s[0:1], v9, v0 src0_sel:BYTE_0 src1_sel:DWORD
	s_and_b64 vcc, exec, s[0:1]
	s_cbranch_vccnz .LBB71_533
; %bb.530:
	v_mov_b32_e32 v0, 3
	v_cmp_lt_i16_sdwa s[0:1], v9, v0 src0_sel:BYTE_0 src1_sel:DWORD
	s_and_b64 vcc, exec, s[0:1]
	s_cbranch_vccnz .LBB71_534
; %bb.531:
	v_cmp_gt_i16_sdwa s[0:1], v9, v0 src0_sel:BYTE_0 src1_sel:DWORD
	s_and_b64 vcc, exec, s[0:1]
	s_cbranch_vccz .LBB71_535
; %bb.532:
	global_load_dwordx2 v[0:1], v[6:7], off
	s_mov_b64 s[0:1], 0
	s_waitcnt vmcnt(0)
	v_cvt_f64_i32_e32 v[12:13], v1
	v_cvt_f64_u32_e32 v[0:1], v0
	v_ldexp_f64 v[12:13], v[12:13], 32
	v_add_f64 v[0:1], v[12:13], v[0:1]
	s_branch .LBB71_536
.LBB71_533:
	s_mov_b64 s[0:1], -1
                                        ; implicit-def: $vgpr0_vgpr1
	s_branch .LBB71_542
.LBB71_534:
	s_mov_b64 s[0:1], -1
                                        ; implicit-def: $vgpr0_vgpr1
	s_branch .LBB71_539
.LBB71_535:
	s_mov_b64 s[0:1], -1
                                        ; implicit-def: $vgpr0_vgpr1
.LBB71_536:
	s_andn2_b64 vcc, exec, s[0:1]
	s_cbranch_vccnz .LBB71_538
; %bb.537:
	global_load_dword v0, v[6:7], off
	s_waitcnt vmcnt(0)
	v_cvt_f64_i32_e32 v[0:1], v0
.LBB71_538:
	s_mov_b64 s[0:1], 0
.LBB71_539:
	s_andn2_b64 vcc, exec, s[0:1]
	s_cbranch_vccnz .LBB71_541
; %bb.540:
	global_load_sshort v0, v[6:7], off
	s_waitcnt vmcnt(0)
	v_cvt_f64_i32_e32 v[0:1], v0
.LBB71_541:
	s_mov_b64 s[0:1], 0
.LBB71_542:
	s_andn2_b64 vcc, exec, s[0:1]
	s_cbranch_vccnz .LBB71_548
; %bb.543:
	v_mov_b32_e32 v0, 0
	v_cmp_gt_i16_sdwa s[0:1], v9, v0 src0_sel:BYTE_0 src1_sel:DWORD
	s_and_b64 vcc, exec, s[0:1]
	s_cbranch_vccz .LBB71_545
; %bb.544:
	global_load_sbyte v0, v[6:7], off
	s_mov_b64 s[0:1], 0
	s_waitcnt vmcnt(0)
	v_cvt_f64_i32_e32 v[0:1], v0
	s_branch .LBB71_546
.LBB71_545:
	s_mov_b64 s[0:1], -1
                                        ; implicit-def: $vgpr0_vgpr1
.LBB71_546:
	s_andn2_b64 vcc, exec, s[0:1]
	s_cbranch_vccnz .LBB71_548
; %bb.547:
	global_load_ubyte v0, v[6:7], off
	s_waitcnt vmcnt(0)
	v_cvt_f64_u32_e32 v[0:1], v0
.LBB71_548:
	s_branch .LBB71_417
.LBB71_549:
	s_mov_b64 s[52:53], 0
	s_mov_b64 s[0:1], s[36:37]
	;; [unrolled: 1-line block ×3, first 2 shown]
.LBB71_550:
                                        ; implicit-def: $vgpr8
	s_branch .LBB71_792
.LBB71_551:
	s_or_saveexec_b64 s[48:49], s[48:49]
                                        ; implicit-def: $sgpr50
	s_xor_b64 exec, exec, s[48:49]
	s_cbranch_execz .LBB71_203
.LBB71_552:
	s_mov_b32 s50, 0x42800000
	v_add_f32_e64 v3, |v2|, s50
	v_and_b32_e32 v3, 0xff, v3
	v_cmp_ne_u32_e32 vcc, 0, v3
	s_andn2_b64 s[44:45], s[44:45], exec
	s_and_b64 s[52:53], vcc, exec
	s_mov_b32 s50, 0
	s_or_b64 s[44:45], s[44:45], s[52:53]
	s_or_b64 exec, exec, s[48:49]
	v_mov_b32_e32 v6, s50
	s_and_saveexec_b64 s[48:49], s[44:45]
	s_cbranch_execnz .LBB71_204
	s_branch .LBB71_205
.LBB71_553:
	s_mov_b64 s[46:47], -1
                                        ; implicit-def: $vgpr6_vgpr7
	s_mov_b64 s[0:1], 0
.LBB71_554:
	s_and_b64 vcc, exec, s[48:49]
	s_cbranch_vccz .LBB71_558
; %bb.555:
	v_mov_b32_e32 v3, 44
	v_cmp_eq_u16_sdwa s[46:47], v11, v3 src0_sel:BYTE_0 src1_sel:DWORD
	s_and_b64 vcc, exec, s[46:47]
	s_cbranch_vccz .LBB71_557
; %bb.556:
	global_load_ubyte v3, v[4:5], off
	s_movk_i32 s46, 0xff
	v_mov_b32_e32 v12, 0x7ff80000
	v_bfrev_b32_e32 v13, 28
	s_mov_b64 s[0:1], -1
	s_waitcnt vmcnt(0)
	v_lshlrev_b32_e32 v6, 23, v3
	v_cvt_f64_f32_e32 v[6:7], v6
	v_cmp_ne_u32_e32 vcc, s46, v3
	v_cndmask_b32_e32 v6, v12, v7, vcc
	v_cmp_ne_u32_e32 vcc, 0, v3
	v_cndmask_b32_e32 v7, v13, v6, vcc
	s_mov_b64 s[46:47], 0
	s_branch .LBB71_558
.LBB71_557:
	s_mov_b64 s[46:47], -1
                                        ; implicit-def: $vgpr6_vgpr7
.LBB71_558:
	s_mov_b64 s[48:49], 0
.LBB71_559:
	s_and_b64 vcc, exec, s[48:49]
	s_cbranch_vccz .LBB71_563
; %bb.560:
	v_mov_b32_e32 v3, 29
	v_cmp_eq_u16_sdwa s[46:47], v11, v3 src0_sel:BYTE_0 src1_sel:DWORD
	s_and_b64 vcc, exec, s[46:47]
	s_cbranch_vccz .LBB71_562
; %bb.561:
	global_load_dwordx2 v[6:7], v[4:5], off
	s_mov_b64 s[0:1], -1
	s_mov_b64 s[46:47], 0
	s_mov_b64 s[48:49], 0
	s_waitcnt vmcnt(0)
	v_cvt_f64_u32_e32 v[12:13], v7
	v_cvt_f64_u32_e32 v[6:7], v6
	v_ldexp_f64 v[12:13], v[12:13], 32
	v_add_f64 v[6:7], v[12:13], v[6:7]
	s_branch .LBB71_564
.LBB71_562:
	s_mov_b64 s[46:47], -1
                                        ; implicit-def: $vgpr6_vgpr7
.LBB71_563:
	s_mov_b64 s[48:49], 0
.LBB71_564:
	s_and_b64 vcc, exec, s[48:49]
	s_cbranch_vccz .LBB71_582
; %bb.565:
	v_mov_b32_e32 v3, 27
	v_cmp_lt_i16_sdwa s[0:1], v11, v3 src0_sel:BYTE_0 src1_sel:DWORD
	s_and_b64 vcc, exec, s[0:1]
	s_cbranch_vccnz .LBB71_568
; %bb.566:
	v_cmp_gt_i16_sdwa s[0:1], v11, v3 src0_sel:BYTE_0 src1_sel:DWORD
	s_and_b64 vcc, exec, s[0:1]
	s_cbranch_vccz .LBB71_569
; %bb.567:
	global_load_dword v3, v[4:5], off
	s_mov_b64 s[0:1], 0
	s_waitcnt vmcnt(0)
	v_cvt_f64_u32_e32 v[6:7], v3
	s_branch .LBB71_570
.LBB71_568:
	s_mov_b64 s[0:1], -1
                                        ; implicit-def: $vgpr6_vgpr7
	s_branch .LBB71_573
.LBB71_569:
	s_mov_b64 s[0:1], -1
                                        ; implicit-def: $vgpr6_vgpr7
.LBB71_570:
	s_andn2_b64 vcc, exec, s[0:1]
	s_cbranch_vccnz .LBB71_572
; %bb.571:
	global_load_ushort v3, v[4:5], off
	s_waitcnt vmcnt(0)
	v_cvt_f64_u32_e32 v[6:7], v3
.LBB71_572:
	s_mov_b64 s[0:1], 0
.LBB71_573:
	s_andn2_b64 vcc, exec, s[0:1]
	s_cbranch_vccnz .LBB71_581
; %bb.574:
	global_load_ubyte v3, v[4:5], off
	s_movk_i32 s0, 0x7f
                                        ; implicit-def: $sgpr48_sgpr49
	s_waitcnt vmcnt(0)
	v_cmp_lt_i16_e32 vcc, s0, v3
	s_mov_b64 s[0:1], 0
	s_and_saveexec_b64 s[52:53], vcc
	s_xor_b64 s[52:53], exec, s[52:53]
	s_cbranch_execz .LBB71_595
; %bb.575:
	s_movk_i32 s0, 0x80
	v_cmp_eq_u16_e32 vcc, s0, v3
	s_mov_b64 s[54:55], -1
                                        ; implicit-def: $sgpr48_sgpr49
	s_and_saveexec_b64 s[0:1], vcc
; %bb.576:
	s_mov_b32 s49, 0x7ff80000
	s_brev_b32 s48, 4
	s_xor_b64 s[54:55], exec, -1
; %bb.577:
	s_or_b64 exec, exec, s[0:1]
	s_and_b64 s[0:1], s[54:55], exec
	s_or_saveexec_b64 s[52:53], s[52:53]
	v_pk_mov_b32 v[6:7], s[48:49], s[48:49] op_sel:[0,1]
	s_xor_b64 exec, exec, s[52:53]
	s_cbranch_execnz .LBB71_596
.LBB71_578:
	s_or_b64 exec, exec, s[52:53]
	s_and_saveexec_b64 s[48:49], s[0:1]
	s_cbranch_execz .LBB71_580
.LBB71_579:
	v_lshlrev_b32_e32 v6, 24, v3
	v_and_b32_e32 v3, 0xffff, v3
	v_and_b32_e32 v7, 7, v3
	v_ffbh_u32_e32 v13, v7
	v_min_u32_e32 v13, 32, v13
	v_subrev_u32_e32 v14, 28, v13
	v_bfe_u32 v12, v3, 3, 4
	v_lshlrev_b32_e32 v3, v14, v3
	v_sub_u32_e32 v13, 29, v13
	v_and_b32_e32 v3, 7, v3
	v_cmp_eq_u32_e32 vcc, 0, v12
	v_cndmask_b32_e32 v12, v12, v13, vcc
	v_cndmask_b32_e32 v3, v7, v3, vcc
	v_mov_b32_e32 v7, 0x3b800000
	v_lshlrev_b32_e32 v3, 20, v3
	v_and_b32_e32 v6, 0x80000000, v6
	v_lshl_add_u32 v7, v12, 23, v7
	v_or3_b32 v3, v6, v7, v3
	v_cvt_f64_f32_e32 v[6:7], v3
.LBB71_580:
	s_or_b64 exec, exec, s[48:49]
.LBB71_581:
	s_mov_b64 s[0:1], -1
.LBB71_582:
	s_mov_b64 s[48:49], 0
.LBB71_583:
	s_and_b64 vcc, exec, s[48:49]
	s_cbranch_vccz .LBB71_618
; %bb.584:
	v_mov_b32_e32 v3, 22
	v_cmp_gt_i16_sdwa s[48:49], v11, v3 src0_sel:BYTE_0 src1_sel:DWORD
	s_and_b64 vcc, exec, s[48:49]
	s_cbranch_vccz .LBB71_594
; %bb.585:
	v_mov_b32_e32 v3, 24
	v_cmp_lt_i16_sdwa s[0:1], v11, v3 src0_sel:BYTE_0 src1_sel:DWORD
	s_and_b64 vcc, exec, s[0:1]
	s_cbranch_vccnz .LBB71_597
; %bb.586:
	v_cmp_gt_i16_sdwa s[0:1], v11, v3 src0_sel:BYTE_0 src1_sel:DWORD
	s_and_b64 vcc, exec, s[0:1]
	s_cbranch_vccz .LBB71_598
; %bb.587:
	global_load_ubyte v3, v[4:5], off
	s_movk_i32 s0, 0x7f
                                        ; implicit-def: $sgpr48_sgpr49
	s_waitcnt vmcnt(0)
	v_cmp_lt_i16_e32 vcc, s0, v3
	s_mov_b64 s[0:1], 0
	s_and_saveexec_b64 s[52:53], vcc
	s_xor_b64 s[52:53], exec, s[52:53]
	s_cbranch_execz .LBB71_610
; %bb.588:
	s_movk_i32 s0, 0x80
	v_cmp_eq_u16_e32 vcc, s0, v3
	s_mov_b64 s[54:55], -1
                                        ; implicit-def: $sgpr48_sgpr49
	s_and_saveexec_b64 s[0:1], vcc
; %bb.589:
	s_mov_b32 s49, 0x7ff80000
	s_brev_b32 s48, 4
	s_xor_b64 s[54:55], exec, -1
; %bb.590:
	s_or_b64 exec, exec, s[0:1]
	s_and_b64 s[0:1], s[54:55], exec
	s_or_saveexec_b64 s[52:53], s[52:53]
	v_pk_mov_b32 v[6:7], s[48:49], s[48:49] op_sel:[0,1]
	s_xor_b64 exec, exec, s[52:53]
	s_cbranch_execnz .LBB71_611
.LBB71_591:
	s_or_b64 exec, exec, s[52:53]
	s_and_saveexec_b64 s[48:49], s[0:1]
	s_cbranch_execz .LBB71_593
.LBB71_592:
	v_lshlrev_b32_e32 v6, 24, v3
	v_and_b32_e32 v3, 0xffff, v3
	v_and_b32_e32 v7, 3, v3
	v_ffbh_u32_e32 v13, v7
	v_min_u32_e32 v13, 32, v13
	v_subrev_u32_e32 v14, 29, v13
	v_bfe_u32 v12, v3, 2, 5
	v_lshlrev_b32_e32 v3, v14, v3
	v_sub_u32_e32 v13, 30, v13
	v_and_b32_e32 v3, 3, v3
	v_cmp_eq_u32_e32 vcc, 0, v12
	v_cndmask_b32_e32 v12, v12, v13, vcc
	v_cndmask_b32_e32 v3, v7, v3, vcc
	v_mov_b32_e32 v7, 0x37800000
	v_lshlrev_b32_e32 v3, 21, v3
	v_and_b32_e32 v6, 0x80000000, v6
	v_lshl_add_u32 v7, v12, 23, v7
	v_or3_b32 v3, v6, v7, v3
	v_cvt_f64_f32_e32 v[6:7], v3
.LBB71_593:
	s_or_b64 exec, exec, s[48:49]
	s_mov_b64 s[0:1], 0
	s_branch .LBB71_599
.LBB71_594:
	s_mov_b64 s[48:49], -1
                                        ; implicit-def: $vgpr6_vgpr7
	s_branch .LBB71_605
.LBB71_595:
	s_or_saveexec_b64 s[52:53], s[52:53]
	v_pk_mov_b32 v[6:7], s[48:49], s[48:49] op_sel:[0,1]
	s_xor_b64 exec, exec, s[52:53]
	s_cbranch_execz .LBB71_578
.LBB71_596:
	v_cmp_ne_u16_e32 vcc, 0, v3
	s_andn2_b64 s[0:1], s[0:1], exec
	s_and_b64 s[48:49], vcc, exec
	v_pk_mov_b32 v[6:7], 0, 0
	s_or_b64 s[0:1], s[0:1], s[48:49]
	s_or_b64 exec, exec, s[52:53]
	s_and_saveexec_b64 s[48:49], s[0:1]
	s_cbranch_execnz .LBB71_579
	s_branch .LBB71_580
.LBB71_597:
	s_mov_b64 s[0:1], -1
                                        ; implicit-def: $vgpr6_vgpr7
	s_branch .LBB71_602
.LBB71_598:
	s_mov_b64 s[0:1], -1
                                        ; implicit-def: $vgpr6_vgpr7
.LBB71_599:
	s_and_b64 vcc, exec, s[0:1]
	s_cbranch_vccz .LBB71_601
; %bb.600:
	global_load_ubyte v3, v[4:5], off
	s_mov_b32 s0, 0x7f800000
	s_waitcnt vmcnt(0)
	v_lshlrev_b32_e32 v3, 24, v3
	v_and_b32_e32 v6, 0x7f000000, v3
	v_ffbh_u32_e32 v7, v6
	v_min_u32_e32 v7, 32, v7
	v_sub_u32_e64 v7, v7, 4 clamp
	v_lshlrev_b32_e32 v13, v7, v6
	v_lshlrev_b32_e32 v7, 23, v7
	v_lshrrev_b32_e32 v13, 4, v13
	v_add_u32_e32 v12, 0x1000000, v6
	v_sub_u32_e32 v7, v13, v7
	v_ashrrev_i32_e32 v12, 8, v12
	v_add_u32_e32 v7, 0x3c000000, v7
	v_and_or_b32 v7, v12, s0, v7
	v_cmp_ne_u32_e32 vcc, 0, v6
	v_cndmask_b32_e32 v6, 0, v7, vcc
	s_brev_b32 s0, 1
	v_and_or_b32 v3, v3, s0, v6
	v_cvt_f64_f32_e32 v[6:7], v3
.LBB71_601:
	s_mov_b64 s[0:1], 0
.LBB71_602:
	s_andn2_b64 vcc, exec, s[0:1]
	s_cbranch_vccnz .LBB71_604
; %bb.603:
	global_load_ubyte v3, v[4:5], off
	s_movk_i32 s0, 0x7f00
	s_brev_b32 s1, 16
	s_waitcnt vmcnt(0)
	v_lshlrev_b16_e32 v6, 8, v3
	v_lshlrev_b32_e32 v3, 25, v3
	v_lshrrev_b32_e32 v7, 4, v3
	v_and_or_b32 v12, v6, s0, 0.5
	v_or_b32_e32 v7, 0x70000000, v7
	v_add_f32_e32 v12, -0.5, v12
	v_mul_f32_e32 v7, 0x7800000, v7
	v_cmp_gt_u32_e32 vcc, s1, v3
	v_bfe_i32 v6, v6, 0, 16
	v_cndmask_b32_e32 v3, v7, v12, vcc
	s_brev_b32 s0, 1
	v_and_or_b32 v3, v6, s0, v3
	v_cvt_f64_f32_e32 v[6:7], v3
.LBB71_604:
	s_mov_b64 s[48:49], 0
	s_mov_b64 s[0:1], -1
.LBB71_605:
	s_andn2_b64 vcc, exec, s[48:49]
	s_cbranch_vccnz .LBB71_618
; %bb.606:
	v_mov_b32_e32 v3, 14
	v_cmp_gt_i16_sdwa s[48:49], v11, v3 src0_sel:BYTE_0 src1_sel:DWORD
	s_and_b64 vcc, exec, s[48:49]
	s_cbranch_vccz .LBB71_609
; %bb.607:
	v_mov_b32_e32 v3, 15
	v_cmp_eq_u16_sdwa s[46:47], v11, v3 src0_sel:BYTE_0 src1_sel:DWORD
	s_and_b64 vcc, exec, s[46:47]
	s_cbranch_vccz .LBB71_612
; %bb.608:
	global_load_ushort v3, v[4:5], off
	s_mov_b64 s[0:1], -1
	s_mov_b64 s[46:47], 0
	s_waitcnt vmcnt(0)
	v_lshlrev_b32_e32 v3, 16, v3
	v_cvt_f64_f32_e32 v[6:7], v3
	s_branch .LBB71_613
.LBB71_609:
	s_mov_b64 s[48:49], -1
                                        ; implicit-def: $vgpr6_vgpr7
	s_branch .LBB71_614
.LBB71_610:
	s_or_saveexec_b64 s[52:53], s[52:53]
	v_pk_mov_b32 v[6:7], s[48:49], s[48:49] op_sel:[0,1]
	s_xor_b64 exec, exec, s[52:53]
	s_cbranch_execz .LBB71_591
.LBB71_611:
	v_cmp_ne_u16_e32 vcc, 0, v3
	s_andn2_b64 s[0:1], s[0:1], exec
	s_and_b64 s[48:49], vcc, exec
	v_pk_mov_b32 v[6:7], 0, 0
	s_or_b64 s[0:1], s[0:1], s[48:49]
	s_or_b64 exec, exec, s[52:53]
	s_and_saveexec_b64 s[48:49], s[0:1]
	s_cbranch_execnz .LBB71_592
	s_branch .LBB71_593
.LBB71_612:
	s_mov_b64 s[46:47], -1
                                        ; implicit-def: $vgpr6_vgpr7
.LBB71_613:
	s_mov_b64 s[48:49], 0
.LBB71_614:
	s_and_b64 vcc, exec, s[48:49]
	s_cbranch_vccz .LBB71_618
; %bb.615:
	v_mov_b32_e32 v3, 11
	v_cmp_eq_u16_sdwa s[46:47], v11, v3 src0_sel:BYTE_0 src1_sel:DWORD
	s_and_b64 vcc, exec, s[46:47]
	s_cbranch_vccz .LBB71_617
; %bb.616:
	global_load_ubyte v3, v[4:5], off
	v_mov_b32_e32 v6, 0x3ff00000
	s_mov_b64 s[0:1], -1
	s_mov_b64 s[46:47], 0
	s_waitcnt vmcnt(0)
	v_cmp_ne_u16_e32 vcc, 0, v3
	v_cndmask_b32_e32 v7, 0, v6, vcc
	s_branch .LBB71_618
.LBB71_617:
	s_mov_b64 s[46:47], -1
                                        ; implicit-def: $vgpr6_vgpr7
.LBB71_618:
	s_mov_b64 s[48:49], 0
.LBB71_619:
	s_and_b64 vcc, exec, s[48:49]
	s_cbranch_vccz .LBB71_668
; %bb.620:
	v_mov_b32_e32 v3, 5
	v_cmp_lt_i16_sdwa s[0:1], v11, v3 src0_sel:BYTE_0 src1_sel:DWORD
	s_and_b64 vcc, exec, s[0:1]
	s_cbranch_vccnz .LBB71_625
; %bb.621:
	v_mov_b32_e32 v3, 8
	v_cmp_lt_i16_sdwa s[0:1], v11, v3 src0_sel:BYTE_0 src1_sel:DWORD
	s_and_b64 vcc, exec, s[0:1]
	s_cbranch_vccnz .LBB71_626
	;; [unrolled: 5-line block ×3, first 2 shown]
; %bb.623:
	v_cmp_gt_i16_sdwa s[0:1], v11, v3 src0_sel:BYTE_0 src1_sel:DWORD
	s_and_b64 vcc, exec, s[0:1]
	s_cbranch_vccz .LBB71_628
; %bb.624:
	global_load_dwordx2 v[6:7], v[4:5], off
	s_mov_b64 s[0:1], 0
	s_branch .LBB71_629
.LBB71_625:
	s_mov_b64 s[0:1], -1
                                        ; implicit-def: $vgpr6_vgpr7
	s_branch .LBB71_647
.LBB71_626:
	s_mov_b64 s[0:1], -1
                                        ; implicit-def: $vgpr6_vgpr7
	s_branch .LBB71_635
.LBB71_627:
	s_mov_b64 s[0:1], -1
                                        ; implicit-def: $vgpr6_vgpr7
	s_branch .LBB71_632
.LBB71_628:
	s_mov_b64 s[0:1], -1
                                        ; implicit-def: $vgpr6_vgpr7
.LBB71_629:
	s_andn2_b64 vcc, exec, s[0:1]
	s_cbranch_vccnz .LBB71_631
; %bb.630:
	global_load_dword v3, v[4:5], off
	s_waitcnt vmcnt(0)
	v_cvt_f64_f32_e32 v[6:7], v3
.LBB71_631:
	s_mov_b64 s[0:1], 0
.LBB71_632:
	s_andn2_b64 vcc, exec, s[0:1]
	s_cbranch_vccnz .LBB71_634
; %bb.633:
	global_load_dword v3, v[4:5], off
	s_waitcnt vmcnt(0)
	v_cvt_f32_f16_e32 v3, v3
	v_cvt_f64_f32_e32 v[6:7], v3
.LBB71_634:
	s_mov_b64 s[0:1], 0
.LBB71_635:
	s_andn2_b64 vcc, exec, s[0:1]
	s_cbranch_vccnz .LBB71_646
; %bb.636:
	v_mov_b32_e32 v3, 6
	v_cmp_lt_i16_sdwa s[0:1], v11, v3 src0_sel:BYTE_0 src1_sel:DWORD
	s_and_b64 vcc, exec, s[0:1]
	s_cbranch_vccnz .LBB71_639
; %bb.637:
	v_cmp_gt_i16_sdwa s[0:1], v11, v3 src0_sel:BYTE_0 src1_sel:DWORD
	s_and_b64 vcc, exec, s[0:1]
	s_cbranch_vccz .LBB71_640
; %bb.638:
	global_load_dwordx2 v[6:7], v[4:5], off
	s_mov_b64 s[0:1], 0
	s_branch .LBB71_641
.LBB71_639:
	s_mov_b64 s[0:1], -1
                                        ; implicit-def: $vgpr6_vgpr7
	s_branch .LBB71_644
.LBB71_640:
	s_mov_b64 s[0:1], -1
                                        ; implicit-def: $vgpr6_vgpr7
.LBB71_641:
	s_andn2_b64 vcc, exec, s[0:1]
	s_cbranch_vccnz .LBB71_643
; %bb.642:
	global_load_dword v3, v[4:5], off
	s_waitcnt vmcnt(0)
	v_cvt_f64_f32_e32 v[6:7], v3
.LBB71_643:
	s_mov_b64 s[0:1], 0
.LBB71_644:
	s_andn2_b64 vcc, exec, s[0:1]
	s_cbranch_vccnz .LBB71_646
; %bb.645:
	global_load_ushort v3, v[4:5], off
	s_waitcnt vmcnt(0)
	v_cvt_f32_f16_e32 v3, v3
	v_cvt_f64_f32_e32 v[6:7], v3
.LBB71_646:
	s_mov_b64 s[0:1], 0
.LBB71_647:
	s_andn2_b64 vcc, exec, s[0:1]
	s_cbranch_vccnz .LBB71_667
; %bb.648:
	v_mov_b32_e32 v3, 2
	v_cmp_lt_i16_sdwa s[0:1], v11, v3 src0_sel:BYTE_0 src1_sel:DWORD
	s_and_b64 vcc, exec, s[0:1]
	s_cbranch_vccnz .LBB71_652
; %bb.649:
	v_mov_b32_e32 v3, 3
	v_cmp_lt_i16_sdwa s[0:1], v11, v3 src0_sel:BYTE_0 src1_sel:DWORD
	s_and_b64 vcc, exec, s[0:1]
	s_cbranch_vccnz .LBB71_653
; %bb.650:
	v_cmp_gt_i16_sdwa s[0:1], v11, v3 src0_sel:BYTE_0 src1_sel:DWORD
	s_and_b64 vcc, exec, s[0:1]
	s_cbranch_vccz .LBB71_654
; %bb.651:
	global_load_dwordx2 v[6:7], v[4:5], off
	s_mov_b64 s[0:1], 0
	s_waitcnt vmcnt(0)
	v_cvt_f64_i32_e32 v[12:13], v7
	v_cvt_f64_u32_e32 v[6:7], v6
	v_ldexp_f64 v[12:13], v[12:13], 32
	v_add_f64 v[6:7], v[12:13], v[6:7]
	s_branch .LBB71_655
.LBB71_652:
	s_mov_b64 s[0:1], -1
                                        ; implicit-def: $vgpr6_vgpr7
	s_branch .LBB71_661
.LBB71_653:
	s_mov_b64 s[0:1], -1
                                        ; implicit-def: $vgpr6_vgpr7
	s_branch .LBB71_658
.LBB71_654:
	s_mov_b64 s[0:1], -1
                                        ; implicit-def: $vgpr6_vgpr7
.LBB71_655:
	s_andn2_b64 vcc, exec, s[0:1]
	s_cbranch_vccnz .LBB71_657
; %bb.656:
	global_load_dword v3, v[4:5], off
	s_waitcnt vmcnt(0)
	v_cvt_f64_i32_e32 v[6:7], v3
.LBB71_657:
	s_mov_b64 s[0:1], 0
.LBB71_658:
	s_andn2_b64 vcc, exec, s[0:1]
	s_cbranch_vccnz .LBB71_660
; %bb.659:
	global_load_sshort v3, v[4:5], off
	s_waitcnt vmcnt(0)
	v_cvt_f64_i32_e32 v[6:7], v3
.LBB71_660:
	s_mov_b64 s[0:1], 0
.LBB71_661:
	s_andn2_b64 vcc, exec, s[0:1]
	s_cbranch_vccnz .LBB71_667
; %bb.662:
	v_mov_b32_e32 v3, 0
	v_cmp_gt_i16_sdwa s[0:1], v11, v3 src0_sel:BYTE_0 src1_sel:DWORD
	s_and_b64 vcc, exec, s[0:1]
	s_cbranch_vccz .LBB71_664
; %bb.663:
	global_load_sbyte v3, v[4:5], off
	s_mov_b64 s[0:1], 0
	s_waitcnt vmcnt(0)
	v_cvt_f64_i32_e32 v[6:7], v3
	s_branch .LBB71_665
.LBB71_664:
	s_mov_b64 s[0:1], -1
                                        ; implicit-def: $vgpr6_vgpr7
.LBB71_665:
	s_andn2_b64 vcc, exec, s[0:1]
	s_cbranch_vccnz .LBB71_667
; %bb.666:
	global_load_ubyte v3, v[4:5], off
	s_waitcnt vmcnt(0)
	v_cvt_f64_u32_e32 v[6:7], v3
.LBB71_667:
	s_mov_b64 s[0:1], -1
.LBB71_668:
	s_andn2_b64 vcc, exec, s[0:1]
	s_cbranch_vccnz .LBB71_676
; %bb.669:
	s_brev_b32 s0, -2
	v_mov_b32_e32 v3, s9
	v_add_co_u32_e32 v4, vcc, s8, v2
	v_mov_b32_e32 v2, 11
	s_waitcnt vmcnt(0)
	v_bfi_b32 v1, s0, v1, v7
	v_addc_co_u32_e32 v5, vcc, 0, v3, vcc
	v_cmp_lt_i16_sdwa s[0:1], v10, v2 src0_sel:BYTE_0 src1_sel:DWORD
	s_and_b64 vcc, exec, s[0:1]
	s_cbranch_vccnz .LBB71_677
; %bb.670:
	v_mov_b32_e32 v2, 25
	v_cmp_gt_i16_sdwa s[0:1], v10, v2 src0_sel:BYTE_0 src1_sel:DWORD
	s_and_b64 vcc, exec, s[0:1]
	s_cbranch_vccz .LBB71_678
; %bb.671:
	v_mov_b32_e32 v2, 28
	v_cmp_gt_i16_sdwa s[0:1], v10, v2 src0_sel:BYTE_0 src1_sel:DWORD
	s_and_b64 vcc, exec, s[0:1]
	s_cbranch_vccz .LBB71_679
	;; [unrolled: 5-line block ×4, first 2 shown]
; %bb.674:
	v_mov_b32_e32 v2, 46
	v_cmp_eq_u16_sdwa s[48:49], v10, v2 src0_sel:BYTE_0 src1_sel:DWORD
	s_mov_b64 s[52:53], 0
	s_mov_b64 s[0:1], -1
	s_and_b64 vcc, exec, s[48:49]
	s_mov_b64 s[48:49], 0
	s_cbranch_vccz .LBB71_682
; %bb.675:
	v_cvt_f32_f64_e32 v2, v[0:1]
	v_bfe_u32 v3, v2, 16, 1
	s_movk_i32 s0, 0x7fff
	v_add3_u32 v3, v2, v3, s0
	v_lshrrev_b32_e32 v3, 16, v3
	v_mov_b32_e32 v6, 0x7fc0
	v_cmp_o_f32_e32 vcc, v2, v2
	v_cndmask_b32_e32 v2, v6, v3, vcc
	global_store_dword v[4:5], v2, off
	s_mov_b64 s[48:49], -1
	s_mov_b64 s[0:1], 0
	s_branch .LBB71_682
.LBB71_676:
	s_mov_b64 s[52:53], 0
                                        ; implicit-def: $vgpr8
	s_mov_b64 s[0:1], s[36:37]
	s_branch .LBB71_792
.LBB71_677:
	s_mov_b64 s[52:53], -1
	s_mov_b64 s[48:49], 0
	s_mov_b64 s[0:1], s[36:37]
	s_branch .LBB71_751
.LBB71_678:
	s_mov_b64 s[52:53], -1
	s_mov_b64 s[48:49], 0
	s_mov_b64 s[0:1], s[36:37]
	s_branch .LBB71_709
.LBB71_679:
	s_mov_b64 s[52:53], -1
	s_mov_b64 s[48:49], 0
	s_mov_b64 s[0:1], s[36:37]
	s_branch .LBB71_692
.LBB71_680:
	s_mov_b64 s[52:53], -1
	s_mov_b64 s[48:49], 0
	s_mov_b64 s[0:1], s[36:37]
	s_branch .LBB71_688
.LBB71_681:
	s_mov_b64 s[52:53], -1
	s_mov_b64 s[48:49], 0
	s_mov_b64 s[0:1], s[36:37]
.LBB71_682:
	s_and_b64 vcc, exec, s[52:53]
	s_cbranch_vccz .LBB71_687
; %bb.683:
	v_mov_b32_e32 v2, 44
	v_cmp_eq_u16_sdwa s[52:53], v10, v2 src0_sel:BYTE_0 src1_sel:DWORD
	s_mov_b64 s[0:1], -1
	s_and_b64 vcc, exec, s[52:53]
	s_cbranch_vccz .LBB71_687
; %bb.684:
	v_cvt_f32_f64_e32 v2, v[0:1]
	v_bfe_u32 v3, v2, 23, 8
	s_movk_i32 s0, 0xff
	v_cmp_ne_u32_e32 vcc, s0, v3
	v_mov_b32_e32 v6, 0xff
	s_and_saveexec_b64 s[48:49], vcc
; %bb.685:
	s_mov_b32 s0, 0x3fffff
	v_lshrrev_b32_e32 v6, 23, v2
	v_and_b32_e32 v7, 0x400000, v2
	v_and_or_b32 v2, v2, s0, v3
	v_cmp_ne_u32_e32 vcc, 0, v7
	v_cmp_ne_u32_e64 s[0:1], 0, v2
	s_and_b64 s[0:1], vcc, s[0:1]
	v_cndmask_b32_e64 v2, 0, 1, s[0:1]
	v_add_u32_e32 v6, v6, v2
; %bb.686:
	s_or_b64 exec, exec, s[48:49]
	s_mov_b64 s[48:49], -1
	s_mov_b64 s[0:1], 0
	global_store_byte v[4:5], v6, off
.LBB71_687:
	s_mov_b64 s[52:53], 0
.LBB71_688:
	s_and_b64 vcc, exec, s[52:53]
	s_cbranch_vccz .LBB71_691
; %bb.689:
	v_mov_b32_e32 v2, 29
	v_cmp_eq_u16_sdwa s[52:53], v10, v2 src0_sel:BYTE_0 src1_sel:DWORD
	s_mov_b64 s[0:1], -1
	s_and_b64 vcc, exec, s[52:53]
	s_cbranch_vccz .LBB71_691
; %bb.690:
	v_trunc_f64_e32 v[2:3], v[0:1]
	s_movk_i32 s0, 0xffe0
	v_ldexp_f64 v[6:7], v[2:3], s0
	v_floor_f64_e32 v[6:7], v[6:7]
	v_fmac_f64_e32 v[2:3], 0xc1f00000, v[6:7]
	v_cvt_u32_f64_e32 v13, v[6:7]
	v_cvt_u32_f64_e32 v12, v[2:3]
	global_store_dwordx2 v[4:5], v[12:13], off
	s_mov_b64 s[48:49], -1
	s_mov_b64 s[0:1], 0
.LBB71_691:
	s_mov_b64 s[52:53], 0
.LBB71_692:
	s_and_b64 vcc, exec, s[52:53]
	s_cbranch_vccz .LBB71_708
; %bb.693:
	v_mov_b32_e32 v2, 27
	v_cmp_lt_i16_sdwa s[52:53], v10, v2 src0_sel:BYTE_0 src1_sel:DWORD
	s_mov_b64 s[48:49], -1
	s_and_b64 vcc, exec, s[52:53]
	s_cbranch_vccnz .LBB71_699
; %bb.694:
	v_cmp_gt_i16_sdwa s[52:53], v10, v2 src0_sel:BYTE_0 src1_sel:DWORD
	s_and_b64 vcc, exec, s[52:53]
	v_cvt_u32_f64_e32 v2, v[0:1]
	s_cbranch_vccz .LBB71_696
; %bb.695:
	s_mov_b64 s[48:49], 0
	global_store_dword v[4:5], v2, off
.LBB71_696:
	s_andn2_b64 vcc, exec, s[48:49]
	s_cbranch_vccnz .LBB71_698
; %bb.697:
	global_store_short v[4:5], v2, off
.LBB71_698:
	s_mov_b64 s[48:49], 0
.LBB71_699:
	s_andn2_b64 vcc, exec, s[48:49]
	s_cbranch_vccnz .LBB71_707
; %bb.700:
	v_cvt_f32_f64_e32 v2, v[0:1]
	v_and_b32_e32 v3, 0x7fffffff, v2
	s_mov_b32 s48, 0x43800000
	v_cmp_gt_u32_e32 vcc, s48, v3
	v_mov_b32_e32 v6, 0x80
	s_and_saveexec_b64 s[48:49], vcc
	s_cbranch_execz .LBB71_706
; %bb.701:
	s_mov_b32 s52, 0x3bffffff
	v_cmp_lt_u32_e32 vcc, s52, v3
	s_mov_b64 s[52:53], 0
                                        ; implicit-def: $vgpr3
	s_and_saveexec_b64 s[54:55], vcc
	s_xor_b64 s[54:55], exec, s[54:55]
	s_cbranch_execz .LBB71_819
; %bb.702:
	v_bfe_u32 v3, v2, 20, 1
	s_mov_b32 s56, 0x487ffff
	v_add3_u32 v3, v2, v3, s56
	s_mov_b64 s[52:53], exec
	v_lshrrev_b32_e32 v3, 20, v3
	s_or_saveexec_b64 s[54:55], s[54:55]
                                        ; implicit-def: $sgpr56
	s_xor_b64 exec, exec, s[54:55]
	s_cbranch_execnz .LBB71_820
.LBB71_703:
	s_or_b64 exec, exec, s[54:55]
	v_mov_b32_e32 v6, s56
	s_and_saveexec_b64 s[54:55], s[52:53]
.LBB71_704:
	v_lshrrev_b32_e32 v2, 24, v2
	s_movk_i32 s52, 0x80
	v_and_or_b32 v6, v2, s52, v3
.LBB71_705:
	s_or_b64 exec, exec, s[54:55]
.LBB71_706:
	s_or_b64 exec, exec, s[48:49]
	global_store_byte v[4:5], v6, off
.LBB71_707:
	s_mov_b64 s[48:49], -1
.LBB71_708:
	s_mov_b64 s[52:53], 0
.LBB71_709:
	s_and_b64 vcc, exec, s[52:53]
	s_cbranch_vccz .LBB71_750
; %bb.710:
	v_mov_b32_e32 v2, 22
	v_cmp_gt_i16_sdwa s[54:55], v10, v2 src0_sel:BYTE_0 src1_sel:DWORD
	s_mov_b64 s[52:53], -1
	s_and_b64 vcc, exec, s[54:55]
	s_cbranch_vccz .LBB71_742
; %bb.711:
	v_mov_b32_e32 v2, 24
	v_cmp_lt_i16_sdwa s[52:53], v10, v2 src0_sel:BYTE_0 src1_sel:DWORD
	s_mov_b64 s[48:49], -1
	s_and_b64 vcc, exec, s[52:53]
	s_cbranch_vccnz .LBB71_731
; %bb.712:
	v_cmp_gt_i16_sdwa s[52:53], v10, v2 src0_sel:BYTE_0 src1_sel:DWORD
	s_and_b64 vcc, exec, s[52:53]
	s_cbranch_vccz .LBB71_720
; %bb.713:
	v_cvt_f32_f64_e32 v2, v[0:1]
	v_and_b32_e32 v3, 0x7fffffff, v2
	s_mov_b32 s48, 0x47800000
	v_cmp_gt_u32_e32 vcc, s48, v3
	v_mov_b32_e32 v6, 0x80
	s_and_saveexec_b64 s[48:49], vcc
	s_cbranch_execz .LBB71_719
; %bb.714:
	s_mov_b32 s52, 0x37ffffff
	v_cmp_lt_u32_e32 vcc, s52, v3
	s_mov_b64 s[52:53], 0
                                        ; implicit-def: $vgpr3
	s_and_saveexec_b64 s[54:55], vcc
	s_xor_b64 s[54:55], exec, s[54:55]
	s_cbranch_execz .LBB71_951
; %bb.715:
	v_bfe_u32 v3, v2, 21, 1
	s_mov_b32 s56, 0x88fffff
	v_add3_u32 v3, v2, v3, s56
	s_mov_b64 s[52:53], exec
	v_lshrrev_b32_e32 v3, 21, v3
	s_or_saveexec_b64 s[54:55], s[54:55]
                                        ; implicit-def: $sgpr56
	s_xor_b64 exec, exec, s[54:55]
	s_cbranch_execnz .LBB71_952
.LBB71_716:
	s_or_b64 exec, exec, s[54:55]
	v_mov_b32_e32 v6, s56
	s_and_saveexec_b64 s[54:55], s[52:53]
.LBB71_717:
	v_lshrrev_b32_e32 v2, 24, v2
	s_movk_i32 s52, 0x80
	v_and_or_b32 v6, v2, s52, v3
.LBB71_718:
	s_or_b64 exec, exec, s[54:55]
.LBB71_719:
	s_or_b64 exec, exec, s[48:49]
	s_mov_b64 s[48:49], 0
	global_store_byte v[4:5], v6, off
.LBB71_720:
	s_and_b64 vcc, exec, s[48:49]
	s_cbranch_vccz .LBB71_730
; %bb.721:
	v_cvt_f32_f64_e32 v2, v[0:1]
	v_and_b32_e32 v6, 0x7fffffff, v2
	s_mov_b32 s48, 0x43f00000
	v_cmp_gt_u32_e32 vcc, s48, v6
                                        ; implicit-def: $vgpr3
	s_and_saveexec_b64 s[48:49], vcc
	s_xor_b64 s[48:49], exec, s[48:49]
	s_cbranch_execz .LBB71_727
; %bb.722:
	s_mov_b32 s52, 0x3c7fffff
	v_cmp_lt_u32_e32 vcc, s52, v6
                                        ; implicit-def: $vgpr3
	s_and_saveexec_b64 s[52:53], vcc
	s_xor_b64 s[52:53], exec, s[52:53]
; %bb.723:
	v_bfe_u32 v3, v2, 20, 1
	s_mov_b32 s54, 0x407ffff
	v_add3_u32 v3, v2, v3, s54
	v_lshrrev_b32_e32 v6, 20, v3
	v_and_b32_e32 v3, 0xff00000, v3
	s_mov_b32 s54, 0x7f00000
	v_mov_b32_e32 v7, 0x7e
	v_cmp_ne_u32_e32 vcc, s54, v3
	v_cndmask_b32_e32 v3, v7, v6, vcc
; %bb.724:
	s_andn2_saveexec_b64 s[52:53], s[52:53]
; %bb.725:
	s_mov_b32 s54, 0x46800000
	v_add_f32_e64 v3, |v2|, s54
; %bb.726:
	s_or_b64 exec, exec, s[52:53]
                                        ; implicit-def: $vgpr6
.LBB71_727:
	s_andn2_saveexec_b64 s[48:49], s[48:49]
; %bb.728:
	s_mov_b32 s52, 0x7f800000
	v_mov_b32_e32 v3, 0x7e
	v_mov_b32_e32 v7, 0x7f
	v_cmp_lt_u32_e32 vcc, s52, v6
	v_cndmask_b32_e32 v3, v3, v7, vcc
; %bb.729:
	s_or_b64 exec, exec, s[48:49]
	v_lshrrev_b32_e32 v2, 24, v2
	s_movk_i32 s48, 0x80
	v_and_or_b32 v2, v2, s48, v3
	global_store_byte v[4:5], v2, off
.LBB71_730:
	s_mov_b64 s[48:49], 0
.LBB71_731:
	s_andn2_b64 vcc, exec, s[48:49]
	s_cbranch_vccnz .LBB71_741
; %bb.732:
	v_cvt_f32_f64_e32 v2, v[0:1]
	v_and_b32_e32 v6, 0x7fffffff, v2
	s_mov_b32 s48, 0x47800000
	v_cmp_gt_u32_e32 vcc, s48, v6
                                        ; implicit-def: $vgpr3
	s_and_saveexec_b64 s[48:49], vcc
	s_xor_b64 s[48:49], exec, s[48:49]
	s_cbranch_execz .LBB71_738
; %bb.733:
	s_mov_b32 s52, 0x387fffff
	v_cmp_lt_u32_e32 vcc, s52, v6
                                        ; implicit-def: $vgpr3
	s_and_saveexec_b64 s[52:53], vcc
	s_xor_b64 s[52:53], exec, s[52:53]
; %bb.734:
	v_bfe_u32 v3, v2, 21, 1
	s_mov_b32 s54, 0x80fffff
	v_add3_u32 v3, v2, v3, s54
	v_lshrrev_b32_e32 v3, 21, v3
; %bb.735:
	s_andn2_saveexec_b64 s[52:53], s[52:53]
; %bb.736:
	s_mov_b32 s54, 0x43000000
	v_add_f32_e64 v3, |v2|, s54
; %bb.737:
	s_or_b64 exec, exec, s[52:53]
                                        ; implicit-def: $vgpr6
.LBB71_738:
	s_andn2_saveexec_b64 s[48:49], s[48:49]
; %bb.739:
	s_mov_b32 s52, 0x7f800000
	v_mov_b32_e32 v3, 0x7c
	v_mov_b32_e32 v7, 0x7f
	v_cmp_lt_u32_e32 vcc, s52, v6
	v_cndmask_b32_e32 v3, v3, v7, vcc
; %bb.740:
	s_or_b64 exec, exec, s[48:49]
	v_lshrrev_b32_e32 v2, 24, v2
	s_movk_i32 s48, 0x80
	v_and_or_b32 v2, v2, s48, v3
	global_store_byte v[4:5], v2, off
.LBB71_741:
	s_mov_b64 s[52:53], 0
	s_mov_b64 s[48:49], -1
.LBB71_742:
	s_andn2_b64 vcc, exec, s[52:53]
	s_cbranch_vccnz .LBB71_750
; %bb.743:
	v_mov_b32_e32 v2, 14
	v_cmp_gt_i16_sdwa s[54:55], v10, v2 src0_sel:BYTE_0 src1_sel:DWORD
	s_mov_b64 s[52:53], -1
	s_and_b64 vcc, exec, s[54:55]
	s_cbranch_vccz .LBB71_747
; %bb.744:
	v_mov_b32_e32 v2, 15
	v_cmp_eq_u16_sdwa s[52:53], v10, v2 src0_sel:BYTE_0 src1_sel:DWORD
	s_mov_b64 s[0:1], -1
	s_and_b64 vcc, exec, s[52:53]
	s_cbranch_vccz .LBB71_746
; %bb.745:
	v_cvt_f32_f64_e32 v2, v[0:1]
	v_bfe_u32 v3, v2, 16, 1
	s_movk_i32 s0, 0x7fff
	v_add3_u32 v3, v2, v3, s0
	v_lshrrev_b32_e32 v3, 16, v3
	v_mov_b32_e32 v6, 0x7fc0
	v_cmp_o_f32_e32 vcc, v2, v2
	v_cndmask_b32_e32 v2, v6, v3, vcc
	global_store_short v[4:5], v2, off
	s_mov_b64 s[48:49], -1
	s_mov_b64 s[0:1], 0
.LBB71_746:
	s_mov_b64 s[52:53], 0
.LBB71_747:
	s_and_b64 vcc, exec, s[52:53]
	s_cbranch_vccz .LBB71_750
; %bb.748:
	v_mov_b32_e32 v2, 11
	v_cmp_eq_u16_sdwa s[52:53], v10, v2 src0_sel:BYTE_0 src1_sel:DWORD
	s_mov_b64 s[0:1], -1
	s_and_b64 vcc, exec, s[52:53]
	s_cbranch_vccz .LBB71_750
; %bb.749:
	v_cmp_neq_f64_e32 vcc, 0, v[0:1]
	s_mov_b64 s[0:1], 0
	v_cndmask_b32_e64 v2, 0, 1, vcc
	s_mov_b64 s[48:49], -1
	global_store_byte v[4:5], v2, off
.LBB71_750:
	s_mov_b64 s[52:53], 0
.LBB71_751:
	s_and_b64 vcc, exec, s[52:53]
	s_cbranch_vccz .LBB71_790
; %bb.752:
	v_mov_b32_e32 v2, 5
	v_cmp_lt_i16_sdwa s[52:53], v10, v2 src0_sel:BYTE_0 src1_sel:DWORD
	s_mov_b64 s[48:49], -1
	s_and_b64 vcc, exec, s[52:53]
	s_cbranch_vccnz .LBB71_773
; %bb.753:
	v_mov_b32_e32 v2, 8
	v_cmp_lt_i16_sdwa s[52:53], v10, v2 src0_sel:BYTE_0 src1_sel:DWORD
	s_and_b64 vcc, exec, s[52:53]
	s_cbranch_vccnz .LBB71_763
; %bb.754:
	v_mov_b32_e32 v2, 9
	v_cmp_lt_i16_sdwa s[52:53], v10, v2 src0_sel:BYTE_0 src1_sel:DWORD
	s_and_b64 vcc, exec, s[52:53]
	s_cbranch_vccnz .LBB71_760
; %bb.755:
	v_cmp_gt_i16_sdwa s[52:53], v10, v2 src0_sel:BYTE_0 src1_sel:DWORD
	s_and_b64 vcc, exec, s[52:53]
	s_cbranch_vccz .LBB71_757
; %bb.756:
	v_mov_b32_e32 v2, 0
	v_mov_b32_e32 v3, v2
	s_mov_b64 s[48:49], 0
	global_store_dwordx4 v[4:5], v[0:3], off
.LBB71_757:
	s_andn2_b64 vcc, exec, s[48:49]
	s_cbranch_vccnz .LBB71_759
; %bb.758:
	v_cvt_f32_f64_e32 v2, v[0:1]
	v_mov_b32_e32 v3, 0
	global_store_dwordx2 v[4:5], v[2:3], off
.LBB71_759:
	s_mov_b64 s[48:49], 0
.LBB71_760:
	s_andn2_b64 vcc, exec, s[48:49]
	s_cbranch_vccnz .LBB71_762
; %bb.761:
	v_cvt_f32_f64_e32 v2, v[0:1]
	v_cvt_f16_f32_e32 v2, v2
	global_store_dword v[4:5], v2, off
.LBB71_762:
	s_mov_b64 s[48:49], 0
.LBB71_763:
	s_andn2_b64 vcc, exec, s[48:49]
	s_cbranch_vccnz .LBB71_772
; %bb.764:
	v_mov_b32_e32 v2, 6
	v_cmp_lt_i16_sdwa s[52:53], v10, v2 src0_sel:BYTE_0 src1_sel:DWORD
	s_mov_b64 s[48:49], -1
	s_and_b64 vcc, exec, s[52:53]
	s_cbranch_vccnz .LBB71_770
; %bb.765:
	v_cmp_gt_i16_sdwa s[52:53], v10, v2 src0_sel:BYTE_0 src1_sel:DWORD
	s_and_b64 vcc, exec, s[52:53]
	s_cbranch_vccz .LBB71_767
; %bb.766:
	s_mov_b64 s[48:49], 0
	global_store_dwordx2 v[4:5], v[0:1], off
.LBB71_767:
	s_andn2_b64 vcc, exec, s[48:49]
	s_cbranch_vccnz .LBB71_769
; %bb.768:
	v_cvt_f32_f64_e32 v2, v[0:1]
	global_store_dword v[4:5], v2, off
.LBB71_769:
	s_mov_b64 s[48:49], 0
.LBB71_770:
	s_andn2_b64 vcc, exec, s[48:49]
	s_cbranch_vccnz .LBB71_772
; %bb.771:
	v_cvt_f32_f64_e32 v2, v[0:1]
	v_cvt_f16_f32_e32 v2, v2
	global_store_short v[4:5], v2, off
.LBB71_772:
	s_mov_b64 s[48:49], 0
.LBB71_773:
	s_andn2_b64 vcc, exec, s[48:49]
	s_cbranch_vccnz .LBB71_789
; %bb.774:
	v_mov_b32_e32 v2, 2
	v_cmp_lt_i16_sdwa s[52:53], v10, v2 src0_sel:BYTE_0 src1_sel:DWORD
	s_mov_b64 s[48:49], -1
	s_and_b64 vcc, exec, s[52:53]
	s_cbranch_vccnz .LBB71_784
; %bb.775:
	v_mov_b32_e32 v2, 3
	v_cmp_lt_i16_sdwa s[52:53], v10, v2 src0_sel:BYTE_0 src1_sel:DWORD
	s_and_b64 vcc, exec, s[52:53]
	s_cbranch_vccnz .LBB71_781
; %bb.776:
	v_cmp_gt_i16_sdwa s[52:53], v10, v2 src0_sel:BYTE_0 src1_sel:DWORD
	s_and_b64 vcc, exec, s[52:53]
	s_cbranch_vccz .LBB71_778
; %bb.777:
	v_trunc_f64_e32 v[2:3], v[0:1]
	s_movk_i32 s48, 0xffe0
	v_ldexp_f64 v[6:7], v[2:3], s48
	v_floor_f64_e32 v[6:7], v[6:7]
	v_fmac_f64_e32 v[2:3], 0xc1f00000, v[6:7]
	v_cvt_i32_f64_e32 v13, v[6:7]
	v_cvt_u32_f64_e32 v12, v[2:3]
	s_mov_b64 s[48:49], 0
	global_store_dwordx2 v[4:5], v[12:13], off
.LBB71_778:
	s_andn2_b64 vcc, exec, s[48:49]
	s_cbranch_vccnz .LBB71_780
; %bb.779:
	v_cvt_i32_f64_e32 v2, v[0:1]
	global_store_dword v[4:5], v2, off
.LBB71_780:
	s_mov_b64 s[48:49], 0
.LBB71_781:
	s_andn2_b64 vcc, exec, s[48:49]
	s_cbranch_vccnz .LBB71_783
; %bb.782:
	v_cvt_i32_f64_e32 v2, v[0:1]
	global_store_short v[4:5], v2, off
.LBB71_783:
	s_mov_b64 s[48:49], 0
.LBB71_784:
	s_andn2_b64 vcc, exec, s[48:49]
	s_cbranch_vccnz .LBB71_789
; %bb.785:
	v_mov_b32_e32 v2, 0
	v_cmp_gt_i16_sdwa s[52:53], v10, v2 src0_sel:BYTE_0 src1_sel:DWORD
	s_mov_b64 s[48:49], -1
	s_and_b64 vcc, exec, s[52:53]
	s_cbranch_vccz .LBB71_787
; %bb.786:
	v_cvt_i32_f64_e32 v2, v[0:1]
	s_mov_b64 s[48:49], 0
	global_store_byte v[4:5], v2, off
.LBB71_787:
	s_andn2_b64 vcc, exec, s[48:49]
	s_cbranch_vccnz .LBB71_789
; %bb.788:
	v_trunc_f64_e32 v[0:1], v[0:1]
	s_movk_i32 s48, 0xffe0
	v_ldexp_f64 v[2:3], v[0:1], s48
	v_floor_f64_e32 v[2:3], v[2:3]
	v_fmac_f64_e32 v[0:1], 0xc1f00000, v[2:3]
	v_cvt_u32_f64_e32 v0, v[0:1]
	global_store_byte v[4:5], v0, off
.LBB71_789:
	s_mov_b64 s[48:49], -1
.LBB71_790:
	s_andn2_b64 vcc, exec, s[48:49]
	s_cbranch_vccnz .LBB71_814
; %bb.791:
	v_add_u32_e32 v8, 0x80, v8
	s_mov_b64 s[52:53], -1
.LBB71_792:
	s_andn2_b64 s[48:49], s[36:37], exec
	s_and_b64 s[0:1], s[0:1], exec
	s_or_b64 s[48:49], s[48:49], s[0:1]
	s_andn2_b64 s[0:1], s[38:39], exec
	s_and_b64 s[46:47], s[46:47], exec
	s_or_b64 s[46:47], s[0:1], s[46:47]
	;; [unrolled: 3-line block ×3, first 2 shown]
	s_orn2_b64 s[0:1], s[52:53], exec
.LBB71_793:
	s_or_b64 exec, exec, s[50:51]
	s_mov_b64 s[52:53], 0
	s_mov_b64 s[54:55], 0
	;; [unrolled: 1-line block ×3, first 2 shown]
                                        ; implicit-def: $vgpr3
                                        ; implicit-def: $vgpr6_vgpr7
                                        ; implicit-def: $vgpr4
                                        ; implicit-def: $vgpr2
                                        ; implicit-def: $vgpr0_vgpr1
	s_and_saveexec_b64 s[50:51], s[0:1]
	s_cbranch_execz .LBB71_1288
; %bb.794:
	v_cmp_gt_i32_e32 vcc, s66, v8
	s_mov_b64 s[64:65], -1
	s_mov_b64 s[0:1], s[44:45]
	s_mov_b64 s[56:57], s[46:47]
	;; [unrolled: 1-line block ×3, first 2 shown]
	s_and_saveexec_b64 s[52:53], vcc
	s_cbranch_execz .LBB71_1193
; %bb.795:
	s_andn2_b64 vcc, exec, s[20:21]
	s_cbranch_vccnz .LBB71_802
; %bb.796:
	s_andn2_b64 vcc, exec, s[34:35]
	v_mov_b32_e32 v4, 0
	s_waitcnt vmcnt(0)
	v_mov_b32_e32 v0, 0
	v_mov_b32_e32 v2, 0
	s_cbranch_vccnz .LBB71_801
; %bb.797:
	s_add_i32 s0, s69, 1
	s_and_b32 s54, s0, 30
	s_add_u32 s0, s2, 0xffffffec
	s_addc_u32 s1, s3, -1
	v_mov_b32_e32 v2, 0
	v_mov_b32_e32 v1, v8
	;; [unrolled: 1-line block ×4, first 2 shown]
.LBB71_798:                             ; =>This Inner Loop Header: Depth=1
	s_mov_b64 s[64:65], s[0:1]
	s_load_dwordx4 s[56:59], s[64:65], 0x18
	s_load_dwordx2 s[70:71], s[64:65], 0x28
	s_load_dwordx2 s[72:73], s[64:65], 0xe8
	s_load_dwordx4 s[60:63], s[64:65], 0xd8
	s_add_u32 s0, s64, 24
	s_waitcnt lgkmcnt(0)
	v_mul_hi_u32 v3, s57, v1
	v_add_u32_e32 v3, v1, v3
	v_lshrrev_b32_e32 v3, s58, v3
	v_mul_lo_u32 v5, v3, s56
	v_mul_hi_u32 v6, s70, v3
	v_sub_u32_e32 v1, v1, v5
	v_add_u32_e32 v5, v3, v6
	v_mul_lo_u32 v6, v1, s60
	v_mul_lo_u32 v7, v1, s61
	;; [unrolled: 1-line block ×3, first 2 shown]
	v_lshrrev_b32_e32 v1, s71, v5
	v_mul_lo_u32 v5, v1, s59
	v_sub_u32_e32 v3, v3, v5
	s_addc_u32 s1, s65, 0
	s_add_i32 s54, s54, -2
	v_mul_lo_u32 v5, v3, s63
	v_mul_lo_u32 v13, v3, s72
	;; [unrolled: 1-line block ×3, first 2 shown]
	s_cmp_eq_u32 s54, 0
	v_add3_u32 v2, v6, v2, v5
	v_add3_u32 v4, v12, v4, v3
	v_add3_u32 v0, v7, v0, v13
	s_cbranch_scc0 .LBB71_798
; %bb.799:
	s_bitcmp1_b32 s69, 0
	s_cselect_b64 s[54:55], -1, 0
	s_and_b64 vcc, exec, s[54:55]
	s_cbranch_vccnz .LBB71_801
; %bb.800:
	s_load_dwordx2 s[54:55], s[0:1], 0x18
	s_load_dword s56, s[0:1], 0x20
	s_load_dword s57, s[0:1], 0xe0
	s_nop 0
	s_load_dwordx2 s[0:1], s[0:1], 0xd8
	s_waitcnt lgkmcnt(0)
	v_mul_hi_u32 v3, s55, v1
	v_add_u32_e32 v3, v1, v3
	v_lshrrev_b32_e32 v3, s56, v3
	v_mul_lo_u32 v3, v3, s54
	v_sub_u32_e32 v5, v1, v3
	v_mad_u64_u32 v[2:3], s[54:55], v5, s0, v[2:3]
	v_mad_u64_u32 v[0:1], s[0:1], v5, s1, v[0:1]
	;; [unrolled: 1-line block ×3, first 2 shown]
.LBB71_801:
	s_mov_b64 s[0:1], 0
	s_branch .LBB71_803
.LBB71_802:
	s_mov_b64 s[0:1], -1
                                        ; implicit-def: $vgpr4
                                        ; implicit-def: $vgpr0
                                        ; implicit-def: $vgpr2
.LBB71_803:
	s_andn2_b64 vcc, exec, s[0:1]
	s_cbranch_vccnz .LBB71_806
; %bb.804:
	s_waitcnt vmcnt(0) lgkmcnt(0)
	v_mul_hi_u32 v0, s17, v8
	v_add_u32_e32 v0, v8, v0
	v_lshrrev_b32_e32 v1, s18, v0
	v_mul_lo_u32 v0, v1, s16
	v_sub_u32_e32 v0, v8, v0
	v_mul_lo_u32 v2, v0, s12
	v_mul_lo_u32 v4, v0, s14
	s_andn2_b64 vcc, exec, s[30:31]
	v_mul_lo_u32 v0, v0, s13
	s_cbranch_vccnz .LBB71_806
; %bb.805:
	v_mul_hi_u32 v3, s28, v1
	v_add_u32_e32 v3, v1, v3
	v_lshrrev_b32_e32 v3, s29, v3
	v_mul_lo_u32 v3, v3, s19
	v_sub_u32_e32 v5, v1, v3
	v_mad_u64_u32 v[2:3], s[0:1], v5, s15, v[2:3]
	v_mad_u64_u32 v[0:1], s[0:1], v5, s26, v[0:1]
	;; [unrolled: 1-line block ×3, first 2 shown]
.LBB71_806:
	s_waitcnt vmcnt(0) lgkmcnt(0)
	v_mov_b32_e32 v1, s11
	v_add_co_u32_e32 v6, vcc, s10, v0
	v_mov_b32_e32 v0, 11
	v_addc_co_u32_e32 v7, vcc, 0, v1, vcc
	v_cmp_lt_i16_sdwa s[0:1], v9, v0 src0_sel:BYTE_0 src1_sel:DWORD
	s_and_b64 vcc, exec, s[0:1]
	s_cbranch_vccnz .LBB71_813
; %bb.807:
	v_mov_b32_e32 v0, 25
	v_cmp_gt_i16_sdwa s[0:1], v9, v0 src0_sel:BYTE_0 src1_sel:DWORD
	s_and_b64 vcc, exec, s[0:1]
	s_cbranch_vccz .LBB71_815
; %bb.808:
	v_mov_b32_e32 v0, 28
	v_cmp_gt_i16_sdwa s[0:1], v9, v0 src0_sel:BYTE_0 src1_sel:DWORD
	s_and_b64 vcc, exec, s[0:1]
	s_cbranch_vccz .LBB71_816
	;; [unrolled: 5-line block ×4, first 2 shown]
; %bb.811:
	v_mov_b32_e32 v0, 46
	v_cmp_eq_u16_sdwa s[0:1], v9, v0 src0_sel:BYTE_0 src1_sel:DWORD
	s_mov_b64 s[56:57], 0
	s_and_b64 vcc, exec, s[0:1]
	s_cbranch_vccz .LBB71_821
; %bb.812:
	global_load_dword v0, v[6:7], off
	s_mov_b64 s[0:1], -1
	s_mov_b64 s[54:55], 0
	s_waitcnt vmcnt(0)
	v_lshlrev_b32_e32 v0, 16, v0
	v_cvt_f64_f32_e32 v[0:1], v0
	s_branch .LBB71_822
.LBB71_813:
	s_mov_b64 s[56:57], -1
	s_mov_b64 s[0:1], 0
                                        ; implicit-def: $vgpr0_vgpr1
	s_mov_b64 s[54:55], s[44:45]
	s_branch .LBB71_887
.LBB71_814:
	s_mov_b64 s[52:53], 0
	s_branch .LBB71_550
.LBB71_815:
	s_mov_b64 s[56:57], -1
	s_mov_b64 s[0:1], 0
	s_mov_b64 s[54:55], s[44:45]
                                        ; implicit-def: $vgpr0_vgpr1
	s_branch .LBB71_851
.LBB71_816:
	s_mov_b64 s[56:57], -1
	s_mov_b64 s[0:1], 0
	s_mov_b64 s[54:55], s[44:45]
                                        ; implicit-def: $vgpr0_vgpr1
	s_branch .LBB71_832
.LBB71_817:
	s_mov_b64 s[56:57], -1
	s_mov_b64 s[0:1], 0
	s_mov_b64 s[54:55], s[44:45]
                                        ; implicit-def: $vgpr0_vgpr1
	s_branch .LBB71_827
.LBB71_818:
	s_mov_b64 s[56:57], -1
	s_mov_b64 s[0:1], 0
	s_mov_b64 s[54:55], s[44:45]
                                        ; implicit-def: $vgpr0_vgpr1
	s_branch .LBB71_822
.LBB71_819:
	s_or_saveexec_b64 s[54:55], s[54:55]
                                        ; implicit-def: $sgpr56
	s_xor_b64 exec, exec, s[54:55]
	s_cbranch_execz .LBB71_703
.LBB71_820:
	s_mov_b32 s56, 0x46000000
	v_add_f32_e64 v3, |v2|, s56
	v_and_b32_e32 v3, 0xff, v3
	v_cmp_ne_u32_e32 vcc, 0, v3
	s_andn2_b64 s[52:53], s[52:53], exec
	s_and_b64 s[58:59], vcc, exec
	s_mov_b32 s56, 0
	s_or_b64 s[52:53], s[52:53], s[58:59]
	s_or_b64 exec, exec, s[54:55]
	v_mov_b32_e32 v6, s56
	s_and_saveexec_b64 s[54:55], s[52:53]
	s_cbranch_execnz .LBB71_704
	s_branch .LBB71_705
.LBB71_821:
	s_mov_b64 s[54:55], -1
                                        ; implicit-def: $vgpr0_vgpr1
	s_mov_b64 s[0:1], 0
.LBB71_822:
	s_and_b64 vcc, exec, s[56:57]
	s_cbranch_vccz .LBB71_826
; %bb.823:
	v_mov_b32_e32 v0, 44
	v_cmp_eq_u16_sdwa s[54:55], v9, v0 src0_sel:BYTE_0 src1_sel:DWORD
	s_and_b64 vcc, exec, s[54:55]
	s_cbranch_vccz .LBB71_825
; %bb.824:
	global_load_ubyte v3, v[6:7], off
	s_movk_i32 s54, 0xff
	v_bfrev_b32_e32 v5, 4
	v_mov_b32_e32 v12, 0x7ff80000
	v_bfrev_b32_e32 v13, 28
	s_mov_b64 s[0:1], -1
	s_waitcnt vmcnt(0)
	v_lshlrev_b32_e32 v0, 23, v3
	v_cvt_f64_f32_e32 v[0:1], v0
	v_cmp_ne_u32_e32 vcc, s54, v3
	v_cndmask_b32_e32 v0, v5, v0, vcc
	v_cndmask_b32_e32 v1, v12, v1, vcc
	v_cmp_ne_u32_e32 vcc, 0, v3
	v_cndmask_b32_e32 v1, v13, v1, vcc
	v_cndmask_b32_e32 v0, 0, v0, vcc
	s_mov_b64 s[54:55], 0
	s_branch .LBB71_826
.LBB71_825:
	s_mov_b64 s[54:55], -1
                                        ; implicit-def: $vgpr0_vgpr1
.LBB71_826:
	s_mov_b64 s[56:57], 0
.LBB71_827:
	s_and_b64 vcc, exec, s[56:57]
	s_cbranch_vccz .LBB71_831
; %bb.828:
	v_mov_b32_e32 v0, 29
	v_cmp_eq_u16_sdwa s[54:55], v9, v0 src0_sel:BYTE_0 src1_sel:DWORD
	s_and_b64 vcc, exec, s[54:55]
	s_cbranch_vccz .LBB71_830
; %bb.829:
	global_load_dwordx2 v[0:1], v[6:7], off
	s_mov_b64 s[0:1], -1
	s_mov_b64 s[54:55], 0
	s_mov_b64 s[56:57], 0
	s_waitcnt vmcnt(0)
	v_cvt_f64_u32_e32 v[12:13], v1
	v_cvt_f64_u32_e32 v[0:1], v0
	v_ldexp_f64 v[12:13], v[12:13], 32
	v_add_f64 v[0:1], v[12:13], v[0:1]
	s_branch .LBB71_832
.LBB71_830:
	s_mov_b64 s[54:55], -1
                                        ; implicit-def: $vgpr0_vgpr1
.LBB71_831:
	s_mov_b64 s[56:57], 0
.LBB71_832:
	s_and_b64 vcc, exec, s[56:57]
	s_cbranch_vccz .LBB71_850
; %bb.833:
	v_mov_b32_e32 v0, 27
	v_cmp_lt_i16_sdwa s[0:1], v9, v0 src0_sel:BYTE_0 src1_sel:DWORD
	s_and_b64 vcc, exec, s[0:1]
	s_cbranch_vccnz .LBB71_836
; %bb.834:
	v_cmp_gt_i16_sdwa s[0:1], v9, v0 src0_sel:BYTE_0 src1_sel:DWORD
	s_and_b64 vcc, exec, s[0:1]
	s_cbranch_vccz .LBB71_837
; %bb.835:
	global_load_dword v0, v[6:7], off
	s_mov_b64 s[0:1], 0
	s_waitcnt vmcnt(0)
	v_cvt_f64_u32_e32 v[0:1], v0
	s_branch .LBB71_838
.LBB71_836:
	s_mov_b64 s[0:1], -1
                                        ; implicit-def: $vgpr0_vgpr1
	s_branch .LBB71_841
.LBB71_837:
	s_mov_b64 s[0:1], -1
                                        ; implicit-def: $vgpr0_vgpr1
.LBB71_838:
	s_andn2_b64 vcc, exec, s[0:1]
	s_cbranch_vccnz .LBB71_840
; %bb.839:
	global_load_ushort v0, v[6:7], off
	s_waitcnt vmcnt(0)
	v_cvt_f64_u32_e32 v[0:1], v0
.LBB71_840:
	s_mov_b64 s[0:1], 0
.LBB71_841:
	s_andn2_b64 vcc, exec, s[0:1]
	s_cbranch_vccnz .LBB71_849
; %bb.842:
	global_load_ubyte v3, v[6:7], off
	s_movk_i32 s0, 0x7f
                                        ; implicit-def: $sgpr56_sgpr57
	s_waitcnt vmcnt(0)
	v_cmp_lt_i16_e32 vcc, s0, v3
	s_mov_b64 s[0:1], 0
	s_and_saveexec_b64 s[58:59], vcc
	s_xor_b64 s[58:59], exec, s[58:59]
	s_cbranch_execz .LBB71_863
; %bb.843:
	s_movk_i32 s0, 0x80
	v_cmp_eq_u16_e32 vcc, s0, v3
	s_mov_b64 s[60:61], -1
                                        ; implicit-def: $sgpr56_sgpr57
	s_and_saveexec_b64 s[0:1], vcc
; %bb.844:
	s_mov_b32 s57, 0x7ff80000
	s_brev_b32 s56, 4
	s_xor_b64 s[60:61], exec, -1
; %bb.845:
	s_or_b64 exec, exec, s[0:1]
	s_and_b64 s[0:1], s[60:61], exec
	s_or_saveexec_b64 s[58:59], s[58:59]
	v_pk_mov_b32 v[0:1], s[56:57], s[56:57] op_sel:[0,1]
	s_xor_b64 exec, exec, s[58:59]
	s_cbranch_execnz .LBB71_864
.LBB71_846:
	s_or_b64 exec, exec, s[58:59]
	s_and_saveexec_b64 s[56:57], s[0:1]
	s_cbranch_execz .LBB71_848
.LBB71_847:
	v_and_b32_e32 v1, 0xffff, v3
	v_lshlrev_b32_e32 v0, 24, v3
	v_and_b32_e32 v3, 7, v1
	v_ffbh_u32_e32 v12, v3
	v_min_u32_e32 v12, 32, v12
	v_subrev_u32_e32 v13, 28, v12
	v_bfe_u32 v5, v1, 3, 4
	v_lshlrev_b32_e32 v1, v13, v1
	v_sub_u32_e32 v12, 29, v12
	v_and_b32_e32 v1, 7, v1
	v_cmp_eq_u32_e32 vcc, 0, v5
	v_cndmask_b32_e32 v5, v5, v12, vcc
	v_cndmask_b32_e32 v1, v3, v1, vcc
	v_mov_b32_e32 v3, 0x3b800000
	v_lshlrev_b32_e32 v1, 20, v1
	v_and_b32_e32 v0, 0x80000000, v0
	v_lshl_add_u32 v3, v5, 23, v3
	v_or3_b32 v0, v0, v3, v1
	v_cvt_f64_f32_e32 v[0:1], v0
.LBB71_848:
	s_or_b64 exec, exec, s[56:57]
.LBB71_849:
	s_mov_b64 s[0:1], -1
.LBB71_850:
	s_mov_b64 s[56:57], 0
.LBB71_851:
	s_and_b64 vcc, exec, s[56:57]
	s_cbranch_vccz .LBB71_886
; %bb.852:
	v_mov_b32_e32 v0, 22
	v_cmp_gt_i16_sdwa s[56:57], v9, v0 src0_sel:BYTE_0 src1_sel:DWORD
	s_and_b64 vcc, exec, s[56:57]
	s_cbranch_vccz .LBB71_862
; %bb.853:
	v_mov_b32_e32 v0, 24
	v_cmp_lt_i16_sdwa s[0:1], v9, v0 src0_sel:BYTE_0 src1_sel:DWORD
	s_and_b64 vcc, exec, s[0:1]
	s_cbranch_vccnz .LBB71_865
; %bb.854:
	v_cmp_gt_i16_sdwa s[0:1], v9, v0 src0_sel:BYTE_0 src1_sel:DWORD
	s_and_b64 vcc, exec, s[0:1]
	s_cbranch_vccz .LBB71_866
; %bb.855:
	global_load_ubyte v3, v[6:7], off
	s_movk_i32 s0, 0x7f
                                        ; implicit-def: $sgpr56_sgpr57
	s_waitcnt vmcnt(0)
	v_cmp_lt_i16_e32 vcc, s0, v3
	s_mov_b64 s[0:1], 0
	s_and_saveexec_b64 s[58:59], vcc
	s_xor_b64 s[58:59], exec, s[58:59]
	s_cbranch_execz .LBB71_878
; %bb.856:
	s_movk_i32 s0, 0x80
	v_cmp_eq_u16_e32 vcc, s0, v3
	s_mov_b64 s[60:61], -1
                                        ; implicit-def: $sgpr56_sgpr57
	s_and_saveexec_b64 s[0:1], vcc
; %bb.857:
	s_mov_b32 s57, 0x7ff80000
	s_brev_b32 s56, 4
	s_xor_b64 s[60:61], exec, -1
; %bb.858:
	s_or_b64 exec, exec, s[0:1]
	s_and_b64 s[0:1], s[60:61], exec
	s_or_saveexec_b64 s[58:59], s[58:59]
	v_pk_mov_b32 v[0:1], s[56:57], s[56:57] op_sel:[0,1]
	s_xor_b64 exec, exec, s[58:59]
	s_cbranch_execnz .LBB71_879
.LBB71_859:
	s_or_b64 exec, exec, s[58:59]
	s_and_saveexec_b64 s[56:57], s[0:1]
	s_cbranch_execz .LBB71_861
.LBB71_860:
	v_and_b32_e32 v1, 0xffff, v3
	v_lshlrev_b32_e32 v0, 24, v3
	v_and_b32_e32 v3, 3, v1
	v_ffbh_u32_e32 v12, v3
	v_min_u32_e32 v12, 32, v12
	v_subrev_u32_e32 v13, 29, v12
	v_bfe_u32 v5, v1, 2, 5
	v_lshlrev_b32_e32 v1, v13, v1
	v_sub_u32_e32 v12, 30, v12
	v_and_b32_e32 v1, 3, v1
	v_cmp_eq_u32_e32 vcc, 0, v5
	v_cndmask_b32_e32 v5, v5, v12, vcc
	v_cndmask_b32_e32 v1, v3, v1, vcc
	v_mov_b32_e32 v3, 0x37800000
	v_lshlrev_b32_e32 v1, 21, v1
	v_and_b32_e32 v0, 0x80000000, v0
	v_lshl_add_u32 v3, v5, 23, v3
	v_or3_b32 v0, v0, v3, v1
	v_cvt_f64_f32_e32 v[0:1], v0
.LBB71_861:
	s_or_b64 exec, exec, s[56:57]
	s_mov_b64 s[0:1], 0
	s_branch .LBB71_867
.LBB71_862:
	s_mov_b64 s[56:57], -1
                                        ; implicit-def: $vgpr0_vgpr1
	s_branch .LBB71_873
.LBB71_863:
	s_or_saveexec_b64 s[58:59], s[58:59]
	v_pk_mov_b32 v[0:1], s[56:57], s[56:57] op_sel:[0,1]
	s_xor_b64 exec, exec, s[58:59]
	s_cbranch_execz .LBB71_846
.LBB71_864:
	v_cmp_ne_u16_e32 vcc, 0, v3
	s_andn2_b64 s[0:1], s[0:1], exec
	s_and_b64 s[56:57], vcc, exec
	v_pk_mov_b32 v[0:1], 0, 0
	s_or_b64 s[0:1], s[0:1], s[56:57]
	s_or_b64 exec, exec, s[58:59]
	s_and_saveexec_b64 s[56:57], s[0:1]
	s_cbranch_execnz .LBB71_847
	s_branch .LBB71_848
.LBB71_865:
	s_mov_b64 s[0:1], -1
                                        ; implicit-def: $vgpr0_vgpr1
	s_branch .LBB71_870
.LBB71_866:
	s_mov_b64 s[0:1], -1
                                        ; implicit-def: $vgpr0_vgpr1
.LBB71_867:
	s_and_b64 vcc, exec, s[0:1]
	s_cbranch_vccz .LBB71_869
; %bb.868:
	global_load_ubyte v0, v[6:7], off
	s_mov_b32 s0, 0x7f800000
	s_waitcnt vmcnt(0)
	v_lshlrev_b32_e32 v0, 24, v0
	v_and_b32_e32 v1, 0x7f000000, v0
	v_ffbh_u32_e32 v3, v1
	v_min_u32_e32 v3, 32, v3
	v_sub_u32_e64 v3, v3, 4 clamp
	v_lshlrev_b32_e32 v12, v3, v1
	v_lshlrev_b32_e32 v3, 23, v3
	v_lshrrev_b32_e32 v12, 4, v12
	v_add_u32_e32 v5, 0x1000000, v1
	v_sub_u32_e32 v3, v12, v3
	v_ashrrev_i32_e32 v5, 8, v5
	v_add_u32_e32 v3, 0x3c000000, v3
	v_and_or_b32 v3, v5, s0, v3
	v_cmp_ne_u32_e32 vcc, 0, v1
	v_cndmask_b32_e32 v1, 0, v3, vcc
	s_brev_b32 s0, 1
	v_and_or_b32 v0, v0, s0, v1
	v_cvt_f64_f32_e32 v[0:1], v0
.LBB71_869:
	s_mov_b64 s[0:1], 0
.LBB71_870:
	s_andn2_b64 vcc, exec, s[0:1]
	s_cbranch_vccnz .LBB71_872
; %bb.871:
	global_load_ubyte v0, v[6:7], off
	s_movk_i32 s0, 0x7f00
	s_brev_b32 s1, 16
	s_waitcnt vmcnt(0)
	v_lshlrev_b16_e32 v1, 8, v0
	v_lshlrev_b32_e32 v0, 25, v0
	v_lshrrev_b32_e32 v3, 4, v0
	v_and_or_b32 v5, v1, s0, 0.5
	v_or_b32_e32 v3, 0x70000000, v3
	v_add_f32_e32 v5, -0.5, v5
	v_mul_f32_e32 v3, 0x7800000, v3
	v_cmp_gt_u32_e32 vcc, s1, v0
	v_bfe_i32 v1, v1, 0, 16
	v_cndmask_b32_e32 v0, v3, v5, vcc
	s_brev_b32 s0, 1
	v_and_or_b32 v0, v1, s0, v0
	v_cvt_f64_f32_e32 v[0:1], v0
.LBB71_872:
	s_mov_b64 s[56:57], 0
	s_mov_b64 s[0:1], -1
.LBB71_873:
	s_andn2_b64 vcc, exec, s[56:57]
	s_cbranch_vccnz .LBB71_886
; %bb.874:
	v_mov_b32_e32 v0, 14
	v_cmp_gt_i16_sdwa s[56:57], v9, v0 src0_sel:BYTE_0 src1_sel:DWORD
	s_and_b64 vcc, exec, s[56:57]
	s_cbranch_vccz .LBB71_877
; %bb.875:
	v_mov_b32_e32 v0, 15
	v_cmp_eq_u16_sdwa s[54:55], v9, v0 src0_sel:BYTE_0 src1_sel:DWORD
	s_and_b64 vcc, exec, s[54:55]
	s_cbranch_vccz .LBB71_880
; %bb.876:
	global_load_ushort v0, v[6:7], off
	s_mov_b64 s[0:1], -1
	s_mov_b64 s[54:55], 0
	s_waitcnt vmcnt(0)
	v_lshlrev_b32_e32 v0, 16, v0
	v_cvt_f64_f32_e32 v[0:1], v0
	s_branch .LBB71_881
.LBB71_877:
	s_mov_b64 s[56:57], -1
                                        ; implicit-def: $vgpr0_vgpr1
	s_branch .LBB71_882
.LBB71_878:
	s_or_saveexec_b64 s[58:59], s[58:59]
	v_pk_mov_b32 v[0:1], s[56:57], s[56:57] op_sel:[0,1]
	s_xor_b64 exec, exec, s[58:59]
	s_cbranch_execz .LBB71_859
.LBB71_879:
	v_cmp_ne_u16_e32 vcc, 0, v3
	s_andn2_b64 s[0:1], s[0:1], exec
	s_and_b64 s[56:57], vcc, exec
	v_pk_mov_b32 v[0:1], 0, 0
	s_or_b64 s[0:1], s[0:1], s[56:57]
	s_or_b64 exec, exec, s[58:59]
	s_and_saveexec_b64 s[56:57], s[0:1]
	s_cbranch_execnz .LBB71_860
	s_branch .LBB71_861
.LBB71_880:
	s_mov_b64 s[54:55], -1
                                        ; implicit-def: $vgpr0_vgpr1
.LBB71_881:
	s_mov_b64 s[56:57], 0
.LBB71_882:
	s_and_b64 vcc, exec, s[56:57]
	s_cbranch_vccz .LBB71_886
; %bb.883:
	v_mov_b32_e32 v0, 11
	v_cmp_eq_u16_sdwa s[54:55], v9, v0 src0_sel:BYTE_0 src1_sel:DWORD
	s_and_b64 vcc, exec, s[54:55]
	s_cbranch_vccz .LBB71_885
; %bb.884:
	global_load_ubyte v1, v[6:7], off
	v_mov_b32_e32 v3, 0x3ff00000
	v_mov_b32_e32 v0, 0
	s_mov_b64 s[0:1], -1
	s_mov_b64 s[54:55], 0
	s_waitcnt vmcnt(0)
	v_cmp_ne_u16_e32 vcc, 0, v1
	v_cndmask_b32_e32 v1, 0, v3, vcc
	s_branch .LBB71_886
.LBB71_885:
	s_mov_b64 s[54:55], -1
                                        ; implicit-def: $vgpr0_vgpr1
.LBB71_886:
	s_mov_b64 s[56:57], 0
.LBB71_887:
	s_and_b64 vcc, exec, s[56:57]
	s_cbranch_vccz .LBB71_936
; %bb.888:
	v_mov_b32_e32 v0, 5
	v_cmp_lt_i16_sdwa s[0:1], v9, v0 src0_sel:BYTE_0 src1_sel:DWORD
	s_and_b64 vcc, exec, s[0:1]
	s_cbranch_vccnz .LBB71_893
; %bb.889:
	v_mov_b32_e32 v0, 8
	v_cmp_lt_i16_sdwa s[0:1], v9, v0 src0_sel:BYTE_0 src1_sel:DWORD
	s_and_b64 vcc, exec, s[0:1]
	s_cbranch_vccnz .LBB71_894
	;; [unrolled: 5-line block ×3, first 2 shown]
; %bb.891:
	v_cmp_gt_i16_sdwa s[0:1], v9, v0 src0_sel:BYTE_0 src1_sel:DWORD
	s_and_b64 vcc, exec, s[0:1]
	s_cbranch_vccz .LBB71_896
; %bb.892:
	global_load_dwordx2 v[0:1], v[6:7], off
	s_mov_b64 s[0:1], 0
	s_branch .LBB71_897
.LBB71_893:
	s_mov_b64 s[0:1], -1
                                        ; implicit-def: $vgpr0_vgpr1
	s_branch .LBB71_915
.LBB71_894:
	s_mov_b64 s[0:1], -1
                                        ; implicit-def: $vgpr0_vgpr1
	s_branch .LBB71_903
.LBB71_895:
	s_mov_b64 s[0:1], -1
                                        ; implicit-def: $vgpr0_vgpr1
	s_branch .LBB71_900
.LBB71_896:
	s_mov_b64 s[0:1], -1
                                        ; implicit-def: $vgpr0_vgpr1
.LBB71_897:
	s_andn2_b64 vcc, exec, s[0:1]
	s_cbranch_vccnz .LBB71_899
; %bb.898:
	global_load_dword v0, v[6:7], off
	s_waitcnt vmcnt(0)
	v_cvt_f64_f32_e32 v[0:1], v0
.LBB71_899:
	s_mov_b64 s[0:1], 0
.LBB71_900:
	s_andn2_b64 vcc, exec, s[0:1]
	s_cbranch_vccnz .LBB71_902
; %bb.901:
	global_load_dword v0, v[6:7], off
	s_waitcnt vmcnt(0)
	v_cvt_f32_f16_e32 v0, v0
	v_cvt_f64_f32_e32 v[0:1], v0
.LBB71_902:
	s_mov_b64 s[0:1], 0
.LBB71_903:
	s_andn2_b64 vcc, exec, s[0:1]
	s_cbranch_vccnz .LBB71_914
; %bb.904:
	s_waitcnt vmcnt(0)
	v_mov_b32_e32 v0, 6
	v_cmp_lt_i16_sdwa s[0:1], v9, v0 src0_sel:BYTE_0 src1_sel:DWORD
	s_and_b64 vcc, exec, s[0:1]
	s_cbranch_vccnz .LBB71_907
; %bb.905:
	v_cmp_gt_i16_sdwa s[0:1], v9, v0 src0_sel:BYTE_0 src1_sel:DWORD
	s_and_b64 vcc, exec, s[0:1]
	s_cbranch_vccz .LBB71_908
; %bb.906:
	global_load_dwordx2 v[0:1], v[6:7], off
	s_mov_b64 s[0:1], 0
	s_branch .LBB71_909
.LBB71_907:
	s_mov_b64 s[0:1], -1
                                        ; implicit-def: $vgpr0_vgpr1
	s_branch .LBB71_912
.LBB71_908:
	s_mov_b64 s[0:1], -1
                                        ; implicit-def: $vgpr0_vgpr1
.LBB71_909:
	s_andn2_b64 vcc, exec, s[0:1]
	s_cbranch_vccnz .LBB71_911
; %bb.910:
	global_load_dword v0, v[6:7], off
	s_waitcnt vmcnt(0)
	v_cvt_f64_f32_e32 v[0:1], v0
.LBB71_911:
	s_mov_b64 s[0:1], 0
.LBB71_912:
	s_andn2_b64 vcc, exec, s[0:1]
	s_cbranch_vccnz .LBB71_914
; %bb.913:
	global_load_ushort v0, v[6:7], off
	s_waitcnt vmcnt(0)
	v_cvt_f32_f16_e32 v0, v0
	v_cvt_f64_f32_e32 v[0:1], v0
.LBB71_914:
	s_mov_b64 s[0:1], 0
.LBB71_915:
	s_andn2_b64 vcc, exec, s[0:1]
	s_cbranch_vccnz .LBB71_935
; %bb.916:
	s_waitcnt vmcnt(0)
	v_mov_b32_e32 v0, 2
	v_cmp_lt_i16_sdwa s[0:1], v9, v0 src0_sel:BYTE_0 src1_sel:DWORD
	s_and_b64 vcc, exec, s[0:1]
	s_cbranch_vccnz .LBB71_920
; %bb.917:
	v_mov_b32_e32 v0, 3
	v_cmp_lt_i16_sdwa s[0:1], v9, v0 src0_sel:BYTE_0 src1_sel:DWORD
	s_and_b64 vcc, exec, s[0:1]
	s_cbranch_vccnz .LBB71_921
; %bb.918:
	v_cmp_gt_i16_sdwa s[0:1], v9, v0 src0_sel:BYTE_0 src1_sel:DWORD
	s_and_b64 vcc, exec, s[0:1]
	s_cbranch_vccz .LBB71_922
; %bb.919:
	global_load_dwordx2 v[0:1], v[6:7], off
	s_mov_b64 s[0:1], 0
	s_waitcnt vmcnt(0)
	v_cvt_f64_i32_e32 v[12:13], v1
	v_cvt_f64_u32_e32 v[0:1], v0
	v_ldexp_f64 v[12:13], v[12:13], 32
	v_add_f64 v[0:1], v[12:13], v[0:1]
	s_branch .LBB71_923
.LBB71_920:
	s_mov_b64 s[0:1], -1
                                        ; implicit-def: $vgpr0_vgpr1
	s_branch .LBB71_929
.LBB71_921:
	s_mov_b64 s[0:1], -1
                                        ; implicit-def: $vgpr0_vgpr1
	s_branch .LBB71_926
.LBB71_922:
	s_mov_b64 s[0:1], -1
                                        ; implicit-def: $vgpr0_vgpr1
.LBB71_923:
	s_andn2_b64 vcc, exec, s[0:1]
	s_cbranch_vccnz .LBB71_925
; %bb.924:
	global_load_dword v0, v[6:7], off
	s_waitcnt vmcnt(0)
	v_cvt_f64_i32_e32 v[0:1], v0
.LBB71_925:
	s_mov_b64 s[0:1], 0
.LBB71_926:
	s_andn2_b64 vcc, exec, s[0:1]
	s_cbranch_vccnz .LBB71_928
; %bb.927:
	global_load_sshort v0, v[6:7], off
	s_waitcnt vmcnt(0)
	v_cvt_f64_i32_e32 v[0:1], v0
.LBB71_928:
	s_mov_b64 s[0:1], 0
.LBB71_929:
	s_andn2_b64 vcc, exec, s[0:1]
	s_cbranch_vccnz .LBB71_935
; %bb.930:
	v_mov_b32_e32 v0, 0
	v_cmp_gt_i16_sdwa s[0:1], v9, v0 src0_sel:BYTE_0 src1_sel:DWORD
	s_and_b64 vcc, exec, s[0:1]
	s_cbranch_vccz .LBB71_932
; %bb.931:
	global_load_sbyte v0, v[6:7], off
	s_mov_b64 s[0:1], 0
	s_waitcnt vmcnt(0)
	v_cvt_f64_i32_e32 v[0:1], v0
	s_branch .LBB71_933
.LBB71_932:
	s_mov_b64 s[0:1], -1
                                        ; implicit-def: $vgpr0_vgpr1
.LBB71_933:
	s_andn2_b64 vcc, exec, s[0:1]
	s_cbranch_vccnz .LBB71_935
; %bb.934:
	global_load_ubyte v0, v[6:7], off
	s_waitcnt vmcnt(0)
	v_cvt_f64_u32_e32 v[0:1], v0
.LBB71_935:
	s_mov_b64 s[0:1], -1
.LBB71_936:
	s_andn2_b64 vcc, exec, s[0:1]
	s_cbranch_vccnz .LBB71_944
; %bb.937:
	v_mov_b32_e32 v3, s25
	v_add_co_u32_e32 v4, vcc, s24, v4
	v_addc_co_u32_e32 v5, vcc, 0, v3, vcc
	v_mov_b32_e32 v3, 11
	v_cmp_lt_i16_sdwa s[0:1], v11, v3 src0_sel:BYTE_0 src1_sel:DWORD
	s_and_b64 vcc, exec, s[0:1]
	s_cbranch_vccnz .LBB71_946
; %bb.938:
	v_mov_b32_e32 v3, 25
	v_cmp_gt_i16_sdwa s[0:1], v11, v3 src0_sel:BYTE_0 src1_sel:DWORD
	s_and_b64 vcc, exec, s[0:1]
	s_cbranch_vccz .LBB71_947
; %bb.939:
	v_mov_b32_e32 v3, 28
	v_cmp_gt_i16_sdwa s[0:1], v11, v3 src0_sel:BYTE_0 src1_sel:DWORD
	s_and_b64 vcc, exec, s[0:1]
	s_cbranch_vccz .LBB71_948
; %bb.940:
	v_mov_b32_e32 v3, 43
	v_cmp_gt_i16_sdwa s[0:1], v11, v3 src0_sel:BYTE_0 src1_sel:DWORD
	s_and_b64 vcc, exec, s[0:1]
	s_cbranch_vccz .LBB71_949
; %bb.941:
	v_mov_b32_e32 v3, 45
	v_cmp_gt_i16_sdwa s[0:1], v11, v3 src0_sel:BYTE_0 src1_sel:DWORD
	s_and_b64 vcc, exec, s[0:1]
	s_cbranch_vccz .LBB71_950
; %bb.942:
	v_mov_b32_e32 v3, 46
	v_cmp_eq_u16_sdwa s[0:1], v11, v3 src0_sel:BYTE_0 src1_sel:DWORD
	s_mov_b64 s[58:59], 0
	s_and_b64 vcc, exec, s[0:1]
	s_cbranch_vccz .LBB71_953
; %bb.943:
	global_load_dword v3, v[4:5], off
	s_mov_b64 s[0:1], -1
	s_mov_b64 s[56:57], 0
	s_waitcnt vmcnt(0)
	v_lshlrev_b32_e32 v3, 16, v3
	v_cvt_f64_f32_e32 v[6:7], v3
	s_branch .LBB71_954
.LBB71_944:
	s_mov_b64 s[60:61], 0
	s_mov_b64 s[0:1], s[48:49]
	;; [unrolled: 1-line block ×3, first 2 shown]
.LBB71_945:
                                        ; implicit-def: $vgpr8
	s_branch .LBB71_1192
.LBB71_946:
	s_mov_b64 s[58:59], -1
	s_mov_b64 s[0:1], 0
                                        ; implicit-def: $vgpr6_vgpr7
	s_mov_b64 s[56:57], s[46:47]
	s_branch .LBB71_1019
.LBB71_947:
	s_mov_b64 s[58:59], -1
	s_mov_b64 s[0:1], 0
	s_mov_b64 s[56:57], s[46:47]
                                        ; implicit-def: $vgpr6_vgpr7
	s_branch .LBB71_983
.LBB71_948:
	s_mov_b64 s[58:59], -1
	s_mov_b64 s[0:1], 0
	s_mov_b64 s[56:57], s[46:47]
                                        ; implicit-def: $vgpr6_vgpr7
	s_branch .LBB71_964
.LBB71_949:
	s_mov_b64 s[58:59], -1
	s_mov_b64 s[0:1], 0
	s_mov_b64 s[56:57], s[46:47]
                                        ; implicit-def: $vgpr6_vgpr7
	s_branch .LBB71_959
.LBB71_950:
	s_mov_b64 s[58:59], -1
	s_mov_b64 s[0:1], 0
	s_mov_b64 s[56:57], s[46:47]
                                        ; implicit-def: $vgpr6_vgpr7
	s_branch .LBB71_954
.LBB71_951:
	s_or_saveexec_b64 s[54:55], s[54:55]
                                        ; implicit-def: $sgpr56
	s_xor_b64 exec, exec, s[54:55]
	s_cbranch_execz .LBB71_716
.LBB71_952:
	s_mov_b32 s56, 0x42800000
	v_add_f32_e64 v3, |v2|, s56
	v_and_b32_e32 v3, 0xff, v3
	v_cmp_ne_u32_e32 vcc, 0, v3
	s_andn2_b64 s[52:53], s[52:53], exec
	s_and_b64 s[58:59], vcc, exec
	s_mov_b32 s56, 0
	s_or_b64 s[52:53], s[52:53], s[58:59]
	s_or_b64 exec, exec, s[54:55]
	v_mov_b32_e32 v6, s56
	s_and_saveexec_b64 s[54:55], s[52:53]
	s_cbranch_execnz .LBB71_717
	s_branch .LBB71_718
.LBB71_953:
	s_mov_b64 s[56:57], -1
                                        ; implicit-def: $vgpr6_vgpr7
	s_mov_b64 s[0:1], 0
.LBB71_954:
	s_and_b64 vcc, exec, s[58:59]
	s_cbranch_vccz .LBB71_958
; %bb.955:
	v_mov_b32_e32 v3, 44
	v_cmp_eq_u16_sdwa s[56:57], v11, v3 src0_sel:BYTE_0 src1_sel:DWORD
	s_and_b64 vcc, exec, s[56:57]
	s_cbranch_vccz .LBB71_957
; %bb.956:
	global_load_ubyte v3, v[4:5], off
	s_movk_i32 s56, 0xff
	v_mov_b32_e32 v12, 0x7ff80000
	v_bfrev_b32_e32 v13, 28
	s_mov_b64 s[0:1], -1
	s_waitcnt vmcnt(0)
	v_lshlrev_b32_e32 v6, 23, v3
	v_cvt_f64_f32_e32 v[6:7], v6
	v_cmp_ne_u32_e32 vcc, s56, v3
	v_cndmask_b32_e32 v6, v12, v7, vcc
	v_cmp_ne_u32_e32 vcc, 0, v3
	v_cndmask_b32_e32 v7, v13, v6, vcc
	s_mov_b64 s[56:57], 0
	s_branch .LBB71_958
.LBB71_957:
	s_mov_b64 s[56:57], -1
                                        ; implicit-def: $vgpr6_vgpr7
.LBB71_958:
	s_mov_b64 s[58:59], 0
.LBB71_959:
	s_and_b64 vcc, exec, s[58:59]
	s_cbranch_vccz .LBB71_963
; %bb.960:
	v_mov_b32_e32 v3, 29
	v_cmp_eq_u16_sdwa s[56:57], v11, v3 src0_sel:BYTE_0 src1_sel:DWORD
	s_and_b64 vcc, exec, s[56:57]
	s_cbranch_vccz .LBB71_962
; %bb.961:
	global_load_dwordx2 v[6:7], v[4:5], off
	s_mov_b64 s[0:1], -1
	s_mov_b64 s[56:57], 0
	s_mov_b64 s[58:59], 0
	s_waitcnt vmcnt(0)
	v_cvt_f64_u32_e32 v[12:13], v7
	v_cvt_f64_u32_e32 v[6:7], v6
	v_ldexp_f64 v[12:13], v[12:13], 32
	v_add_f64 v[6:7], v[12:13], v[6:7]
	s_branch .LBB71_964
.LBB71_962:
	s_mov_b64 s[56:57], -1
                                        ; implicit-def: $vgpr6_vgpr7
.LBB71_963:
	s_mov_b64 s[58:59], 0
.LBB71_964:
	s_and_b64 vcc, exec, s[58:59]
	s_cbranch_vccz .LBB71_982
; %bb.965:
	v_mov_b32_e32 v3, 27
	v_cmp_lt_i16_sdwa s[0:1], v11, v3 src0_sel:BYTE_0 src1_sel:DWORD
	s_and_b64 vcc, exec, s[0:1]
	s_cbranch_vccnz .LBB71_968
; %bb.966:
	v_cmp_gt_i16_sdwa s[0:1], v11, v3 src0_sel:BYTE_0 src1_sel:DWORD
	s_and_b64 vcc, exec, s[0:1]
	s_cbranch_vccz .LBB71_969
; %bb.967:
	global_load_dword v3, v[4:5], off
	s_mov_b64 s[0:1], 0
	s_waitcnt vmcnt(0)
	v_cvt_f64_u32_e32 v[6:7], v3
	s_branch .LBB71_970
.LBB71_968:
	s_mov_b64 s[0:1], -1
                                        ; implicit-def: $vgpr6_vgpr7
	s_branch .LBB71_973
.LBB71_969:
	s_mov_b64 s[0:1], -1
                                        ; implicit-def: $vgpr6_vgpr7
.LBB71_970:
	s_andn2_b64 vcc, exec, s[0:1]
	s_cbranch_vccnz .LBB71_972
; %bb.971:
	global_load_ushort v3, v[4:5], off
	s_waitcnt vmcnt(0)
	v_cvt_f64_u32_e32 v[6:7], v3
.LBB71_972:
	s_mov_b64 s[0:1], 0
.LBB71_973:
	s_andn2_b64 vcc, exec, s[0:1]
	s_cbranch_vccnz .LBB71_981
; %bb.974:
	global_load_ubyte v3, v[4:5], off
	s_movk_i32 s0, 0x7f
                                        ; implicit-def: $sgpr58_sgpr59
	s_waitcnt vmcnt(0)
	v_cmp_lt_i16_e32 vcc, s0, v3
	s_mov_b64 s[0:1], 0
	s_and_saveexec_b64 s[60:61], vcc
	s_xor_b64 s[60:61], exec, s[60:61]
	s_cbranch_execz .LBB71_995
; %bb.975:
	s_movk_i32 s0, 0x80
	v_cmp_eq_u16_e32 vcc, s0, v3
	s_mov_b64 s[62:63], -1
                                        ; implicit-def: $sgpr58_sgpr59
	s_and_saveexec_b64 s[0:1], vcc
; %bb.976:
	s_mov_b32 s59, 0x7ff80000
	s_brev_b32 s58, 4
	s_xor_b64 s[62:63], exec, -1
; %bb.977:
	s_or_b64 exec, exec, s[0:1]
	s_and_b64 s[0:1], s[62:63], exec
	s_or_saveexec_b64 s[60:61], s[60:61]
	v_pk_mov_b32 v[6:7], s[58:59], s[58:59] op_sel:[0,1]
	s_xor_b64 exec, exec, s[60:61]
	s_cbranch_execnz .LBB71_996
.LBB71_978:
	s_or_b64 exec, exec, s[60:61]
	s_and_saveexec_b64 s[58:59], s[0:1]
	s_cbranch_execz .LBB71_980
.LBB71_979:
	v_lshlrev_b32_e32 v6, 24, v3
	v_and_b32_e32 v3, 0xffff, v3
	v_and_b32_e32 v7, 7, v3
	v_ffbh_u32_e32 v13, v7
	v_min_u32_e32 v13, 32, v13
	v_subrev_u32_e32 v14, 28, v13
	v_bfe_u32 v12, v3, 3, 4
	v_lshlrev_b32_e32 v3, v14, v3
	v_sub_u32_e32 v13, 29, v13
	v_and_b32_e32 v3, 7, v3
	v_cmp_eq_u32_e32 vcc, 0, v12
	v_cndmask_b32_e32 v12, v12, v13, vcc
	v_cndmask_b32_e32 v3, v7, v3, vcc
	v_mov_b32_e32 v7, 0x3b800000
	v_lshlrev_b32_e32 v3, 20, v3
	v_and_b32_e32 v6, 0x80000000, v6
	v_lshl_add_u32 v7, v12, 23, v7
	v_or3_b32 v3, v6, v7, v3
	v_cvt_f64_f32_e32 v[6:7], v3
.LBB71_980:
	s_or_b64 exec, exec, s[58:59]
.LBB71_981:
	s_mov_b64 s[0:1], -1
.LBB71_982:
	s_mov_b64 s[58:59], 0
.LBB71_983:
	s_and_b64 vcc, exec, s[58:59]
	s_cbranch_vccz .LBB71_1018
; %bb.984:
	v_mov_b32_e32 v3, 22
	v_cmp_gt_i16_sdwa s[58:59], v11, v3 src0_sel:BYTE_0 src1_sel:DWORD
	s_and_b64 vcc, exec, s[58:59]
	s_cbranch_vccz .LBB71_994
; %bb.985:
	v_mov_b32_e32 v3, 24
	v_cmp_lt_i16_sdwa s[0:1], v11, v3 src0_sel:BYTE_0 src1_sel:DWORD
	s_and_b64 vcc, exec, s[0:1]
	s_cbranch_vccnz .LBB71_997
; %bb.986:
	v_cmp_gt_i16_sdwa s[0:1], v11, v3 src0_sel:BYTE_0 src1_sel:DWORD
	s_and_b64 vcc, exec, s[0:1]
	s_cbranch_vccz .LBB71_998
; %bb.987:
	global_load_ubyte v3, v[4:5], off
	s_movk_i32 s0, 0x7f
                                        ; implicit-def: $sgpr58_sgpr59
	s_waitcnt vmcnt(0)
	v_cmp_lt_i16_e32 vcc, s0, v3
	s_mov_b64 s[0:1], 0
	s_and_saveexec_b64 s[60:61], vcc
	s_xor_b64 s[60:61], exec, s[60:61]
	s_cbranch_execz .LBB71_1010
; %bb.988:
	s_movk_i32 s0, 0x80
	v_cmp_eq_u16_e32 vcc, s0, v3
	s_mov_b64 s[62:63], -1
                                        ; implicit-def: $sgpr58_sgpr59
	s_and_saveexec_b64 s[0:1], vcc
; %bb.989:
	s_mov_b32 s59, 0x7ff80000
	s_brev_b32 s58, 4
	s_xor_b64 s[62:63], exec, -1
; %bb.990:
	s_or_b64 exec, exec, s[0:1]
	s_and_b64 s[0:1], s[62:63], exec
	s_or_saveexec_b64 s[60:61], s[60:61]
	v_pk_mov_b32 v[6:7], s[58:59], s[58:59] op_sel:[0,1]
	s_xor_b64 exec, exec, s[60:61]
	s_cbranch_execnz .LBB71_1011
.LBB71_991:
	s_or_b64 exec, exec, s[60:61]
	s_and_saveexec_b64 s[58:59], s[0:1]
	s_cbranch_execz .LBB71_993
.LBB71_992:
	v_lshlrev_b32_e32 v6, 24, v3
	v_and_b32_e32 v3, 0xffff, v3
	v_and_b32_e32 v7, 3, v3
	v_ffbh_u32_e32 v13, v7
	v_min_u32_e32 v13, 32, v13
	v_subrev_u32_e32 v14, 29, v13
	v_bfe_u32 v12, v3, 2, 5
	v_lshlrev_b32_e32 v3, v14, v3
	v_sub_u32_e32 v13, 30, v13
	v_and_b32_e32 v3, 3, v3
	v_cmp_eq_u32_e32 vcc, 0, v12
	v_cndmask_b32_e32 v12, v12, v13, vcc
	v_cndmask_b32_e32 v3, v7, v3, vcc
	v_mov_b32_e32 v7, 0x37800000
	v_lshlrev_b32_e32 v3, 21, v3
	v_and_b32_e32 v6, 0x80000000, v6
	v_lshl_add_u32 v7, v12, 23, v7
	v_or3_b32 v3, v6, v7, v3
	v_cvt_f64_f32_e32 v[6:7], v3
.LBB71_993:
	s_or_b64 exec, exec, s[58:59]
	s_mov_b64 s[0:1], 0
	s_branch .LBB71_999
.LBB71_994:
	s_mov_b64 s[58:59], -1
                                        ; implicit-def: $vgpr6_vgpr7
	s_branch .LBB71_1005
.LBB71_995:
	s_or_saveexec_b64 s[60:61], s[60:61]
	v_pk_mov_b32 v[6:7], s[58:59], s[58:59] op_sel:[0,1]
	s_xor_b64 exec, exec, s[60:61]
	s_cbranch_execz .LBB71_978
.LBB71_996:
	v_cmp_ne_u16_e32 vcc, 0, v3
	s_andn2_b64 s[0:1], s[0:1], exec
	s_and_b64 s[58:59], vcc, exec
	v_pk_mov_b32 v[6:7], 0, 0
	s_or_b64 s[0:1], s[0:1], s[58:59]
	s_or_b64 exec, exec, s[60:61]
	s_and_saveexec_b64 s[58:59], s[0:1]
	s_cbranch_execnz .LBB71_979
	s_branch .LBB71_980
.LBB71_997:
	s_mov_b64 s[0:1], -1
                                        ; implicit-def: $vgpr6_vgpr7
	s_branch .LBB71_1002
.LBB71_998:
	s_mov_b64 s[0:1], -1
                                        ; implicit-def: $vgpr6_vgpr7
.LBB71_999:
	s_and_b64 vcc, exec, s[0:1]
	s_cbranch_vccz .LBB71_1001
; %bb.1000:
	global_load_ubyte v3, v[4:5], off
	s_mov_b32 s0, 0x7f800000
	s_waitcnt vmcnt(0)
	v_lshlrev_b32_e32 v3, 24, v3
	v_and_b32_e32 v6, 0x7f000000, v3
	v_ffbh_u32_e32 v7, v6
	v_min_u32_e32 v7, 32, v7
	v_sub_u32_e64 v7, v7, 4 clamp
	v_lshlrev_b32_e32 v13, v7, v6
	v_lshlrev_b32_e32 v7, 23, v7
	v_lshrrev_b32_e32 v13, 4, v13
	v_add_u32_e32 v12, 0x1000000, v6
	v_sub_u32_e32 v7, v13, v7
	v_ashrrev_i32_e32 v12, 8, v12
	v_add_u32_e32 v7, 0x3c000000, v7
	v_and_or_b32 v7, v12, s0, v7
	v_cmp_ne_u32_e32 vcc, 0, v6
	v_cndmask_b32_e32 v6, 0, v7, vcc
	s_brev_b32 s0, 1
	v_and_or_b32 v3, v3, s0, v6
	v_cvt_f64_f32_e32 v[6:7], v3
.LBB71_1001:
	s_mov_b64 s[0:1], 0
.LBB71_1002:
	s_andn2_b64 vcc, exec, s[0:1]
	s_cbranch_vccnz .LBB71_1004
; %bb.1003:
	global_load_ubyte v3, v[4:5], off
	s_movk_i32 s0, 0x7f00
	s_brev_b32 s1, 16
	s_waitcnt vmcnt(0)
	v_lshlrev_b16_e32 v6, 8, v3
	v_lshlrev_b32_e32 v3, 25, v3
	v_lshrrev_b32_e32 v7, 4, v3
	v_and_or_b32 v12, v6, s0, 0.5
	v_or_b32_e32 v7, 0x70000000, v7
	v_add_f32_e32 v12, -0.5, v12
	v_mul_f32_e32 v7, 0x7800000, v7
	v_cmp_gt_u32_e32 vcc, s1, v3
	v_bfe_i32 v6, v6, 0, 16
	v_cndmask_b32_e32 v3, v7, v12, vcc
	s_brev_b32 s0, 1
	v_and_or_b32 v3, v6, s0, v3
	v_cvt_f64_f32_e32 v[6:7], v3
.LBB71_1004:
	s_mov_b64 s[58:59], 0
	s_mov_b64 s[0:1], -1
.LBB71_1005:
	s_andn2_b64 vcc, exec, s[58:59]
	s_cbranch_vccnz .LBB71_1018
; %bb.1006:
	v_mov_b32_e32 v3, 14
	v_cmp_gt_i16_sdwa s[58:59], v11, v3 src0_sel:BYTE_0 src1_sel:DWORD
	s_and_b64 vcc, exec, s[58:59]
	s_cbranch_vccz .LBB71_1009
; %bb.1007:
	v_mov_b32_e32 v3, 15
	v_cmp_eq_u16_sdwa s[56:57], v11, v3 src0_sel:BYTE_0 src1_sel:DWORD
	s_and_b64 vcc, exec, s[56:57]
	s_cbranch_vccz .LBB71_1012
; %bb.1008:
	global_load_ushort v3, v[4:5], off
	s_mov_b64 s[0:1], -1
	s_mov_b64 s[56:57], 0
	s_waitcnt vmcnt(0)
	v_lshlrev_b32_e32 v3, 16, v3
	v_cvt_f64_f32_e32 v[6:7], v3
	s_branch .LBB71_1013
.LBB71_1009:
	s_mov_b64 s[58:59], -1
                                        ; implicit-def: $vgpr6_vgpr7
	s_branch .LBB71_1014
.LBB71_1010:
	s_or_saveexec_b64 s[60:61], s[60:61]
	v_pk_mov_b32 v[6:7], s[58:59], s[58:59] op_sel:[0,1]
	s_xor_b64 exec, exec, s[60:61]
	s_cbranch_execz .LBB71_991
.LBB71_1011:
	v_cmp_ne_u16_e32 vcc, 0, v3
	s_andn2_b64 s[0:1], s[0:1], exec
	s_and_b64 s[58:59], vcc, exec
	v_pk_mov_b32 v[6:7], 0, 0
	s_or_b64 s[0:1], s[0:1], s[58:59]
	s_or_b64 exec, exec, s[60:61]
	s_and_saveexec_b64 s[58:59], s[0:1]
	s_cbranch_execnz .LBB71_992
	s_branch .LBB71_993
.LBB71_1012:
	s_mov_b64 s[56:57], -1
                                        ; implicit-def: $vgpr6_vgpr7
.LBB71_1013:
	s_mov_b64 s[58:59], 0
.LBB71_1014:
	s_and_b64 vcc, exec, s[58:59]
	s_cbranch_vccz .LBB71_1018
; %bb.1015:
	v_mov_b32_e32 v3, 11
	v_cmp_eq_u16_sdwa s[56:57], v11, v3 src0_sel:BYTE_0 src1_sel:DWORD
	s_and_b64 vcc, exec, s[56:57]
	s_cbranch_vccz .LBB71_1017
; %bb.1016:
	global_load_ubyte v3, v[4:5], off
	v_mov_b32_e32 v6, 0x3ff00000
	s_mov_b64 s[0:1], -1
	s_mov_b64 s[56:57], 0
	s_waitcnt vmcnt(0)
	v_cmp_ne_u16_e32 vcc, 0, v3
	v_cndmask_b32_e32 v7, 0, v6, vcc
	s_branch .LBB71_1018
.LBB71_1017:
	s_mov_b64 s[56:57], -1
                                        ; implicit-def: $vgpr6_vgpr7
.LBB71_1018:
	s_mov_b64 s[58:59], 0
.LBB71_1019:
	s_and_b64 vcc, exec, s[58:59]
	s_cbranch_vccz .LBB71_1068
; %bb.1020:
	v_mov_b32_e32 v3, 5
	v_cmp_lt_i16_sdwa s[0:1], v11, v3 src0_sel:BYTE_0 src1_sel:DWORD
	s_and_b64 vcc, exec, s[0:1]
	s_cbranch_vccnz .LBB71_1025
; %bb.1021:
	v_mov_b32_e32 v3, 8
	v_cmp_lt_i16_sdwa s[0:1], v11, v3 src0_sel:BYTE_0 src1_sel:DWORD
	s_and_b64 vcc, exec, s[0:1]
	s_cbranch_vccnz .LBB71_1026
	;; [unrolled: 5-line block ×3, first 2 shown]
; %bb.1023:
	v_cmp_gt_i16_sdwa s[0:1], v11, v3 src0_sel:BYTE_0 src1_sel:DWORD
	s_and_b64 vcc, exec, s[0:1]
	s_cbranch_vccz .LBB71_1028
; %bb.1024:
	global_load_dwordx2 v[6:7], v[4:5], off
	s_mov_b64 s[0:1], 0
	s_branch .LBB71_1029
.LBB71_1025:
	s_mov_b64 s[0:1], -1
                                        ; implicit-def: $vgpr6_vgpr7
	s_branch .LBB71_1047
.LBB71_1026:
	s_mov_b64 s[0:1], -1
                                        ; implicit-def: $vgpr6_vgpr7
	s_branch .LBB71_1035
.LBB71_1027:
	s_mov_b64 s[0:1], -1
                                        ; implicit-def: $vgpr6_vgpr7
	s_branch .LBB71_1032
.LBB71_1028:
	s_mov_b64 s[0:1], -1
                                        ; implicit-def: $vgpr6_vgpr7
.LBB71_1029:
	s_andn2_b64 vcc, exec, s[0:1]
	s_cbranch_vccnz .LBB71_1031
; %bb.1030:
	global_load_dword v3, v[4:5], off
	s_waitcnt vmcnt(0)
	v_cvt_f64_f32_e32 v[6:7], v3
.LBB71_1031:
	s_mov_b64 s[0:1], 0
.LBB71_1032:
	s_andn2_b64 vcc, exec, s[0:1]
	s_cbranch_vccnz .LBB71_1034
; %bb.1033:
	global_load_dword v3, v[4:5], off
	s_waitcnt vmcnt(0)
	v_cvt_f32_f16_e32 v3, v3
	v_cvt_f64_f32_e32 v[6:7], v3
.LBB71_1034:
	s_mov_b64 s[0:1], 0
.LBB71_1035:
	s_andn2_b64 vcc, exec, s[0:1]
	s_cbranch_vccnz .LBB71_1046
; %bb.1036:
	v_mov_b32_e32 v3, 6
	v_cmp_lt_i16_sdwa s[0:1], v11, v3 src0_sel:BYTE_0 src1_sel:DWORD
	s_and_b64 vcc, exec, s[0:1]
	s_cbranch_vccnz .LBB71_1039
; %bb.1037:
	v_cmp_gt_i16_sdwa s[0:1], v11, v3 src0_sel:BYTE_0 src1_sel:DWORD
	s_and_b64 vcc, exec, s[0:1]
	s_cbranch_vccz .LBB71_1040
; %bb.1038:
	global_load_dwordx2 v[6:7], v[4:5], off
	s_mov_b64 s[0:1], 0
	s_branch .LBB71_1041
.LBB71_1039:
	s_mov_b64 s[0:1], -1
                                        ; implicit-def: $vgpr6_vgpr7
	s_branch .LBB71_1044
.LBB71_1040:
	s_mov_b64 s[0:1], -1
                                        ; implicit-def: $vgpr6_vgpr7
.LBB71_1041:
	s_andn2_b64 vcc, exec, s[0:1]
	s_cbranch_vccnz .LBB71_1043
; %bb.1042:
	global_load_dword v3, v[4:5], off
	s_waitcnt vmcnt(0)
	v_cvt_f64_f32_e32 v[6:7], v3
.LBB71_1043:
	s_mov_b64 s[0:1], 0
.LBB71_1044:
	s_andn2_b64 vcc, exec, s[0:1]
	s_cbranch_vccnz .LBB71_1046
; %bb.1045:
	global_load_ushort v3, v[4:5], off
	s_waitcnt vmcnt(0)
	v_cvt_f32_f16_e32 v3, v3
	v_cvt_f64_f32_e32 v[6:7], v3
.LBB71_1046:
	s_mov_b64 s[0:1], 0
.LBB71_1047:
	s_andn2_b64 vcc, exec, s[0:1]
	s_cbranch_vccnz .LBB71_1067
; %bb.1048:
	v_mov_b32_e32 v3, 2
	v_cmp_lt_i16_sdwa s[0:1], v11, v3 src0_sel:BYTE_0 src1_sel:DWORD
	s_and_b64 vcc, exec, s[0:1]
	s_cbranch_vccnz .LBB71_1052
; %bb.1049:
	v_mov_b32_e32 v3, 3
	v_cmp_lt_i16_sdwa s[0:1], v11, v3 src0_sel:BYTE_0 src1_sel:DWORD
	s_and_b64 vcc, exec, s[0:1]
	s_cbranch_vccnz .LBB71_1053
; %bb.1050:
	v_cmp_gt_i16_sdwa s[0:1], v11, v3 src0_sel:BYTE_0 src1_sel:DWORD
	s_and_b64 vcc, exec, s[0:1]
	s_cbranch_vccz .LBB71_1054
; %bb.1051:
	global_load_dwordx2 v[6:7], v[4:5], off
	s_mov_b64 s[0:1], 0
	s_waitcnt vmcnt(0)
	v_cvt_f64_i32_e32 v[12:13], v7
	v_cvt_f64_u32_e32 v[6:7], v6
	v_ldexp_f64 v[12:13], v[12:13], 32
	v_add_f64 v[6:7], v[12:13], v[6:7]
	s_branch .LBB71_1055
.LBB71_1052:
	s_mov_b64 s[0:1], -1
                                        ; implicit-def: $vgpr6_vgpr7
	s_branch .LBB71_1061
.LBB71_1053:
	s_mov_b64 s[0:1], -1
                                        ; implicit-def: $vgpr6_vgpr7
	s_branch .LBB71_1058
.LBB71_1054:
	s_mov_b64 s[0:1], -1
                                        ; implicit-def: $vgpr6_vgpr7
.LBB71_1055:
	s_andn2_b64 vcc, exec, s[0:1]
	s_cbranch_vccnz .LBB71_1057
; %bb.1056:
	global_load_dword v3, v[4:5], off
	s_waitcnt vmcnt(0)
	v_cvt_f64_i32_e32 v[6:7], v3
.LBB71_1057:
	s_mov_b64 s[0:1], 0
.LBB71_1058:
	s_andn2_b64 vcc, exec, s[0:1]
	s_cbranch_vccnz .LBB71_1060
; %bb.1059:
	global_load_sshort v3, v[4:5], off
	s_waitcnt vmcnt(0)
	v_cvt_f64_i32_e32 v[6:7], v3
.LBB71_1060:
	s_mov_b64 s[0:1], 0
.LBB71_1061:
	s_andn2_b64 vcc, exec, s[0:1]
	s_cbranch_vccnz .LBB71_1067
; %bb.1062:
	v_mov_b32_e32 v3, 0
	v_cmp_gt_i16_sdwa s[0:1], v11, v3 src0_sel:BYTE_0 src1_sel:DWORD
	s_and_b64 vcc, exec, s[0:1]
	s_cbranch_vccz .LBB71_1064
; %bb.1063:
	global_load_sbyte v3, v[4:5], off
	s_mov_b64 s[0:1], 0
	s_waitcnt vmcnt(0)
	v_cvt_f64_i32_e32 v[6:7], v3
	s_branch .LBB71_1065
.LBB71_1064:
	s_mov_b64 s[0:1], -1
                                        ; implicit-def: $vgpr6_vgpr7
.LBB71_1065:
	s_andn2_b64 vcc, exec, s[0:1]
	s_cbranch_vccnz .LBB71_1067
; %bb.1066:
	global_load_ubyte v3, v[4:5], off
	s_waitcnt vmcnt(0)
	v_cvt_f64_u32_e32 v[6:7], v3
.LBB71_1067:
	s_mov_b64 s[0:1], -1
.LBB71_1068:
	s_andn2_b64 vcc, exec, s[0:1]
	s_cbranch_vccnz .LBB71_1076
; %bb.1069:
	s_brev_b32 s0, -2
	v_mov_b32_e32 v3, s9
	v_add_co_u32_e32 v4, vcc, s8, v2
	v_mov_b32_e32 v2, 11
	s_waitcnt vmcnt(0)
	v_bfi_b32 v1, s0, v1, v7
	v_addc_co_u32_e32 v5, vcc, 0, v3, vcc
	v_cmp_lt_i16_sdwa s[0:1], v10, v2 src0_sel:BYTE_0 src1_sel:DWORD
	s_and_b64 vcc, exec, s[0:1]
	s_cbranch_vccnz .LBB71_1077
; %bb.1070:
	v_mov_b32_e32 v2, 25
	v_cmp_gt_i16_sdwa s[0:1], v10, v2 src0_sel:BYTE_0 src1_sel:DWORD
	s_and_b64 vcc, exec, s[0:1]
	s_cbranch_vccz .LBB71_1078
; %bb.1071:
	v_mov_b32_e32 v2, 28
	v_cmp_gt_i16_sdwa s[0:1], v10, v2 src0_sel:BYTE_0 src1_sel:DWORD
	s_and_b64 vcc, exec, s[0:1]
	s_cbranch_vccz .LBB71_1079
	;; [unrolled: 5-line block ×4, first 2 shown]
; %bb.1074:
	v_mov_b32_e32 v2, 46
	v_cmp_eq_u16_sdwa s[58:59], v10, v2 src0_sel:BYTE_0 src1_sel:DWORD
	s_mov_b64 s[60:61], 0
	s_mov_b64 s[0:1], -1
	s_and_b64 vcc, exec, s[58:59]
	s_mov_b64 s[58:59], 0
	s_cbranch_vccz .LBB71_1082
; %bb.1075:
	v_cvt_f32_f64_e32 v2, v[0:1]
	v_bfe_u32 v3, v2, 16, 1
	s_movk_i32 s0, 0x7fff
	v_add3_u32 v3, v2, v3, s0
	v_lshrrev_b32_e32 v3, 16, v3
	v_mov_b32_e32 v6, 0x7fc0
	v_cmp_o_f32_e32 vcc, v2, v2
	v_cndmask_b32_e32 v2, v6, v3, vcc
	global_store_dword v[4:5], v2, off
	s_mov_b64 s[58:59], -1
	s_mov_b64 s[0:1], 0
	s_branch .LBB71_1082
.LBB71_1076:
	s_mov_b64 s[60:61], 0
                                        ; implicit-def: $vgpr8
	s_mov_b64 s[0:1], s[48:49]
	s_branch .LBB71_1192
.LBB71_1077:
	s_mov_b64 s[60:61], -1
	s_mov_b64 s[58:59], 0
	s_mov_b64 s[0:1], s[48:49]
	s_branch .LBB71_1151
.LBB71_1078:
	s_mov_b64 s[60:61], -1
	s_mov_b64 s[58:59], 0
	s_mov_b64 s[0:1], s[48:49]
	s_branch .LBB71_1109
.LBB71_1079:
	s_mov_b64 s[60:61], -1
	s_mov_b64 s[58:59], 0
	s_mov_b64 s[0:1], s[48:49]
	s_branch .LBB71_1092
.LBB71_1080:
	s_mov_b64 s[60:61], -1
	s_mov_b64 s[58:59], 0
	s_mov_b64 s[0:1], s[48:49]
	s_branch .LBB71_1088
.LBB71_1081:
	s_mov_b64 s[60:61], -1
	s_mov_b64 s[58:59], 0
	s_mov_b64 s[0:1], s[48:49]
.LBB71_1082:
	s_and_b64 vcc, exec, s[60:61]
	s_cbranch_vccz .LBB71_1087
; %bb.1083:
	v_mov_b32_e32 v2, 44
	v_cmp_eq_u16_sdwa s[60:61], v10, v2 src0_sel:BYTE_0 src1_sel:DWORD
	s_mov_b64 s[0:1], -1
	s_and_b64 vcc, exec, s[60:61]
	s_cbranch_vccz .LBB71_1087
; %bb.1084:
	v_cvt_f32_f64_e32 v2, v[0:1]
	v_bfe_u32 v3, v2, 23, 8
	s_movk_i32 s0, 0xff
	v_cmp_ne_u32_e32 vcc, s0, v3
	v_mov_b32_e32 v6, 0xff
	s_and_saveexec_b64 s[58:59], vcc
; %bb.1085:
	s_mov_b32 s0, 0x3fffff
	v_lshrrev_b32_e32 v6, 23, v2
	v_and_b32_e32 v7, 0x400000, v2
	v_and_or_b32 v2, v2, s0, v3
	v_cmp_ne_u32_e32 vcc, 0, v7
	v_cmp_ne_u32_e64 s[0:1], 0, v2
	s_and_b64 s[0:1], vcc, s[0:1]
	v_cndmask_b32_e64 v2, 0, 1, s[0:1]
	v_add_u32_e32 v6, v6, v2
; %bb.1086:
	s_or_b64 exec, exec, s[58:59]
	s_mov_b64 s[58:59], -1
	s_mov_b64 s[0:1], 0
	global_store_byte v[4:5], v6, off
.LBB71_1087:
	s_mov_b64 s[60:61], 0
.LBB71_1088:
	s_and_b64 vcc, exec, s[60:61]
	s_cbranch_vccz .LBB71_1091
; %bb.1089:
	v_mov_b32_e32 v2, 29
	v_cmp_eq_u16_sdwa s[60:61], v10, v2 src0_sel:BYTE_0 src1_sel:DWORD
	s_mov_b64 s[0:1], -1
	s_and_b64 vcc, exec, s[60:61]
	s_cbranch_vccz .LBB71_1091
; %bb.1090:
	v_trunc_f64_e32 v[2:3], v[0:1]
	s_movk_i32 s0, 0xffe0
	v_ldexp_f64 v[6:7], v[2:3], s0
	v_floor_f64_e32 v[6:7], v[6:7]
	v_fmac_f64_e32 v[2:3], 0xc1f00000, v[6:7]
	v_cvt_u32_f64_e32 v13, v[6:7]
	v_cvt_u32_f64_e32 v12, v[2:3]
	global_store_dwordx2 v[4:5], v[12:13], off
	s_mov_b64 s[58:59], -1
	s_mov_b64 s[0:1], 0
.LBB71_1091:
	s_mov_b64 s[60:61], 0
.LBB71_1092:
	s_and_b64 vcc, exec, s[60:61]
	s_cbranch_vccz .LBB71_1108
; %bb.1093:
	v_mov_b32_e32 v2, 27
	v_cmp_lt_i16_sdwa s[60:61], v10, v2 src0_sel:BYTE_0 src1_sel:DWORD
	s_mov_b64 s[58:59], -1
	s_and_b64 vcc, exec, s[60:61]
	s_cbranch_vccnz .LBB71_1099
; %bb.1094:
	v_cmp_gt_i16_sdwa s[60:61], v10, v2 src0_sel:BYTE_0 src1_sel:DWORD
	s_and_b64 vcc, exec, s[60:61]
	s_cbranch_vccz .LBB71_1096
; %bb.1095:
	v_cvt_u32_f64_e32 v2, v[0:1]
	s_mov_b64 s[58:59], 0
	global_store_dword v[4:5], v2, off
.LBB71_1096:
	s_andn2_b64 vcc, exec, s[58:59]
	s_cbranch_vccnz .LBB71_1098
; %bb.1097:
	v_cvt_u32_f64_e32 v2, v[0:1]
	global_store_short v[4:5], v2, off
.LBB71_1098:
	s_mov_b64 s[58:59], 0
.LBB71_1099:
	s_andn2_b64 vcc, exec, s[58:59]
	s_cbranch_vccnz .LBB71_1107
; %bb.1100:
	v_cvt_f32_f64_e32 v2, v[0:1]
	v_and_b32_e32 v3, 0x7fffffff, v2
	s_mov_b32 s58, 0x43800000
	v_cmp_gt_u32_e32 vcc, s58, v3
	v_mov_b32_e32 v6, 0x80
	s_and_saveexec_b64 s[58:59], vcc
	s_cbranch_execz .LBB71_1106
; %bb.1101:
	s_mov_b32 s60, 0x3bffffff
	v_cmp_lt_u32_e32 vcc, s60, v3
	s_mov_b64 s[60:61], 0
                                        ; implicit-def: $vgpr3
	s_and_saveexec_b64 s[62:63], vcc
	s_xor_b64 s[62:63], exec, s[62:63]
	s_cbranch_execz .LBB71_1219
; %bb.1102:
	v_bfe_u32 v3, v2, 20, 1
	s_mov_b32 s64, 0x487ffff
	v_add3_u32 v3, v2, v3, s64
	s_mov_b64 s[60:61], exec
	v_lshrrev_b32_e32 v3, 20, v3
	s_or_saveexec_b64 s[62:63], s[62:63]
                                        ; implicit-def: $sgpr64
	s_xor_b64 exec, exec, s[62:63]
	s_cbranch_execnz .LBB71_1220
.LBB71_1103:
	s_or_b64 exec, exec, s[62:63]
	v_mov_b32_e32 v6, s64
	s_and_saveexec_b64 s[62:63], s[60:61]
.LBB71_1104:
	v_lshrrev_b32_e32 v2, 24, v2
	s_movk_i32 s60, 0x80
	v_and_or_b32 v6, v2, s60, v3
.LBB71_1105:
	s_or_b64 exec, exec, s[62:63]
.LBB71_1106:
	s_or_b64 exec, exec, s[58:59]
	global_store_byte v[4:5], v6, off
.LBB71_1107:
	s_mov_b64 s[58:59], -1
.LBB71_1108:
	s_mov_b64 s[60:61], 0
.LBB71_1109:
	s_and_b64 vcc, exec, s[60:61]
	s_cbranch_vccz .LBB71_1150
; %bb.1110:
	v_mov_b32_e32 v2, 22
	v_cmp_gt_i16_sdwa s[62:63], v10, v2 src0_sel:BYTE_0 src1_sel:DWORD
	s_mov_b64 s[60:61], -1
	s_and_b64 vcc, exec, s[62:63]
	s_cbranch_vccz .LBB71_1142
; %bb.1111:
	v_mov_b32_e32 v2, 24
	v_cmp_lt_i16_sdwa s[60:61], v10, v2 src0_sel:BYTE_0 src1_sel:DWORD
	s_mov_b64 s[58:59], -1
	s_and_b64 vcc, exec, s[60:61]
	s_cbranch_vccnz .LBB71_1131
; %bb.1112:
	v_cmp_gt_i16_sdwa s[60:61], v10, v2 src0_sel:BYTE_0 src1_sel:DWORD
	s_and_b64 vcc, exec, s[60:61]
	s_cbranch_vccz .LBB71_1120
; %bb.1113:
	v_cvt_f32_f64_e32 v2, v[0:1]
	v_and_b32_e32 v3, 0x7fffffff, v2
	s_mov_b32 s58, 0x47800000
	v_cmp_gt_u32_e32 vcc, s58, v3
	v_mov_b32_e32 v6, 0x80
	s_and_saveexec_b64 s[58:59], vcc
	s_cbranch_execz .LBB71_1119
; %bb.1114:
	s_mov_b32 s60, 0x37ffffff
	v_cmp_lt_u32_e32 vcc, s60, v3
	s_mov_b64 s[60:61], 0
                                        ; implicit-def: $vgpr3
	s_and_saveexec_b64 s[62:63], vcc
	s_xor_b64 s[62:63], exec, s[62:63]
	s_cbranch_execz .LBB71_2281
; %bb.1115:
	v_bfe_u32 v3, v2, 21, 1
	s_mov_b32 s64, 0x88fffff
	v_add3_u32 v3, v2, v3, s64
	s_mov_b64 s[60:61], exec
	v_lshrrev_b32_e32 v3, 21, v3
	s_or_saveexec_b64 s[62:63], s[62:63]
                                        ; implicit-def: $sgpr64
	s_xor_b64 exec, exec, s[62:63]
	s_cbranch_execnz .LBB71_2282
.LBB71_1116:
	s_or_b64 exec, exec, s[62:63]
	v_mov_b32_e32 v6, s64
	s_and_saveexec_b64 s[62:63], s[60:61]
.LBB71_1117:
	v_lshrrev_b32_e32 v2, 24, v2
	s_movk_i32 s60, 0x80
	v_and_or_b32 v6, v2, s60, v3
.LBB71_1118:
	s_or_b64 exec, exec, s[62:63]
.LBB71_1119:
	s_or_b64 exec, exec, s[58:59]
	s_mov_b64 s[58:59], 0
	global_store_byte v[4:5], v6, off
.LBB71_1120:
	s_and_b64 vcc, exec, s[58:59]
	s_cbranch_vccz .LBB71_1130
; %bb.1121:
	v_cvt_f32_f64_e32 v2, v[0:1]
	v_and_b32_e32 v6, 0x7fffffff, v2
	s_mov_b32 s58, 0x43f00000
	v_cmp_gt_u32_e32 vcc, s58, v6
                                        ; implicit-def: $vgpr3
	s_and_saveexec_b64 s[58:59], vcc
	s_xor_b64 s[58:59], exec, s[58:59]
	s_cbranch_execz .LBB71_1127
; %bb.1122:
	s_mov_b32 s60, 0x3c7fffff
	v_cmp_lt_u32_e32 vcc, s60, v6
                                        ; implicit-def: $vgpr3
	s_and_saveexec_b64 s[60:61], vcc
	s_xor_b64 s[60:61], exec, s[60:61]
; %bb.1123:
	v_bfe_u32 v3, v2, 20, 1
	s_mov_b32 s62, 0x407ffff
	v_add3_u32 v3, v2, v3, s62
	v_lshrrev_b32_e32 v6, 20, v3
	v_and_b32_e32 v3, 0xff00000, v3
	s_mov_b32 s62, 0x7f00000
	v_mov_b32_e32 v7, 0x7e
	v_cmp_ne_u32_e32 vcc, s62, v3
	v_cndmask_b32_e32 v3, v7, v6, vcc
; %bb.1124:
	s_andn2_saveexec_b64 s[60:61], s[60:61]
; %bb.1125:
	s_mov_b32 s62, 0x46800000
	v_add_f32_e64 v3, |v2|, s62
; %bb.1126:
	s_or_b64 exec, exec, s[60:61]
                                        ; implicit-def: $vgpr6
.LBB71_1127:
	s_andn2_saveexec_b64 s[58:59], s[58:59]
; %bb.1128:
	s_mov_b32 s60, 0x7f800000
	v_mov_b32_e32 v3, 0x7e
	v_mov_b32_e32 v7, 0x7f
	v_cmp_lt_u32_e32 vcc, s60, v6
	v_cndmask_b32_e32 v3, v3, v7, vcc
; %bb.1129:
	s_or_b64 exec, exec, s[58:59]
	v_lshrrev_b32_e32 v2, 24, v2
	s_movk_i32 s58, 0x80
	v_and_or_b32 v2, v2, s58, v3
	global_store_byte v[4:5], v2, off
.LBB71_1130:
	s_mov_b64 s[58:59], 0
.LBB71_1131:
	s_andn2_b64 vcc, exec, s[58:59]
	s_cbranch_vccnz .LBB71_1141
; %bb.1132:
	v_cvt_f32_f64_e32 v2, v[0:1]
	v_and_b32_e32 v6, 0x7fffffff, v2
	s_mov_b32 s58, 0x47800000
	v_cmp_gt_u32_e32 vcc, s58, v6
                                        ; implicit-def: $vgpr3
	s_and_saveexec_b64 s[58:59], vcc
	s_xor_b64 s[58:59], exec, s[58:59]
	s_cbranch_execz .LBB71_1138
; %bb.1133:
	s_mov_b32 s60, 0x387fffff
	v_cmp_lt_u32_e32 vcc, s60, v6
                                        ; implicit-def: $vgpr3
	s_and_saveexec_b64 s[60:61], vcc
	s_xor_b64 s[60:61], exec, s[60:61]
; %bb.1134:
	v_bfe_u32 v3, v2, 21, 1
	s_mov_b32 s62, 0x80fffff
	v_add3_u32 v3, v2, v3, s62
	v_lshrrev_b32_e32 v3, 21, v3
; %bb.1135:
	s_andn2_saveexec_b64 s[60:61], s[60:61]
; %bb.1136:
	s_mov_b32 s62, 0x43000000
	v_add_f32_e64 v3, |v2|, s62
; %bb.1137:
	s_or_b64 exec, exec, s[60:61]
                                        ; implicit-def: $vgpr6
.LBB71_1138:
	s_andn2_saveexec_b64 s[58:59], s[58:59]
; %bb.1139:
	s_mov_b32 s60, 0x7f800000
	v_mov_b32_e32 v3, 0x7c
	v_mov_b32_e32 v7, 0x7f
	v_cmp_lt_u32_e32 vcc, s60, v6
	v_cndmask_b32_e32 v3, v3, v7, vcc
; %bb.1140:
	s_or_b64 exec, exec, s[58:59]
	v_lshrrev_b32_e32 v2, 24, v2
	s_movk_i32 s58, 0x80
	v_and_or_b32 v2, v2, s58, v3
	global_store_byte v[4:5], v2, off
.LBB71_1141:
	s_mov_b64 s[60:61], 0
	s_mov_b64 s[58:59], -1
.LBB71_1142:
	s_andn2_b64 vcc, exec, s[60:61]
	s_cbranch_vccnz .LBB71_1150
; %bb.1143:
	v_mov_b32_e32 v2, 14
	v_cmp_gt_i16_sdwa s[62:63], v10, v2 src0_sel:BYTE_0 src1_sel:DWORD
	s_mov_b64 s[60:61], -1
	s_and_b64 vcc, exec, s[62:63]
	s_cbranch_vccz .LBB71_1147
; %bb.1144:
	v_mov_b32_e32 v2, 15
	v_cmp_eq_u16_sdwa s[60:61], v10, v2 src0_sel:BYTE_0 src1_sel:DWORD
	s_mov_b64 s[0:1], -1
	s_and_b64 vcc, exec, s[60:61]
	s_cbranch_vccz .LBB71_1146
; %bb.1145:
	v_cvt_f32_f64_e32 v2, v[0:1]
	v_bfe_u32 v3, v2, 16, 1
	s_movk_i32 s0, 0x7fff
	v_add3_u32 v3, v2, v3, s0
	v_lshrrev_b32_e32 v3, 16, v3
	v_mov_b32_e32 v6, 0x7fc0
	v_cmp_o_f32_e32 vcc, v2, v2
	v_cndmask_b32_e32 v2, v6, v3, vcc
	global_store_short v[4:5], v2, off
	s_mov_b64 s[58:59], -1
	s_mov_b64 s[0:1], 0
.LBB71_1146:
	s_mov_b64 s[60:61], 0
.LBB71_1147:
	s_and_b64 vcc, exec, s[60:61]
	s_cbranch_vccz .LBB71_1150
; %bb.1148:
	v_mov_b32_e32 v2, 11
	v_cmp_eq_u16_sdwa s[60:61], v10, v2 src0_sel:BYTE_0 src1_sel:DWORD
	s_mov_b64 s[0:1], -1
	s_and_b64 vcc, exec, s[60:61]
	s_cbranch_vccz .LBB71_1150
; %bb.1149:
	v_cmp_neq_f64_e32 vcc, 0, v[0:1]
	s_mov_b64 s[0:1], 0
	v_cndmask_b32_e64 v2, 0, 1, vcc
	s_mov_b64 s[58:59], -1
	global_store_byte v[4:5], v2, off
.LBB71_1150:
	s_mov_b64 s[60:61], 0
.LBB71_1151:
	s_and_b64 vcc, exec, s[60:61]
	s_cbranch_vccz .LBB71_1190
; %bb.1152:
	v_mov_b32_e32 v2, 5
	v_cmp_lt_i16_sdwa s[60:61], v10, v2 src0_sel:BYTE_0 src1_sel:DWORD
	s_mov_b64 s[58:59], -1
	s_and_b64 vcc, exec, s[60:61]
	s_cbranch_vccnz .LBB71_1173
; %bb.1153:
	v_mov_b32_e32 v2, 8
	v_cmp_lt_i16_sdwa s[60:61], v10, v2 src0_sel:BYTE_0 src1_sel:DWORD
	s_and_b64 vcc, exec, s[60:61]
	s_cbranch_vccnz .LBB71_1163
; %bb.1154:
	v_mov_b32_e32 v2, 9
	v_cmp_lt_i16_sdwa s[60:61], v10, v2 src0_sel:BYTE_0 src1_sel:DWORD
	s_and_b64 vcc, exec, s[60:61]
	s_cbranch_vccnz .LBB71_1160
; %bb.1155:
	v_cmp_gt_i16_sdwa s[60:61], v10, v2 src0_sel:BYTE_0 src1_sel:DWORD
	s_and_b64 vcc, exec, s[60:61]
	s_cbranch_vccz .LBB71_1157
; %bb.1156:
	v_mov_b32_e32 v2, 0
	v_mov_b32_e32 v3, v2
	s_mov_b64 s[58:59], 0
	global_store_dwordx4 v[4:5], v[0:3], off
.LBB71_1157:
	s_andn2_b64 vcc, exec, s[58:59]
	s_cbranch_vccnz .LBB71_1159
; %bb.1158:
	v_cvt_f32_f64_e32 v2, v[0:1]
	v_mov_b32_e32 v3, 0
	global_store_dwordx2 v[4:5], v[2:3], off
.LBB71_1159:
	s_mov_b64 s[58:59], 0
.LBB71_1160:
	s_andn2_b64 vcc, exec, s[58:59]
	s_cbranch_vccnz .LBB71_1162
; %bb.1161:
	v_cvt_f32_f64_e32 v2, v[0:1]
	v_cvt_f16_f32_e32 v2, v2
	global_store_dword v[4:5], v2, off
.LBB71_1162:
	s_mov_b64 s[58:59], 0
.LBB71_1163:
	s_andn2_b64 vcc, exec, s[58:59]
	s_cbranch_vccnz .LBB71_1172
; %bb.1164:
	v_mov_b32_e32 v2, 6
	v_cmp_lt_i16_sdwa s[60:61], v10, v2 src0_sel:BYTE_0 src1_sel:DWORD
	s_mov_b64 s[58:59], -1
	s_and_b64 vcc, exec, s[60:61]
	s_cbranch_vccnz .LBB71_1170
; %bb.1165:
	v_cmp_gt_i16_sdwa s[60:61], v10, v2 src0_sel:BYTE_0 src1_sel:DWORD
	s_and_b64 vcc, exec, s[60:61]
	s_cbranch_vccz .LBB71_1167
; %bb.1166:
	s_mov_b64 s[58:59], 0
	global_store_dwordx2 v[4:5], v[0:1], off
.LBB71_1167:
	s_andn2_b64 vcc, exec, s[58:59]
	s_cbranch_vccnz .LBB71_1169
; %bb.1168:
	v_cvt_f32_f64_e32 v2, v[0:1]
	global_store_dword v[4:5], v2, off
.LBB71_1169:
	s_mov_b64 s[58:59], 0
.LBB71_1170:
	s_andn2_b64 vcc, exec, s[58:59]
	s_cbranch_vccnz .LBB71_1172
; %bb.1171:
	v_cvt_f32_f64_e32 v2, v[0:1]
	v_cvt_f16_f32_e32 v2, v2
	global_store_short v[4:5], v2, off
.LBB71_1172:
	s_mov_b64 s[58:59], 0
.LBB71_1173:
	s_andn2_b64 vcc, exec, s[58:59]
	s_cbranch_vccnz .LBB71_1189
; %bb.1174:
	v_mov_b32_e32 v2, 2
	v_cmp_lt_i16_sdwa s[60:61], v10, v2 src0_sel:BYTE_0 src1_sel:DWORD
	s_mov_b64 s[58:59], -1
	s_and_b64 vcc, exec, s[60:61]
	s_cbranch_vccnz .LBB71_1184
; %bb.1175:
	v_mov_b32_e32 v2, 3
	v_cmp_lt_i16_sdwa s[60:61], v10, v2 src0_sel:BYTE_0 src1_sel:DWORD
	s_and_b64 vcc, exec, s[60:61]
	s_cbranch_vccnz .LBB71_1181
; %bb.1176:
	v_cmp_gt_i16_sdwa s[60:61], v10, v2 src0_sel:BYTE_0 src1_sel:DWORD
	s_and_b64 vcc, exec, s[60:61]
	s_cbranch_vccz .LBB71_1178
; %bb.1177:
	v_trunc_f64_e32 v[2:3], v[0:1]
	s_movk_i32 s58, 0xffe0
	v_ldexp_f64 v[6:7], v[2:3], s58
	v_floor_f64_e32 v[6:7], v[6:7]
	v_fmac_f64_e32 v[2:3], 0xc1f00000, v[6:7]
	v_cvt_i32_f64_e32 v13, v[6:7]
	v_cvt_u32_f64_e32 v12, v[2:3]
	s_mov_b64 s[58:59], 0
	global_store_dwordx2 v[4:5], v[12:13], off
.LBB71_1178:
	s_andn2_b64 vcc, exec, s[58:59]
	s_cbranch_vccnz .LBB71_1180
; %bb.1179:
	v_cvt_i32_f64_e32 v2, v[0:1]
	global_store_dword v[4:5], v2, off
.LBB71_1180:
	s_mov_b64 s[58:59], 0
.LBB71_1181:
	s_andn2_b64 vcc, exec, s[58:59]
	s_cbranch_vccnz .LBB71_1183
; %bb.1182:
	v_cvt_i32_f64_e32 v2, v[0:1]
	global_store_short v[4:5], v2, off
.LBB71_1183:
	s_mov_b64 s[58:59], 0
.LBB71_1184:
	s_andn2_b64 vcc, exec, s[58:59]
	s_cbranch_vccnz .LBB71_1189
; %bb.1185:
	v_mov_b32_e32 v2, 0
	v_cmp_gt_i16_sdwa s[60:61], v10, v2 src0_sel:BYTE_0 src1_sel:DWORD
	s_mov_b64 s[58:59], -1
	s_and_b64 vcc, exec, s[60:61]
	s_cbranch_vccz .LBB71_1187
; %bb.1186:
	v_cvt_i32_f64_e32 v2, v[0:1]
	s_mov_b64 s[58:59], 0
	global_store_byte v[4:5], v2, off
.LBB71_1187:
	s_andn2_b64 vcc, exec, s[58:59]
	s_cbranch_vccnz .LBB71_1189
; %bb.1188:
	v_trunc_f64_e32 v[0:1], v[0:1]
	s_movk_i32 s58, 0xffe0
	v_ldexp_f64 v[2:3], v[0:1], s58
	v_floor_f64_e32 v[2:3], v[2:3]
	v_fmac_f64_e32 v[0:1], 0xc1f00000, v[2:3]
	v_cvt_u32_f64_e32 v0, v[0:1]
	global_store_byte v[4:5], v0, off
.LBB71_1189:
	s_mov_b64 s[58:59], -1
.LBB71_1190:
	s_andn2_b64 vcc, exec, s[58:59]
	s_cbranch_vccnz .LBB71_1214
; %bb.1191:
	v_add_u32_e32 v8, 0x80, v8
	s_mov_b64 s[60:61], -1
.LBB71_1192:
	s_andn2_b64 s[58:59], s[48:49], exec
	s_and_b64 s[0:1], s[0:1], exec
	s_or_b64 s[58:59], s[58:59], s[0:1]
	s_andn2_b64 s[0:1], s[46:47], exec
	s_and_b64 s[56:57], s[56:57], exec
	s_or_b64 s[56:57], s[0:1], s[56:57]
	;; [unrolled: 3-line block ×3, first 2 shown]
	s_orn2_b64 s[64:65], s[60:61], exec
.LBB71_1193:
	s_or_b64 exec, exec, s[52:53]
	s_mov_b64 s[60:61], 0
	s_mov_b64 s[54:55], 0
	;; [unrolled: 1-line block ×3, first 2 shown]
                                        ; implicit-def: $vgpr3
                                        ; implicit-def: $vgpr6_vgpr7
                                        ; implicit-def: $vgpr4
                                        ; implicit-def: $vgpr2
                                        ; implicit-def: $vgpr0_vgpr1
	s_and_saveexec_b64 s[52:53], s[64:65]
	s_cbranch_execz .LBB71_1287
; %bb.1194:
	v_cmp_gt_i32_e32 vcc, s66, v8
	s_mov_b64 s[64:65], s[0:1]
	s_mov_b64 s[66:67], 0
                                        ; implicit-def: $vgpr3
                                        ; implicit-def: $vgpr6_vgpr7
                                        ; implicit-def: $vgpr4
                                        ; implicit-def: $vgpr2
                                        ; implicit-def: $vgpr0_vgpr1
	s_and_saveexec_b64 s[54:55], vcc
	s_cbranch_execz .LBB71_1286
; %bb.1195:
	s_andn2_b64 vcc, exec, s[20:21]
	s_cbranch_vccnz .LBB71_1202
; %bb.1196:
	s_andn2_b64 vcc, exec, s[34:35]
	v_mov_b32_e32 v4, 0
	s_waitcnt vmcnt(0)
	v_mov_b32_e32 v0, 0
	v_mov_b32_e32 v2, 0
	s_cbranch_vccnz .LBB71_1201
; %bb.1197:
	s_add_i32 s34, s69, 1
	s_and_b32 s60, s34, 30
	s_add_u32 s34, s2, 0xffffffec
	s_addc_u32 s35, s3, -1
	v_mov_b32_e32 v2, 0
	v_mov_b32_e32 v1, v8
	;; [unrolled: 1-line block ×4, first 2 shown]
.LBB71_1198:                            ; =>This Inner Loop Header: Depth=1
	s_mov_b64 s[62:63], s[34:35]
	s_load_dwordx4 s[64:67], s[62:63], 0x18
	s_load_dwordx2 s[70:71], s[62:63], 0x28
	s_load_dwordx2 s[76:77], s[62:63], 0xe8
	s_load_dwordx4 s[72:75], s[62:63], 0xd8
	s_add_u32 s34, s62, 24
	s_waitcnt lgkmcnt(0)
	v_mul_hi_u32 v3, s65, v1
	v_add_u32_e32 v3, v1, v3
	v_lshrrev_b32_e32 v3, s66, v3
	v_mul_lo_u32 v5, v3, s64
	v_mul_hi_u32 v6, s70, v3
	v_sub_u32_e32 v1, v1, v5
	v_add_u32_e32 v5, v3, v6
	v_mul_lo_u32 v6, v1, s72
	v_mul_lo_u32 v7, v1, s73
	;; [unrolled: 1-line block ×3, first 2 shown]
	v_lshrrev_b32_e32 v1, s71, v5
	v_mul_lo_u32 v5, v1, s67
	v_sub_u32_e32 v3, v3, v5
	s_addc_u32 s35, s63, 0
	s_add_i32 s60, s60, -2
	v_mul_lo_u32 v5, v3, s75
	v_mul_lo_u32 v13, v3, s76
	;; [unrolled: 1-line block ×3, first 2 shown]
	s_cmp_eq_u32 s60, 0
	v_add3_u32 v2, v6, v2, v5
	v_add3_u32 v4, v12, v4, v3
	;; [unrolled: 1-line block ×3, first 2 shown]
	s_cbranch_scc0 .LBB71_1198
; %bb.1199:
	s_bitcmp1_b32 s69, 0
	s_cselect_b64 s[60:61], -1, 0
	s_and_b64 vcc, exec, s[60:61]
	s_cbranch_vccnz .LBB71_1201
; %bb.1200:
	s_load_dwordx2 s[60:61], s[34:35], 0x18
	s_load_dword s62, s[34:35], 0x20
	s_load_dword s63, s[34:35], 0xe0
	s_nop 0
	s_load_dwordx2 s[34:35], s[34:35], 0xd8
	s_waitcnt lgkmcnt(0)
	v_mul_hi_u32 v3, s61, v1
	v_add_u32_e32 v3, v1, v3
	v_lshrrev_b32_e32 v3, s62, v3
	v_mul_lo_u32 v3, v3, s60
	v_sub_u32_e32 v5, v1, v3
	v_mad_u64_u32 v[2:3], s[60:61], v5, s34, v[2:3]
	v_mad_u64_u32 v[0:1], s[34:35], v5, s35, v[0:1]
	;; [unrolled: 1-line block ×3, first 2 shown]
.LBB71_1201:
	s_mov_b64 s[34:35], 0
	s_branch .LBB71_1203
.LBB71_1202:
	s_mov_b64 s[34:35], -1
                                        ; implicit-def: $vgpr4
                                        ; implicit-def: $vgpr0
                                        ; implicit-def: $vgpr2
.LBB71_1203:
	s_andn2_b64 vcc, exec, s[34:35]
	s_cbranch_vccnz .LBB71_1206
; %bb.1204:
	s_waitcnt vmcnt(0) lgkmcnt(0)
	v_mul_hi_u32 v0, s17, v8
	v_add_u32_e32 v0, v8, v0
	v_lshrrev_b32_e32 v1, s18, v0
	v_mul_lo_u32 v0, v1, s16
	v_sub_u32_e32 v0, v8, v0
	v_mul_lo_u32 v2, v0, s12
	v_mul_lo_u32 v4, v0, s14
	s_andn2_b64 vcc, exec, s[30:31]
	v_mul_lo_u32 v0, v0, s13
	s_cbranch_vccnz .LBB71_1206
; %bb.1205:
	v_mul_hi_u32 v3, s28, v1
	v_add_u32_e32 v3, v1, v3
	v_lshrrev_b32_e32 v3, s29, v3
	v_mul_lo_u32 v3, v3, s19
	v_sub_u32_e32 v5, v1, v3
	v_mad_u64_u32 v[2:3], s[12:13], v5, s15, v[2:3]
	v_mad_u64_u32 v[0:1], s[12:13], v5, s26, v[0:1]
	;; [unrolled: 1-line block ×3, first 2 shown]
.LBB71_1206:
	s_waitcnt vmcnt(0) lgkmcnt(0)
	v_mov_b32_e32 v1, s11
	v_add_co_u32_e32 v6, vcc, s10, v0
	v_addc_co_u32_e32 v7, vcc, 0, v1, vcc
	v_and_b32_e32 v3, 0xff, v9
	v_cmp_gt_i16_e32 vcc, 11, v3
	s_cbranch_vccnz .LBB71_1213
; %bb.1207:
	v_cmp_lt_i16_e32 vcc, 25, v3
	s_mov_b64 s[12:13], 0
	s_cbranch_vccz .LBB71_1215
; %bb.1208:
	v_cmp_lt_i16_e32 vcc, 28, v3
	s_cbranch_vccz .LBB71_1216
; %bb.1209:
	v_cmp_lt_i16_e32 vcc, 43, v3
	;; [unrolled: 3-line block ×3, first 2 shown]
	s_cbranch_vccz .LBB71_1218
; %bb.1211:
	v_cmp_eq_u16_e32 vcc, 46, v3
	s_mov_b64 s[16:17], 0
	s_cbranch_vccz .LBB71_1221
; %bb.1212:
	global_load_dword v0, v[6:7], off
	s_mov_b64 s[10:11], 0
	s_mov_b64 s[14:15], -1
	s_waitcnt vmcnt(0)
	v_lshlrev_b32_e32 v0, 16, v0
	v_cvt_f64_f32_e32 v[0:1], v0
	s_branch .LBB71_1222
.LBB71_1213:
	s_mov_b64 s[16:17], -1
	s_mov_b64 s[14:15], 0
	s_mov_b64 s[12:13], 0
	;; [unrolled: 1-line block ×3, first 2 shown]
                                        ; implicit-def: $vgpr0_vgpr1
	s_branch .LBB71_1285
.LBB71_1214:
	s_mov_b64 s[60:61], 0
	s_branch .LBB71_945
.LBB71_1215:
	s_mov_b64 s[16:17], -1
	s_mov_b64 s[14:15], 0
	s_mov_b64 s[10:11], s[0:1]
                                        ; implicit-def: $vgpr0_vgpr1
	s_branch .LBB71_1251
.LBB71_1216:
	s_mov_b64 s[16:17], -1
	s_mov_b64 s[14:15], 0
	s_mov_b64 s[10:11], s[0:1]
                                        ; implicit-def: $vgpr0_vgpr1
	s_branch .LBB71_1232
.LBB71_1217:
	s_mov_b64 s[16:17], -1
	s_mov_b64 s[14:15], 0
	s_mov_b64 s[10:11], s[0:1]
                                        ; implicit-def: $vgpr0_vgpr1
	s_branch .LBB71_1227
.LBB71_1218:
	s_mov_b64 s[16:17], -1
	s_mov_b64 s[14:15], 0
	s_mov_b64 s[10:11], s[0:1]
                                        ; implicit-def: $vgpr0_vgpr1
	s_branch .LBB71_1222
.LBB71_1219:
	s_or_saveexec_b64 s[62:63], s[62:63]
                                        ; implicit-def: $sgpr64
	s_xor_b64 exec, exec, s[62:63]
	s_cbranch_execz .LBB71_1103
.LBB71_1220:
	s_mov_b32 s64, 0x46000000
	v_add_f32_e64 v3, |v2|, s64
	v_and_b32_e32 v3, 0xff, v3
	v_cmp_ne_u32_e32 vcc, 0, v3
	s_andn2_b64 s[60:61], s[60:61], exec
	s_and_b64 s[70:71], vcc, exec
	s_mov_b32 s64, 0
	s_or_b64 s[60:61], s[60:61], s[70:71]
	s_or_b64 exec, exec, s[62:63]
	v_mov_b32_e32 v6, s64
	s_and_saveexec_b64 s[62:63], s[60:61]
	s_cbranch_execnz .LBB71_1104
	s_branch .LBB71_1105
.LBB71_1221:
	s_mov_b64 s[10:11], -1
                                        ; implicit-def: $vgpr0_vgpr1
	s_mov_b64 s[14:15], 0
.LBB71_1222:
	s_and_b64 vcc, exec, s[16:17]
	s_cbranch_vccz .LBB71_1226
; %bb.1223:
	v_cmp_eq_u16_e32 vcc, 44, v3
	s_cbranch_vccz .LBB71_1225
; %bb.1224:
	global_load_ubyte v5, v[6:7], off
	s_movk_i32 s14, 0xff
	v_bfrev_b32_e32 v8, 4
	v_mov_b32_e32 v9, 0x7ff80000
	v_bfrev_b32_e32 v12, 28
	s_mov_b64 s[10:11], 0
	s_waitcnt vmcnt(0)
	v_lshlrev_b32_e32 v0, 23, v5
	v_cvt_f64_f32_e32 v[0:1], v0
	v_cmp_ne_u32_e32 vcc, s14, v5
	v_cndmask_b32_e32 v0, v8, v0, vcc
	v_cndmask_b32_e32 v1, v9, v1, vcc
	v_cmp_ne_u32_e32 vcc, 0, v5
	v_cndmask_b32_e32 v1, v12, v1, vcc
	v_cndmask_b32_e32 v0, 0, v0, vcc
	s_mov_b64 s[14:15], -1
	s_branch .LBB71_1226
.LBB71_1225:
	s_mov_b64 s[10:11], -1
                                        ; implicit-def: $vgpr0_vgpr1
.LBB71_1226:
	s_mov_b64 s[16:17], 0
.LBB71_1227:
	s_and_b64 vcc, exec, s[16:17]
	s_cbranch_vccz .LBB71_1231
; %bb.1228:
	v_cmp_eq_u16_e32 vcc, 29, v3
	s_cbranch_vccz .LBB71_1230
; %bb.1229:
	global_load_dwordx2 v[0:1], v[6:7], off
	s_mov_b64 s[10:11], 0
	s_mov_b64 s[14:15], -1
	s_mov_b64 s[16:17], 0
	s_waitcnt vmcnt(0)
	v_cvt_f64_u32_e32 v[8:9], v1
	v_cvt_f64_u32_e32 v[0:1], v0
	v_ldexp_f64 v[8:9], v[8:9], 32
	v_add_f64 v[0:1], v[8:9], v[0:1]
	s_branch .LBB71_1232
.LBB71_1230:
	s_mov_b64 s[10:11], -1
                                        ; implicit-def: $vgpr0_vgpr1
.LBB71_1231:
	s_mov_b64 s[16:17], 0
.LBB71_1232:
	s_and_b64 vcc, exec, s[16:17]
	s_cbranch_vccz .LBB71_1250
; %bb.1233:
	v_cmp_gt_i16_e32 vcc, 27, v3
	s_cbranch_vccnz .LBB71_1236
; %bb.1234:
	v_cmp_lt_i16_e32 vcc, 27, v3
	s_cbranch_vccz .LBB71_1237
; %bb.1235:
	global_load_dword v0, v[6:7], off
	s_mov_b64 s[14:15], 0
	s_waitcnt vmcnt(0)
	v_cvt_f64_u32_e32 v[0:1], v0
	s_branch .LBB71_1238
.LBB71_1236:
	s_mov_b64 s[14:15], -1
                                        ; implicit-def: $vgpr0_vgpr1
	s_branch .LBB71_1241
.LBB71_1237:
	s_mov_b64 s[14:15], -1
                                        ; implicit-def: $vgpr0_vgpr1
.LBB71_1238:
	s_andn2_b64 vcc, exec, s[14:15]
	s_cbranch_vccnz .LBB71_1240
; %bb.1239:
	global_load_ushort v0, v[6:7], off
	s_waitcnt vmcnt(0)
	v_cvt_f64_u32_e32 v[0:1], v0
.LBB71_1240:
	s_mov_b64 s[14:15], 0
.LBB71_1241:
	s_andn2_b64 vcc, exec, s[14:15]
	s_cbranch_vccnz .LBB71_1249
; %bb.1242:
	global_load_ubyte v5, v[6:7], off
	s_movk_i32 s14, 0x7f
                                        ; implicit-def: $sgpr16_sgpr17
	s_waitcnt vmcnt(0)
	v_cmp_lt_i16_e32 vcc, s14, v5
	s_mov_b64 s[14:15], 0
	s_and_saveexec_b64 s[18:19], vcc
	s_xor_b64 s[18:19], exec, s[18:19]
	s_cbranch_execz .LBB71_1263
; %bb.1243:
	s_movk_i32 s14, 0x80
	v_cmp_eq_u16_e32 vcc, s14, v5
	s_mov_b64 s[26:27], -1
                                        ; implicit-def: $sgpr16_sgpr17
	s_and_saveexec_b64 s[14:15], vcc
; %bb.1244:
	s_mov_b32 s17, 0x7ff80000
	s_brev_b32 s16, 4
	s_xor_b64 s[26:27], exec, -1
; %bb.1245:
	s_or_b64 exec, exec, s[14:15]
	s_and_b64 s[14:15], s[26:27], exec
	s_or_saveexec_b64 s[18:19], s[18:19]
	v_pk_mov_b32 v[0:1], s[16:17], s[16:17] op_sel:[0,1]
	s_xor_b64 exec, exec, s[18:19]
	s_cbranch_execnz .LBB71_1264
.LBB71_1246:
	s_or_b64 exec, exec, s[18:19]
	s_and_saveexec_b64 s[16:17], s[14:15]
	s_cbranch_execz .LBB71_1248
.LBB71_1247:
	v_and_b32_e32 v1, 0xffff, v5
	v_lshlrev_b32_e32 v0, 24, v5
	v_and_b32_e32 v5, 7, v1
	v_ffbh_u32_e32 v9, v5
	v_min_u32_e32 v9, 32, v9
	v_subrev_u32_e32 v12, 28, v9
	v_bfe_u32 v8, v1, 3, 4
	v_lshlrev_b32_e32 v1, v12, v1
	v_sub_u32_e32 v9, 29, v9
	v_and_b32_e32 v1, 7, v1
	v_cmp_eq_u32_e32 vcc, 0, v8
	v_cndmask_b32_e32 v8, v8, v9, vcc
	v_cndmask_b32_e32 v1, v5, v1, vcc
	v_mov_b32_e32 v5, 0x3b800000
	v_lshlrev_b32_e32 v1, 20, v1
	v_and_b32_e32 v0, 0x80000000, v0
	v_lshl_add_u32 v5, v8, 23, v5
	v_or3_b32 v0, v0, v5, v1
	v_cvt_f64_f32_e32 v[0:1], v0
.LBB71_1248:
	s_or_b64 exec, exec, s[16:17]
.LBB71_1249:
	s_mov_b64 s[14:15], -1
.LBB71_1250:
	s_mov_b64 s[16:17], 0
.LBB71_1251:
	s_and_b64 vcc, exec, s[16:17]
	s_cbranch_vccz .LBB71_1284
; %bb.1252:
	v_cmp_lt_i16_e32 vcc, 22, v3
	s_cbranch_vccz .LBB71_1262
; %bb.1253:
	v_cmp_gt_i16_e32 vcc, 24, v3
	s_cbranch_vccnz .LBB71_1265
; %bb.1254:
	v_cmp_lt_i16_e32 vcc, 24, v3
	s_cbranch_vccz .LBB71_1266
; %bb.1255:
	global_load_ubyte v5, v[6:7], off
	s_movk_i32 s12, 0x7f
                                        ; implicit-def: $sgpr14_sgpr15
	s_waitcnt vmcnt(0)
	v_cmp_lt_i16_e32 vcc, s12, v5
	s_mov_b64 s[12:13], 0
	s_and_saveexec_b64 s[16:17], vcc
	s_xor_b64 s[16:17], exec, s[16:17]
	s_cbranch_execz .LBB71_1278
; %bb.1256:
	s_movk_i32 s12, 0x80
	v_cmp_eq_u16_e32 vcc, s12, v5
	s_mov_b64 s[18:19], -1
                                        ; implicit-def: $sgpr14_sgpr15
	s_and_saveexec_b64 s[12:13], vcc
; %bb.1257:
	s_mov_b32 s15, 0x7ff80000
	s_brev_b32 s14, 4
	s_xor_b64 s[18:19], exec, -1
; %bb.1258:
	s_or_b64 exec, exec, s[12:13]
	s_and_b64 s[12:13], s[18:19], exec
	s_or_saveexec_b64 s[16:17], s[16:17]
	v_pk_mov_b32 v[0:1], s[14:15], s[14:15] op_sel:[0,1]
	s_xor_b64 exec, exec, s[16:17]
	s_cbranch_execnz .LBB71_1279
.LBB71_1259:
	s_or_b64 exec, exec, s[16:17]
	s_and_saveexec_b64 s[14:15], s[12:13]
	s_cbranch_execz .LBB71_1261
.LBB71_1260:
	v_and_b32_e32 v1, 0xffff, v5
	v_lshlrev_b32_e32 v0, 24, v5
	v_and_b32_e32 v5, 3, v1
	v_ffbh_u32_e32 v9, v5
	v_min_u32_e32 v9, 32, v9
	v_subrev_u32_e32 v12, 29, v9
	v_bfe_u32 v8, v1, 2, 5
	v_lshlrev_b32_e32 v1, v12, v1
	v_sub_u32_e32 v9, 30, v9
	v_and_b32_e32 v1, 3, v1
	v_cmp_eq_u32_e32 vcc, 0, v8
	v_cndmask_b32_e32 v8, v8, v9, vcc
	v_cndmask_b32_e32 v1, v5, v1, vcc
	v_mov_b32_e32 v5, 0x37800000
	v_lshlrev_b32_e32 v1, 21, v1
	v_and_b32_e32 v0, 0x80000000, v0
	v_lshl_add_u32 v5, v8, 23, v5
	v_or3_b32 v0, v0, v5, v1
	v_cvt_f64_f32_e32 v[0:1], v0
.LBB71_1261:
	s_or_b64 exec, exec, s[14:15]
	s_mov_b64 s[12:13], 0
	s_branch .LBB71_1267
.LBB71_1262:
	s_mov_b64 s[12:13], -1
                                        ; implicit-def: $vgpr0_vgpr1
	s_branch .LBB71_1273
.LBB71_1263:
	s_or_saveexec_b64 s[18:19], s[18:19]
	v_pk_mov_b32 v[0:1], s[16:17], s[16:17] op_sel:[0,1]
	s_xor_b64 exec, exec, s[18:19]
	s_cbranch_execz .LBB71_1246
.LBB71_1264:
	v_cmp_ne_u16_e32 vcc, 0, v5
	s_andn2_b64 s[14:15], s[14:15], exec
	s_and_b64 s[16:17], vcc, exec
	v_pk_mov_b32 v[0:1], 0, 0
	s_or_b64 s[14:15], s[14:15], s[16:17]
	s_or_b64 exec, exec, s[18:19]
	s_and_saveexec_b64 s[16:17], s[14:15]
	s_cbranch_execnz .LBB71_1247
	s_branch .LBB71_1248
.LBB71_1265:
	s_mov_b64 s[12:13], -1
                                        ; implicit-def: $vgpr0_vgpr1
	s_branch .LBB71_1270
.LBB71_1266:
	s_mov_b64 s[12:13], -1
                                        ; implicit-def: $vgpr0_vgpr1
.LBB71_1267:
	s_and_b64 vcc, exec, s[12:13]
	s_cbranch_vccz .LBB71_1269
; %bb.1268:
	global_load_ubyte v0, v[6:7], off
	s_mov_b32 s12, 0x7f800000
	s_waitcnt vmcnt(0)
	v_lshlrev_b32_e32 v0, 24, v0
	v_and_b32_e32 v1, 0x7f000000, v0
	v_ffbh_u32_e32 v5, v1
	v_min_u32_e32 v5, 32, v5
	v_sub_u32_e64 v5, v5, 4 clamp
	v_lshlrev_b32_e32 v9, v5, v1
	v_lshlrev_b32_e32 v5, 23, v5
	v_lshrrev_b32_e32 v9, 4, v9
	v_add_u32_e32 v8, 0x1000000, v1
	v_sub_u32_e32 v5, v9, v5
	v_ashrrev_i32_e32 v8, 8, v8
	v_add_u32_e32 v5, 0x3c000000, v5
	v_and_or_b32 v5, v8, s12, v5
	v_cmp_ne_u32_e32 vcc, 0, v1
	v_cndmask_b32_e32 v1, 0, v5, vcc
	s_brev_b32 s12, 1
	v_and_or_b32 v0, v0, s12, v1
	v_cvt_f64_f32_e32 v[0:1], v0
.LBB71_1269:
	s_mov_b64 s[12:13], 0
.LBB71_1270:
	s_andn2_b64 vcc, exec, s[12:13]
	s_cbranch_vccnz .LBB71_1272
; %bb.1271:
	global_load_ubyte v0, v[6:7], off
	s_movk_i32 s12, 0x7f00
	s_brev_b32 s13, 16
	s_waitcnt vmcnt(0)
	v_lshlrev_b16_e32 v1, 8, v0
	v_lshlrev_b32_e32 v0, 25, v0
	v_lshrrev_b32_e32 v5, 4, v0
	v_and_or_b32 v8, v1, s12, 0.5
	v_or_b32_e32 v5, 0x70000000, v5
	v_add_f32_e32 v8, -0.5, v8
	v_mul_f32_e32 v5, 0x7800000, v5
	v_cmp_gt_u32_e32 vcc, s13, v0
	v_bfe_i32 v1, v1, 0, 16
	v_cndmask_b32_e32 v0, v5, v8, vcc
	s_brev_b32 s12, 1
	v_and_or_b32 v0, v1, s12, v0
	v_cvt_f64_f32_e32 v[0:1], v0
.LBB71_1272:
	s_mov_b64 s[12:13], 0
	s_mov_b64 s[14:15], -1
.LBB71_1273:
	s_andn2_b64 vcc, exec, s[12:13]
	s_mov_b64 s[12:13], 0
	s_cbranch_vccnz .LBB71_1284
; %bb.1274:
	v_cmp_lt_i16_e32 vcc, 14, v3
	s_cbranch_vccz .LBB71_1277
; %bb.1275:
	v_cmp_eq_u16_e32 vcc, 15, v3
	s_cbranch_vccz .LBB71_1280
; %bb.1276:
	global_load_ushort v0, v[6:7], off
	s_mov_b64 s[10:11], 0
	s_mov_b64 s[14:15], -1
	s_waitcnt vmcnt(0)
	v_lshlrev_b32_e32 v0, 16, v0
	v_cvt_f64_f32_e32 v[0:1], v0
	s_branch .LBB71_1281
.LBB71_1277:
	s_mov_b64 s[16:17], -1
                                        ; implicit-def: $vgpr0_vgpr1
	s_branch .LBB71_1282
.LBB71_1278:
	s_or_saveexec_b64 s[16:17], s[16:17]
	v_pk_mov_b32 v[0:1], s[14:15], s[14:15] op_sel:[0,1]
	s_xor_b64 exec, exec, s[16:17]
	s_cbranch_execz .LBB71_1259
.LBB71_1279:
	v_cmp_ne_u16_e32 vcc, 0, v5
	s_andn2_b64 s[12:13], s[12:13], exec
	s_and_b64 s[14:15], vcc, exec
	v_pk_mov_b32 v[0:1], 0, 0
	s_or_b64 s[12:13], s[12:13], s[14:15]
	s_or_b64 exec, exec, s[16:17]
	s_and_saveexec_b64 s[14:15], s[12:13]
	s_cbranch_execnz .LBB71_1260
	s_branch .LBB71_1261
.LBB71_1280:
	s_mov_b64 s[10:11], -1
                                        ; implicit-def: $vgpr0_vgpr1
.LBB71_1281:
	s_mov_b64 s[16:17], 0
.LBB71_1282:
	s_and_b64 vcc, exec, s[16:17]
	s_cbranch_vccz .LBB71_1284
; %bb.1283:
	v_cmp_ne_u16_e32 vcc, 11, v3
	s_andn2_b64 s[10:11], s[10:11], exec
	s_and_b64 s[16:17], vcc, exec
	s_mov_b64 s[12:13], -1
	s_or_b64 s[10:11], s[10:11], s[16:17]
                                        ; implicit-def: $vgpr0_vgpr1
.LBB71_1284:
	s_mov_b64 s[16:17], 0
.LBB71_1285:
	s_and_b64 s[60:61], s[12:13], exec
	s_andn2_b64 s[12:13], s[0:1], exec
	s_and_b64 s[10:11], s[10:11], exec
	s_and_b64 s[62:63], s[14:15], exec
	;; [unrolled: 1-line block ×3, first 2 shown]
	s_or_b64 s[64:65], s[12:13], s[10:11]
.LBB71_1286:
	s_or_b64 exec, exec, s[54:55]
	s_andn2_b64 s[0:1], s[0:1], exec
	s_waitcnt lgkmcnt(0)
	s_and_b64 s[10:11], s[64:65], exec
	s_and_b64 s[62:63], s[62:63], exec
	;; [unrolled: 1-line block ×4, first 2 shown]
	s_or_b64 s[0:1], s[0:1], s[10:11]
.LBB71_1287:
	s_or_b64 exec, exec, s[52:53]
	s_waitcnt lgkmcnt(0)
	s_andn2_b64 s[10:11], s[48:49], exec
	s_and_b64 s[12:13], s[58:59], exec
	s_or_b64 s[48:49], s[10:11], s[12:13]
	s_andn2_b64 s[10:11], s[46:47], exec
	s_and_b64 s[12:13], s[56:57], exec
	s_or_b64 s[46:47], s[10:11], s[12:13]
	s_andn2_b64 s[10:11], s[44:45], exec
	s_and_b64 s[0:1], s[0:1], exec
	s_and_b64 s[56:57], s[62:63], exec
	;; [unrolled: 1-line block ×4, first 2 shown]
	s_or_b64 s[44:45], s[10:11], s[0:1]
.LBB71_1288:
	s_or_b64 exec, exec, s[50:51]
	s_andn2_b64 s[0:1], s[36:37], exec
	s_waitcnt lgkmcnt(0)
	s_and_b64 s[10:11], s[48:49], exec
	s_or_b64 s[36:37], s[0:1], s[10:11]
	s_andn2_b64 s[0:1], s[38:39], exec
	s_and_b64 s[10:11], s[46:47], exec
	s_or_b64 s[38:39], s[0:1], s[10:11]
	s_andn2_b64 s[0:1], s[40:41], exec
	s_and_b64 s[10:11], s[44:45], exec
	s_and_b64 s[48:49], s[56:57], exec
	;; [unrolled: 1-line block ×4, first 2 shown]
	s_or_b64 s[40:41], s[0:1], s[10:11]
	s_or_b64 exec, exec, s[42:43]
	s_mov_b64 s[10:11], 0
	s_and_saveexec_b64 s[0:1], s[40:41]
	s_cbranch_execz .LBB71_403
.LBB71_1289:
	s_mov_b64 s[10:11], exec
	s_andn2_b64 s[46:47], s[46:47], exec
	s_trap 2
                                        ; implicit-def: $vgpr0_vgpr1
	s_or_b64 exec, exec, s[0:1]
	s_and_saveexec_b64 s[0:1], s[46:47]
	s_xor_b64 s[0:1], exec, s[0:1]
	s_cbranch_execnz .LBB71_404
.LBB71_1290:
	s_or_b64 exec, exec, s[0:1]
	s_and_saveexec_b64 s[0:1], s[50:51]
	s_cbranch_execz .LBB71_1336
.LBB71_1291:
	v_cmp_gt_i16_e32 vcc, 5, v3
	s_cbranch_vccnz .LBB71_1296
; %bb.1292:
	v_cmp_gt_i16_e32 vcc, 8, v3
	s_cbranch_vccnz .LBB71_1297
; %bb.1293:
	;; [unrolled: 3-line block ×3, first 2 shown]
	v_cmp_lt_i16_e32 vcc, 9, v3
	s_cbranch_vccz .LBB71_1299
; %bb.1295:
	s_waitcnt vmcnt(0)
	global_load_dwordx2 v[0:1], v[6:7], off
	s_mov_b64 s[12:13], 0
	s_branch .LBB71_1300
.LBB71_1296:
                                        ; implicit-def: $vgpr0_vgpr1
	s_branch .LBB71_1317
.LBB71_1297:
                                        ; implicit-def: $vgpr0_vgpr1
	s_branch .LBB71_1306
.LBB71_1298:
	s_mov_b64 s[12:13], -1
                                        ; implicit-def: $vgpr0_vgpr1
	s_branch .LBB71_1303
.LBB71_1299:
	s_mov_b64 s[12:13], -1
                                        ; implicit-def: $vgpr0_vgpr1
.LBB71_1300:
	s_andn2_b64 vcc, exec, s[12:13]
	s_cbranch_vccnz .LBB71_1302
; %bb.1301:
	s_waitcnt vmcnt(0)
	global_load_dword v0, v[6:7], off
	s_waitcnt vmcnt(0)
	v_cvt_f64_f32_e32 v[0:1], v0
.LBB71_1302:
	s_mov_b64 s[12:13], 0
.LBB71_1303:
	s_andn2_b64 vcc, exec, s[12:13]
	s_cbranch_vccnz .LBB71_1305
; %bb.1304:
	s_waitcnt vmcnt(0)
	global_load_dword v0, v[6:7], off
	s_waitcnt vmcnt(0)
	v_cvt_f32_f16_e32 v0, v0
	v_cvt_f64_f32_e32 v[0:1], v0
.LBB71_1305:
	s_cbranch_execnz .LBB71_1316
.LBB71_1306:
	v_cmp_gt_i16_e32 vcc, 6, v3
	s_cbranch_vccnz .LBB71_1309
; %bb.1307:
	v_cmp_lt_i16_e32 vcc, 6, v3
	s_cbranch_vccz .LBB71_1310
; %bb.1308:
	s_waitcnt vmcnt(0)
	global_load_dwordx2 v[0:1], v[6:7], off
	s_mov_b64 s[12:13], 0
	s_branch .LBB71_1311
.LBB71_1309:
	s_mov_b64 s[12:13], -1
                                        ; implicit-def: $vgpr0_vgpr1
	s_branch .LBB71_1314
.LBB71_1310:
	s_mov_b64 s[12:13], -1
                                        ; implicit-def: $vgpr0_vgpr1
.LBB71_1311:
	s_andn2_b64 vcc, exec, s[12:13]
	s_cbranch_vccnz .LBB71_1313
; %bb.1312:
	s_waitcnt vmcnt(0)
	global_load_dword v0, v[6:7], off
	s_waitcnt vmcnt(0)
	v_cvt_f64_f32_e32 v[0:1], v0
.LBB71_1313:
	s_mov_b64 s[12:13], 0
.LBB71_1314:
	s_andn2_b64 vcc, exec, s[12:13]
	s_cbranch_vccnz .LBB71_1316
; %bb.1315:
	s_waitcnt vmcnt(0)
	global_load_ushort v0, v[6:7], off
	s_waitcnt vmcnt(0)
	v_cvt_f32_f16_e32 v0, v0
	v_cvt_f64_f32_e32 v[0:1], v0
.LBB71_1316:
	s_cbranch_execnz .LBB71_1335
.LBB71_1317:
	v_cmp_gt_i16_e32 vcc, 2, v3
	s_cbranch_vccnz .LBB71_1321
; %bb.1318:
	v_cmp_gt_i16_e32 vcc, 3, v3
	s_cbranch_vccnz .LBB71_1322
; %bb.1319:
	v_cmp_lt_i16_e32 vcc, 3, v3
	s_cbranch_vccz .LBB71_1323
; %bb.1320:
	s_waitcnt vmcnt(0)
	global_load_dwordx2 v[0:1], v[6:7], off
	s_mov_b64 s[12:13], 0
	s_waitcnt vmcnt(0)
	v_cvt_f64_i32_e32 v[8:9], v1
	v_cvt_f64_u32_e32 v[0:1], v0
	v_ldexp_f64 v[8:9], v[8:9], 32
	v_add_f64 v[0:1], v[8:9], v[0:1]
	s_branch .LBB71_1324
.LBB71_1321:
                                        ; implicit-def: $vgpr0_vgpr1
	s_branch .LBB71_1330
.LBB71_1322:
	s_mov_b64 s[12:13], -1
                                        ; implicit-def: $vgpr0_vgpr1
	s_branch .LBB71_1327
.LBB71_1323:
	s_mov_b64 s[12:13], -1
                                        ; implicit-def: $vgpr0_vgpr1
.LBB71_1324:
	s_andn2_b64 vcc, exec, s[12:13]
	s_cbranch_vccnz .LBB71_1326
; %bb.1325:
	s_waitcnt vmcnt(0)
	global_load_dword v0, v[6:7], off
	s_waitcnt vmcnt(0)
	v_cvt_f64_i32_e32 v[0:1], v0
.LBB71_1326:
	s_mov_b64 s[12:13], 0
.LBB71_1327:
	s_andn2_b64 vcc, exec, s[12:13]
	s_cbranch_vccnz .LBB71_1329
; %bb.1328:
	s_waitcnt vmcnt(0)
	global_load_sshort v0, v[6:7], off
	s_waitcnt vmcnt(0)
	v_cvt_f64_i32_e32 v[0:1], v0
.LBB71_1329:
	s_cbranch_execnz .LBB71_1335
.LBB71_1330:
	v_cmp_lt_i16_e32 vcc, 0, v3
	s_cbranch_vccz .LBB71_1332
; %bb.1331:
	s_waitcnt vmcnt(0)
	global_load_sbyte v0, v[6:7], off
	s_mov_b64 s[12:13], 0
	s_waitcnt vmcnt(0)
	v_cvt_f64_i32_e32 v[0:1], v0
	s_branch .LBB71_1333
.LBB71_1332:
	s_mov_b64 s[12:13], -1
                                        ; implicit-def: $vgpr0_vgpr1
.LBB71_1333:
	s_andn2_b64 vcc, exec, s[12:13]
	s_cbranch_vccnz .LBB71_1335
; %bb.1334:
	s_waitcnt vmcnt(0)
	global_load_ubyte v0, v[6:7], off
	s_waitcnt vmcnt(0)
	v_cvt_f64_u32_e32 v[0:1], v0
.LBB71_1335:
	s_or_b64 s[48:49], s[48:49], exec
.LBB71_1336:
	s_or_b64 exec, exec, s[0:1]
	s_mov_b64 s[14:15], 0
	s_mov_b64 s[18:19], 0
	;; [unrolled: 1-line block ×3, first 2 shown]
                                        ; implicit-def: $vgpr3
                                        ; implicit-def: $vgpr6_vgpr7
                                        ; implicit-def: $vgpr8_vgpr9
	s_and_saveexec_b64 s[0:1], s[48:49]
	s_cbranch_execz .LBB71_1344
; %bb.1337:
	v_mov_b32_e32 v3, s25
	s_waitcnt vmcnt(0)
	v_add_co_u32_e32 v6, vcc, s24, v4
	v_addc_co_u32_e32 v7, vcc, 0, v3, vcc
	v_and_b32_e32 v3, 0xff, v11
	v_cmp_gt_i16_e32 vcc, 11, v3
	s_cbranch_vccnz .LBB71_1347
; %bb.1338:
	v_cmp_lt_i16_e32 vcc, 25, v3
	s_cbranch_vccz .LBB71_1348
; %bb.1339:
	v_cmp_lt_i16_e32 vcc, 28, v3
	s_cbranch_vccz .LBB71_1349
	;; [unrolled: 3-line block ×4, first 2 shown]
; %bb.1342:
	v_cmp_eq_u16_e32 vcc, 46, v3
	s_cbranch_vccz .LBB71_1352
; %bb.1343:
	global_load_dword v4, v[6:7], off
	s_mov_b64 s[12:13], 0
	s_mov_b64 s[16:17], -1
	s_waitcnt vmcnt(0)
	v_lshlrev_b32_e32 v4, 16, v4
	v_cvt_f64_f32_e32 v[8:9], v4
	s_branch .LBB71_1354
.LBB71_1344:
	s_or_b64 exec, exec, s[0:1]
	s_and_saveexec_b64 s[0:1], s[38:39]
	s_cbranch_execnz .LBB71_1417
.LBB71_1345:
	s_or_b64 exec, exec, s[0:1]
	s_and_saveexec_b64 s[0:1], s[14:15]
	s_xor_b64 s[0:1], exec, s[0:1]
	s_cbranch_execz .LBB71_1418
.LBB71_1346:
	s_waitcnt vmcnt(0)
	global_load_ubyte v4, v[6:7], off
	v_mov_b32_e32 v5, 0x3ff00000
	s_or_b64 s[16:17], s[16:17], exec
	s_waitcnt vmcnt(0)
	v_cmp_ne_u16_e32 vcc, 0, v4
	v_cndmask_b32_e32 v9, 0, v5, vcc
	s_or_b64 exec, exec, s[0:1]
	s_and_saveexec_b64 s[0:1], s[18:19]
	s_cbranch_execz .LBB71_1464
	s_branch .LBB71_1419
.LBB71_1347:
	s_mov_b64 s[18:19], -1
                                        ; implicit-def: $vgpr8_vgpr9
	s_mov_b64 s[12:13], s[38:39]
	s_branch .LBB71_1416
.LBB71_1348:
	s_mov_b64 s[12:13], s[38:39]
                                        ; implicit-def: $vgpr8_vgpr9
	s_cbranch_execnz .LBB71_1383
	s_branch .LBB71_1415
.LBB71_1349:
	s_mov_b64 s[18:19], -1
	s_mov_b64 s[12:13], s[38:39]
                                        ; implicit-def: $vgpr8_vgpr9
	s_branch .LBB71_1364
.LBB71_1350:
	s_mov_b64 s[18:19], -1
	s_mov_b64 s[12:13], s[38:39]
                                        ; implicit-def: $vgpr8_vgpr9
	s_branch .LBB71_1359
.LBB71_1351:
	s_mov_b64 s[18:19], -1
	s_mov_b64 s[12:13], s[38:39]
	s_branch .LBB71_1353
.LBB71_1352:
	s_mov_b64 s[12:13], -1
.LBB71_1353:
                                        ; implicit-def: $vgpr8_vgpr9
.LBB71_1354:
	s_and_b64 vcc, exec, s[18:19]
	s_cbranch_vccz .LBB71_1358
; %bb.1355:
	v_cmp_eq_u16_e32 vcc, 44, v3
	s_cbranch_vccz .LBB71_1357
; %bb.1356:
	global_load_ubyte v8, v[6:7], off
	s_movk_i32 s16, 0xff
	v_mov_b32_e32 v9, 0x7ff80000
	v_bfrev_b32_e32 v11, 28
	s_mov_b64 s[12:13], 0
	s_waitcnt vmcnt(0)
	v_lshlrev_b32_e32 v4, 23, v8
	v_cvt_f64_f32_e32 v[4:5], v4
	v_cmp_ne_u32_e32 vcc, s16, v8
	v_cndmask_b32_e32 v4, v9, v5, vcc
	v_cmp_ne_u32_e32 vcc, 0, v8
	v_cndmask_b32_e32 v9, v11, v4, vcc
	s_mov_b64 s[16:17], -1
	s_branch .LBB71_1358
.LBB71_1357:
	s_mov_b64 s[12:13], -1
                                        ; implicit-def: $vgpr8_vgpr9
.LBB71_1358:
	s_mov_b64 s[18:19], 0
.LBB71_1359:
	s_and_b64 vcc, exec, s[18:19]
	s_cbranch_vccz .LBB71_1363
; %bb.1360:
	v_cmp_eq_u16_e32 vcc, 29, v3
	s_cbranch_vccz .LBB71_1362
; %bb.1361:
	global_load_dwordx2 v[4:5], v[6:7], off
	s_mov_b64 s[12:13], 0
	s_mov_b64 s[16:17], -1
	s_mov_b64 s[18:19], 0
	s_waitcnt vmcnt(0)
	v_cvt_f64_u32_e32 v[8:9], v5
	v_cvt_f64_u32_e32 v[4:5], v4
	v_ldexp_f64 v[8:9], v[8:9], 32
	v_add_f64 v[8:9], v[8:9], v[4:5]
	s_branch .LBB71_1364
.LBB71_1362:
	s_mov_b64 s[12:13], -1
                                        ; implicit-def: $vgpr8_vgpr9
.LBB71_1363:
	s_mov_b64 s[18:19], 0
.LBB71_1364:
	s_and_b64 vcc, exec, s[18:19]
	s_cbranch_vccz .LBB71_1382
; %bb.1365:
	v_cmp_gt_i16_e32 vcc, 27, v3
	s_cbranch_vccnz .LBB71_1368
; %bb.1366:
	v_cmp_lt_i16_e32 vcc, 27, v3
	s_cbranch_vccz .LBB71_1369
; %bb.1367:
	global_load_dword v4, v[6:7], off
	s_mov_b64 s[16:17], 0
	s_waitcnt vmcnt(0)
	v_cvt_f64_u32_e32 v[8:9], v4
	s_branch .LBB71_1370
.LBB71_1368:
	s_mov_b64 s[16:17], -1
                                        ; implicit-def: $vgpr8_vgpr9
	s_branch .LBB71_1373
.LBB71_1369:
	s_mov_b64 s[16:17], -1
                                        ; implicit-def: $vgpr8_vgpr9
.LBB71_1370:
	s_andn2_b64 vcc, exec, s[16:17]
	s_cbranch_vccnz .LBB71_1372
; %bb.1371:
	global_load_ushort v4, v[6:7], off
	s_waitcnt vmcnt(0)
	v_cvt_f64_u32_e32 v[8:9], v4
.LBB71_1372:
	s_mov_b64 s[16:17], 0
.LBB71_1373:
	s_andn2_b64 vcc, exec, s[16:17]
	s_cbranch_vccnz .LBB71_1381
; %bb.1374:
	global_load_ubyte v4, v[6:7], off
	s_movk_i32 s16, 0x7f
                                        ; implicit-def: $sgpr18_sgpr19
	s_waitcnt vmcnt(0)
	v_cmp_lt_i16_e32 vcc, s16, v4
	s_mov_b64 s[16:17], 0
	s_and_saveexec_b64 s[24:25], vcc
	s_xor_b64 s[24:25], exec, s[24:25]
	s_cbranch_execz .LBB71_1394
; %bb.1375:
	s_movk_i32 s16, 0x80
	v_cmp_eq_u16_e32 vcc, s16, v4
	s_mov_b64 s[26:27], -1
                                        ; implicit-def: $sgpr18_sgpr19
	s_and_saveexec_b64 s[16:17], vcc
; %bb.1376:
	s_mov_b32 s19, 0x7ff80000
	s_brev_b32 s18, 4
	s_xor_b64 s[26:27], exec, -1
; %bb.1377:
	s_or_b64 exec, exec, s[16:17]
	s_and_b64 s[16:17], s[26:27], exec
	s_or_saveexec_b64 s[24:25], s[24:25]
	v_pk_mov_b32 v[8:9], s[18:19], s[18:19] op_sel:[0,1]
	s_xor_b64 exec, exec, s[24:25]
	s_cbranch_execnz .LBB71_1395
.LBB71_1378:
	s_or_b64 exec, exec, s[24:25]
	s_and_saveexec_b64 s[18:19], s[16:17]
	s_cbranch_execz .LBB71_1380
.LBB71_1379:
	v_lshlrev_b32_e32 v5, 24, v4
	v_and_b32_e32 v4, 0xffff, v4
	v_and_b32_e32 v8, 7, v4
	v_ffbh_u32_e32 v11, v8
	v_min_u32_e32 v11, 32, v11
	v_subrev_u32_e32 v12, 28, v11
	v_bfe_u32 v9, v4, 3, 4
	v_lshlrev_b32_e32 v4, v12, v4
	v_sub_u32_e32 v11, 29, v11
	v_and_b32_e32 v4, 7, v4
	v_cmp_eq_u32_e32 vcc, 0, v9
	v_cndmask_b32_e32 v9, v9, v11, vcc
	v_cndmask_b32_e32 v4, v8, v4, vcc
	v_mov_b32_e32 v8, 0x3b800000
	v_lshlrev_b32_e32 v4, 20, v4
	v_and_b32_e32 v5, 0x80000000, v5
	v_lshl_add_u32 v8, v9, 23, v8
	v_or3_b32 v4, v5, v8, v4
	v_cvt_f64_f32_e32 v[8:9], v4
.LBB71_1380:
	s_or_b64 exec, exec, s[18:19]
.LBB71_1381:
	s_mov_b64 s[16:17], -1
.LBB71_1382:
	s_branch .LBB71_1415
.LBB71_1383:
	v_cmp_lt_i16_e32 vcc, 22, v3
	s_cbranch_vccz .LBB71_1393
; %bb.1384:
	v_cmp_gt_i16_e32 vcc, 24, v3
	s_cbranch_vccnz .LBB71_1396
; %bb.1385:
	v_cmp_lt_i16_e32 vcc, 24, v3
	s_cbranch_vccz .LBB71_1397
; %bb.1386:
	global_load_ubyte v4, v[6:7], off
	s_movk_i32 s14, 0x7f
                                        ; implicit-def: $sgpr16_sgpr17
	s_waitcnt vmcnt(0)
	v_cmp_lt_i16_e32 vcc, s14, v4
	s_mov_b64 s[14:15], 0
	s_and_saveexec_b64 s[18:19], vcc
	s_xor_b64 s[18:19], exec, s[18:19]
	s_cbranch_execz .LBB71_1409
; %bb.1387:
	s_movk_i32 s14, 0x80
	v_cmp_eq_u16_e32 vcc, s14, v4
	s_mov_b64 s[24:25], -1
                                        ; implicit-def: $sgpr16_sgpr17
	s_and_saveexec_b64 s[14:15], vcc
; %bb.1388:
	s_mov_b32 s17, 0x7ff80000
	s_brev_b32 s16, 4
	s_xor_b64 s[24:25], exec, -1
; %bb.1389:
	s_or_b64 exec, exec, s[14:15]
	s_and_b64 s[14:15], s[24:25], exec
	s_or_saveexec_b64 s[18:19], s[18:19]
	v_pk_mov_b32 v[8:9], s[16:17], s[16:17] op_sel:[0,1]
	s_xor_b64 exec, exec, s[18:19]
	s_cbranch_execnz .LBB71_1410
.LBB71_1390:
	s_or_b64 exec, exec, s[18:19]
	s_and_saveexec_b64 s[16:17], s[14:15]
	s_cbranch_execz .LBB71_1392
.LBB71_1391:
	v_lshlrev_b32_e32 v5, 24, v4
	v_and_b32_e32 v4, 0xffff, v4
	v_and_b32_e32 v8, 3, v4
	v_ffbh_u32_e32 v11, v8
	v_min_u32_e32 v11, 32, v11
	v_subrev_u32_e32 v12, 29, v11
	v_bfe_u32 v9, v4, 2, 5
	v_lshlrev_b32_e32 v4, v12, v4
	v_sub_u32_e32 v11, 30, v11
	v_and_b32_e32 v4, 3, v4
	v_cmp_eq_u32_e32 vcc, 0, v9
	v_cndmask_b32_e32 v9, v9, v11, vcc
	v_cndmask_b32_e32 v4, v8, v4, vcc
	v_mov_b32_e32 v8, 0x37800000
	v_lshlrev_b32_e32 v4, 21, v4
	v_and_b32_e32 v5, 0x80000000, v5
	v_lshl_add_u32 v8, v9, 23, v8
	v_or3_b32 v4, v5, v8, v4
	v_cvt_f64_f32_e32 v[8:9], v4
.LBB71_1392:
	s_or_b64 exec, exec, s[16:17]
	s_mov_b64 s[14:15], 0
	s_branch .LBB71_1398
.LBB71_1393:
	s_mov_b64 s[14:15], -1
                                        ; implicit-def: $vgpr8_vgpr9
	s_branch .LBB71_1404
.LBB71_1394:
	s_or_saveexec_b64 s[24:25], s[24:25]
	v_pk_mov_b32 v[8:9], s[18:19], s[18:19] op_sel:[0,1]
	s_xor_b64 exec, exec, s[24:25]
	s_cbranch_execz .LBB71_1378
.LBB71_1395:
	v_cmp_ne_u16_e32 vcc, 0, v4
	s_andn2_b64 s[16:17], s[16:17], exec
	s_and_b64 s[18:19], vcc, exec
	v_pk_mov_b32 v[8:9], 0, 0
	s_or_b64 s[16:17], s[16:17], s[18:19]
	s_or_b64 exec, exec, s[24:25]
	s_and_saveexec_b64 s[18:19], s[16:17]
	s_cbranch_execnz .LBB71_1379
	s_branch .LBB71_1380
.LBB71_1396:
	s_mov_b64 s[14:15], -1
                                        ; implicit-def: $vgpr8_vgpr9
	s_branch .LBB71_1401
.LBB71_1397:
	s_mov_b64 s[14:15], -1
                                        ; implicit-def: $vgpr8_vgpr9
.LBB71_1398:
	s_and_b64 vcc, exec, s[14:15]
	s_cbranch_vccz .LBB71_1400
; %bb.1399:
	global_load_ubyte v4, v[6:7], off
	s_mov_b32 s14, 0x7f800000
	s_waitcnt vmcnt(0)
	v_lshlrev_b32_e32 v4, 24, v4
	v_and_b32_e32 v5, 0x7f000000, v4
	v_ffbh_u32_e32 v8, v5
	v_min_u32_e32 v8, 32, v8
	v_sub_u32_e64 v8, v8, 4 clamp
	v_lshlrev_b32_e32 v11, v8, v5
	v_lshlrev_b32_e32 v8, 23, v8
	v_lshrrev_b32_e32 v11, 4, v11
	v_add_u32_e32 v9, 0x1000000, v5
	v_sub_u32_e32 v8, v11, v8
	v_ashrrev_i32_e32 v9, 8, v9
	v_add_u32_e32 v8, 0x3c000000, v8
	v_and_or_b32 v8, v9, s14, v8
	v_cmp_ne_u32_e32 vcc, 0, v5
	v_cndmask_b32_e32 v5, 0, v8, vcc
	s_brev_b32 s14, 1
	v_and_or_b32 v4, v4, s14, v5
	v_cvt_f64_f32_e32 v[8:9], v4
.LBB71_1400:
	s_mov_b64 s[14:15], 0
.LBB71_1401:
	s_andn2_b64 vcc, exec, s[14:15]
	s_cbranch_vccnz .LBB71_1403
; %bb.1402:
	global_load_ubyte v4, v[6:7], off
	s_movk_i32 s14, 0x7f00
	s_brev_b32 s15, 16
	s_waitcnt vmcnt(0)
	v_lshlrev_b16_e32 v5, 8, v4
	v_lshlrev_b32_e32 v4, 25, v4
	v_lshrrev_b32_e32 v8, 4, v4
	v_and_or_b32 v9, v5, s14, 0.5
	v_or_b32_e32 v8, 0x70000000, v8
	v_add_f32_e32 v9, -0.5, v9
	v_mul_f32_e32 v8, 0x7800000, v8
	v_cmp_gt_u32_e32 vcc, s15, v4
	v_bfe_i32 v5, v5, 0, 16
	v_cndmask_b32_e32 v4, v8, v9, vcc
	s_brev_b32 s14, 1
	v_and_or_b32 v4, v5, s14, v4
	v_cvt_f64_f32_e32 v[8:9], v4
.LBB71_1403:
	s_mov_b64 s[14:15], 0
	s_mov_b64 s[16:17], -1
.LBB71_1404:
	s_andn2_b64 vcc, exec, s[14:15]
	s_mov_b64 s[14:15], 0
	s_cbranch_vccnz .LBB71_1415
; %bb.1405:
	v_cmp_lt_i16_e32 vcc, 14, v3
	s_cbranch_vccz .LBB71_1408
; %bb.1406:
	v_cmp_eq_u16_e32 vcc, 15, v3
	s_cbranch_vccz .LBB71_1411
; %bb.1407:
	global_load_ushort v4, v[6:7], off
	s_mov_b64 s[12:13], 0
	s_mov_b64 s[16:17], -1
	s_waitcnt vmcnt(0)
	v_lshlrev_b32_e32 v4, 16, v4
	v_cvt_f64_f32_e32 v[8:9], v4
	s_branch .LBB71_1412
.LBB71_1408:
	s_mov_b64 s[18:19], -1
                                        ; implicit-def: $vgpr8_vgpr9
	s_branch .LBB71_1413
.LBB71_1409:
	s_or_saveexec_b64 s[18:19], s[18:19]
	v_pk_mov_b32 v[8:9], s[16:17], s[16:17] op_sel:[0,1]
	s_xor_b64 exec, exec, s[18:19]
	s_cbranch_execz .LBB71_1390
.LBB71_1410:
	v_cmp_ne_u16_e32 vcc, 0, v4
	s_andn2_b64 s[14:15], s[14:15], exec
	s_and_b64 s[16:17], vcc, exec
	v_pk_mov_b32 v[8:9], 0, 0
	s_or_b64 s[14:15], s[14:15], s[16:17]
	s_or_b64 exec, exec, s[18:19]
	s_and_saveexec_b64 s[16:17], s[14:15]
	s_cbranch_execnz .LBB71_1391
	s_branch .LBB71_1392
.LBB71_1411:
	s_mov_b64 s[12:13], -1
                                        ; implicit-def: $vgpr8_vgpr9
.LBB71_1412:
	s_mov_b64 s[18:19], 0
.LBB71_1413:
	s_and_b64 vcc, exec, s[18:19]
	s_cbranch_vccz .LBB71_1415
; %bb.1414:
	v_cmp_ne_u16_e32 vcc, 11, v3
	s_andn2_b64 s[12:13], s[12:13], exec
	s_and_b64 s[18:19], vcc, exec
	s_mov_b64 s[14:15], -1
	s_or_b64 s[12:13], s[12:13], s[18:19]
                                        ; implicit-def: $vgpr8_vgpr9
.LBB71_1415:
	s_mov_b64 s[18:19], 0
.LBB71_1416:
	s_andn2_b64 s[24:25], s[38:39], exec
	s_and_b64 s[12:13], s[12:13], exec
	s_and_b64 s[16:17], s[16:17], exec
	;; [unrolled: 1-line block ×4, first 2 shown]
	s_or_b64 s[38:39], s[24:25], s[12:13]
	s_or_b64 exec, exec, s[0:1]
	s_and_saveexec_b64 s[0:1], s[38:39]
	s_cbranch_execz .LBB71_1345
.LBB71_1417:
	s_or_b64 s[10:11], s[10:11], exec
	s_andn2_b64 s[14:15], s[14:15], exec
	s_trap 2
                                        ; implicit-def: $vgpr8_vgpr9
	s_or_b64 exec, exec, s[0:1]
	s_and_saveexec_b64 s[0:1], s[14:15]
	s_xor_b64 s[0:1], exec, s[0:1]
	s_cbranch_execnz .LBB71_1346
.LBB71_1418:
	s_or_b64 exec, exec, s[0:1]
	s_and_saveexec_b64 s[0:1], s[18:19]
	s_cbranch_execz .LBB71_1464
.LBB71_1419:
	v_cmp_gt_i16_e32 vcc, 5, v3
	s_cbranch_vccnz .LBB71_1424
; %bb.1420:
	v_cmp_gt_i16_e32 vcc, 8, v3
	s_cbranch_vccnz .LBB71_1425
; %bb.1421:
	;; [unrolled: 3-line block ×3, first 2 shown]
	v_cmp_lt_i16_e32 vcc, 9, v3
	s_cbranch_vccz .LBB71_1427
; %bb.1423:
	s_waitcnt vmcnt(0)
	global_load_dwordx2 v[8:9], v[6:7], off
	s_mov_b64 s[12:13], 0
	s_branch .LBB71_1428
.LBB71_1424:
                                        ; implicit-def: $vgpr8_vgpr9
	s_branch .LBB71_1445
.LBB71_1425:
                                        ; implicit-def: $vgpr8_vgpr9
	s_branch .LBB71_1434
.LBB71_1426:
	s_mov_b64 s[12:13], -1
                                        ; implicit-def: $vgpr8_vgpr9
	s_branch .LBB71_1431
.LBB71_1427:
	s_mov_b64 s[12:13], -1
                                        ; implicit-def: $vgpr8_vgpr9
.LBB71_1428:
	s_andn2_b64 vcc, exec, s[12:13]
	s_cbranch_vccnz .LBB71_1430
; %bb.1429:
	s_waitcnt vmcnt(0)
	global_load_dword v4, v[6:7], off
	s_waitcnt vmcnt(0)
	v_cvt_f64_f32_e32 v[8:9], v4
.LBB71_1430:
	s_mov_b64 s[12:13], 0
.LBB71_1431:
	s_andn2_b64 vcc, exec, s[12:13]
	s_cbranch_vccnz .LBB71_1433
; %bb.1432:
	s_waitcnt vmcnt(0)
	global_load_dword v4, v[6:7], off
	s_waitcnt vmcnt(0)
	v_cvt_f32_f16_e32 v4, v4
	v_cvt_f64_f32_e32 v[8:9], v4
.LBB71_1433:
	s_cbranch_execnz .LBB71_1444
.LBB71_1434:
	v_cmp_gt_i16_e32 vcc, 6, v3
	s_cbranch_vccnz .LBB71_1437
; %bb.1435:
	v_cmp_lt_i16_e32 vcc, 6, v3
	s_cbranch_vccz .LBB71_1438
; %bb.1436:
	s_waitcnt vmcnt(0)
	global_load_dwordx2 v[8:9], v[6:7], off
	s_mov_b64 s[12:13], 0
	s_branch .LBB71_1439
.LBB71_1437:
	s_mov_b64 s[12:13], -1
                                        ; implicit-def: $vgpr8_vgpr9
	s_branch .LBB71_1442
.LBB71_1438:
	s_mov_b64 s[12:13], -1
                                        ; implicit-def: $vgpr8_vgpr9
.LBB71_1439:
	s_andn2_b64 vcc, exec, s[12:13]
	s_cbranch_vccnz .LBB71_1441
; %bb.1440:
	s_waitcnt vmcnt(0)
	global_load_dword v4, v[6:7], off
	s_waitcnt vmcnt(0)
	v_cvt_f64_f32_e32 v[8:9], v4
.LBB71_1441:
	s_mov_b64 s[12:13], 0
.LBB71_1442:
	s_andn2_b64 vcc, exec, s[12:13]
	s_cbranch_vccnz .LBB71_1444
; %bb.1443:
	s_waitcnt vmcnt(0)
	global_load_ushort v4, v[6:7], off
	s_waitcnt vmcnt(0)
	v_cvt_f32_f16_e32 v4, v4
	v_cvt_f64_f32_e32 v[8:9], v4
.LBB71_1444:
	s_cbranch_execnz .LBB71_1463
.LBB71_1445:
	v_cmp_gt_i16_e32 vcc, 2, v3
	s_cbranch_vccnz .LBB71_1449
; %bb.1446:
	v_cmp_gt_i16_e32 vcc, 3, v3
	s_cbranch_vccnz .LBB71_1450
; %bb.1447:
	v_cmp_lt_i16_e32 vcc, 3, v3
	s_cbranch_vccz .LBB71_1451
; %bb.1448:
	s_waitcnt vmcnt(0)
	global_load_dwordx2 v[4:5], v[6:7], off
	s_mov_b64 s[12:13], 0
	s_waitcnt vmcnt(0)
	v_cvt_f64_i32_e32 v[8:9], v5
	v_cvt_f64_u32_e32 v[4:5], v4
	v_ldexp_f64 v[8:9], v[8:9], 32
	v_add_f64 v[8:9], v[8:9], v[4:5]
	s_branch .LBB71_1452
.LBB71_1449:
                                        ; implicit-def: $vgpr8_vgpr9
	s_branch .LBB71_1458
.LBB71_1450:
	s_mov_b64 s[12:13], -1
                                        ; implicit-def: $vgpr8_vgpr9
	s_branch .LBB71_1455
.LBB71_1451:
	s_mov_b64 s[12:13], -1
                                        ; implicit-def: $vgpr8_vgpr9
.LBB71_1452:
	s_andn2_b64 vcc, exec, s[12:13]
	s_cbranch_vccnz .LBB71_1454
; %bb.1453:
	s_waitcnt vmcnt(0)
	global_load_dword v4, v[6:7], off
	s_waitcnt vmcnt(0)
	v_cvt_f64_i32_e32 v[8:9], v4
.LBB71_1454:
	s_mov_b64 s[12:13], 0
.LBB71_1455:
	s_andn2_b64 vcc, exec, s[12:13]
	s_cbranch_vccnz .LBB71_1457
; %bb.1456:
	s_waitcnt vmcnt(0)
	global_load_sshort v4, v[6:7], off
	s_waitcnt vmcnt(0)
	v_cvt_f64_i32_e32 v[8:9], v4
.LBB71_1457:
	s_cbranch_execnz .LBB71_1463
.LBB71_1458:
	v_cmp_lt_i16_e32 vcc, 0, v3
	s_cbranch_vccz .LBB71_1460
; %bb.1459:
	s_waitcnt vmcnt(0)
	global_load_sbyte v3, v[6:7], off
	s_mov_b64 s[12:13], 0
	s_waitcnt vmcnt(0)
	v_cvt_f64_i32_e32 v[8:9], v3
	s_branch .LBB71_1461
.LBB71_1460:
	s_mov_b64 s[12:13], -1
                                        ; implicit-def: $vgpr8_vgpr9
.LBB71_1461:
	s_andn2_b64 vcc, exec, s[12:13]
	s_cbranch_vccnz .LBB71_1463
; %bb.1462:
	s_waitcnt vmcnt(0)
	global_load_ubyte v3, v[6:7], off
	s_waitcnt vmcnt(0)
	v_cvt_f64_u32_e32 v[8:9], v3
.LBB71_1463:
	s_or_b64 s[16:17], s[16:17], exec
.LBB71_1464:
	s_or_b64 exec, exec, s[0:1]
	s_mov_b64 s[18:19], 0
	s_mov_b64 s[14:15], 0
                                        ; implicit-def: $vgpr6
                                        ; implicit-def: $vgpr4_vgpr5
	s_and_saveexec_b64 s[12:13], s[16:17]
	s_cbranch_execz .LBB71_1539
; %bb.1465:
	v_mov_b32_e32 v3, s9
	v_add_co_u32_e32 v4, vcc, s8, v2
	v_addc_co_u32_e32 v5, vcc, 0, v3, vcc
	s_waitcnt vmcnt(0)
	v_and_b32_e32 v6, 0xff, v10
	s_brev_b32 s0, -2
	v_cmp_gt_i16_e32 vcc, 11, v6
	v_bfi_b32 v1, s0, v1, v9
	s_cbranch_vccnz .LBB71_1542
; %bb.1466:
	v_cmp_lt_i16_e32 vcc, 25, v6
	s_mov_b64 s[14:15], -1
	s_mov_b64 s[0:1], s[36:37]
	s_cbranch_vccz .LBB71_1499
; %bb.1467:
	v_cmp_lt_i16_e32 vcc, 28, v6
	s_mov_b64 s[8:9], -1
	s_mov_b64 s[0:1], s[36:37]
	s_cbranch_vccz .LBB71_1483
; %bb.1468:
	v_cmp_lt_i16_e32 vcc, 43, v6
	s_mov_b64 s[0:1], s[36:37]
	s_cbranch_vccz .LBB71_1479
; %bb.1469:
	v_cmp_lt_i16_e32 vcc, 45, v6
	s_mov_b64 s[0:1], s[36:37]
	s_cbranch_vccz .LBB71_1473
; %bb.1470:
	v_cmp_eq_u16_e32 vcc, 46, v6
	s_mov_b64 s[0:1], -1
	s_cbranch_vccz .LBB71_1472
; %bb.1471:
	v_cvt_f32_f64_e32 v2, v[0:1]
	v_bfe_u32 v3, v2, 16, 1
	s_movk_i32 s0, 0x7fff
	v_add3_u32 v3, v2, v3, s0
	v_lshrrev_b32_e32 v3, 16, v3
	v_mov_b32_e32 v7, 0x7fc0
	v_cmp_o_f32_e32 vcc, v2, v2
	v_cndmask_b32_e32 v2, v7, v3, vcc
	global_store_dword v[4:5], v2, off
	s_mov_b64 s[0:1], 0
.LBB71_1472:
	s_mov_b64 s[8:9], 0
.LBB71_1473:
	s_and_b64 vcc, exec, s[8:9]
	s_cbranch_vccz .LBB71_1478
; %bb.1474:
	v_cmp_eq_u16_e32 vcc, 44, v6
	s_mov_b64 s[0:1], -1
	s_cbranch_vccz .LBB71_1478
; %bb.1475:
	v_cvt_f32_f64_e32 v2, v[0:1]
	v_bfe_u32 v3, v2, 23, 8
	s_movk_i32 s0, 0xff
	v_cmp_ne_u32_e32 vcc, s0, v3
	v_mov_b32_e32 v7, 0xff
	s_and_saveexec_b64 s[8:9], vcc
; %bb.1476:
	s_mov_b32 s0, 0x3fffff
	v_lshrrev_b32_e32 v7, 23, v2
	v_and_b32_e32 v8, 0x400000, v2
	v_and_or_b32 v2, v2, s0, v3
	v_cmp_ne_u32_e32 vcc, 0, v8
	v_cmp_ne_u32_e64 s[0:1], 0, v2
	s_and_b64 s[0:1], vcc, s[0:1]
	v_cndmask_b32_e64 v2, 0, 1, s[0:1]
	v_add_u32_e32 v7, v7, v2
; %bb.1477:
	s_or_b64 exec, exec, s[8:9]
	s_mov_b64 s[0:1], 0
	global_store_byte v[4:5], v7, off
.LBB71_1478:
	s_mov_b64 s[8:9], 0
.LBB71_1479:
	s_and_b64 vcc, exec, s[8:9]
	s_cbranch_vccz .LBB71_1482
; %bb.1480:
	v_cmp_eq_u16_e32 vcc, 29, v6
	s_mov_b64 s[0:1], -1
	s_cbranch_vccz .LBB71_1482
; %bb.1481:
	v_trunc_f64_e32 v[2:3], v[0:1]
	s_movk_i32 s0, 0xffe0
	v_ldexp_f64 v[8:9], v[2:3], s0
	v_floor_f64_e32 v[8:9], v[8:9]
	v_fmac_f64_e32 v[2:3], 0xc1f00000, v[8:9]
	v_cvt_u32_f64_e32 v11, v[8:9]
	v_cvt_u32_f64_e32 v10, v[2:3]
	global_store_dwordx2 v[4:5], v[10:11], off
	s_mov_b64 s[0:1], 0
.LBB71_1482:
	s_mov_b64 s[8:9], 0
.LBB71_1483:
	s_and_b64 vcc, exec, s[8:9]
	s_cbranch_vccz .LBB71_1498
; %bb.1484:
	v_cmp_gt_i16_e32 vcc, 27, v6
	s_mov_b64 s[8:9], -1
	s_cbranch_vccnz .LBB71_1490
; %bb.1485:
	v_cmp_lt_i16_e32 vcc, 27, v6
	s_cbranch_vccz .LBB71_1487
; %bb.1486:
	v_cvt_u32_f64_e32 v2, v[0:1]
	s_mov_b64 s[8:9], 0
	global_store_dword v[4:5], v2, off
.LBB71_1487:
	s_andn2_b64 vcc, exec, s[8:9]
	s_cbranch_vccnz .LBB71_1489
; %bb.1488:
	v_cvt_u32_f64_e32 v2, v[0:1]
	global_store_short v[4:5], v2, off
.LBB71_1489:
	s_mov_b64 s[8:9], 0
.LBB71_1490:
	s_andn2_b64 vcc, exec, s[8:9]
	s_cbranch_vccnz .LBB71_1498
; %bb.1491:
	v_cvt_f32_f64_e32 v2, v[0:1]
	v_and_b32_e32 v3, 0x7fffffff, v2
	s_mov_b32 s8, 0x43800000
	v_cmp_gt_u32_e32 vcc, s8, v3
	v_mov_b32_e32 v7, 0x80
	s_and_saveexec_b64 s[8:9], vcc
	s_cbranch_execz .LBB71_1497
; %bb.1492:
	s_mov_b32 s14, 0x3bffffff
	v_cmp_lt_u32_e32 vcc, s14, v3
	s_mov_b64 s[14:15], 0
                                        ; implicit-def: $vgpr3
	s_and_saveexec_b64 s[16:17], vcc
	s_xor_b64 s[16:17], exec, s[16:17]
	s_cbranch_execz .LBB71_1639
; %bb.1493:
	v_bfe_u32 v3, v2, 20, 1
	s_mov_b32 s18, 0x487ffff
	v_add3_u32 v3, v2, v3, s18
	s_mov_b64 s[14:15], exec
	v_lshrrev_b32_e32 v3, 20, v3
	s_or_saveexec_b64 s[16:17], s[16:17]
                                        ; implicit-def: $sgpr18
	s_xor_b64 exec, exec, s[16:17]
	s_cbranch_execnz .LBB71_1640
.LBB71_1494:
	s_or_b64 exec, exec, s[16:17]
	v_mov_b32_e32 v7, s18
	s_and_saveexec_b64 s[16:17], s[14:15]
.LBB71_1495:
	v_lshrrev_b32_e32 v2, 24, v2
	s_movk_i32 s14, 0x80
	v_and_or_b32 v7, v2, s14, v3
.LBB71_1496:
	s_or_b64 exec, exec, s[16:17]
.LBB71_1497:
	s_or_b64 exec, exec, s[8:9]
	global_store_byte v[4:5], v7, off
.LBB71_1498:
	s_mov_b64 s[14:15], 0
.LBB71_1499:
	s_mov_b64 s[8:9], 0
	s_and_b64 vcc, exec, s[14:15]
	s_cbranch_vccz .LBB71_1543
; %bb.1500:
	v_cmp_lt_i16_e32 vcc, 22, v6
	s_mov_b64 s[14:15], -1
	s_cbranch_vccz .LBB71_1532
; %bb.1501:
	v_cmp_gt_i16_e32 vcc, 24, v6
	s_cbranch_vccnz .LBB71_1521
; %bb.1502:
	v_cmp_lt_i16_e32 vcc, 24, v6
	s_cbranch_vccz .LBB71_1510
; %bb.1503:
	v_cvt_f32_f64_e32 v2, v[0:1]
	v_and_b32_e32 v3, 0x7fffffff, v2
	s_mov_b32 s14, 0x47800000
	v_cmp_gt_u32_e32 vcc, s14, v3
	v_mov_b32_e32 v7, 0x80
	s_and_saveexec_b64 s[14:15], vcc
	s_cbranch_execz .LBB71_1509
; %bb.1504:
	s_mov_b32 s16, 0x37ffffff
	v_cmp_lt_u32_e32 vcc, s16, v3
	s_mov_b64 s[16:17], 0
                                        ; implicit-def: $vgpr3
	s_and_saveexec_b64 s[18:19], vcc
	s_xor_b64 s[18:19], exec, s[18:19]
	s_cbranch_execz .LBB71_1764
; %bb.1505:
	v_bfe_u32 v3, v2, 21, 1
	s_mov_b32 s24, 0x88fffff
	v_add3_u32 v3, v2, v3, s24
	s_mov_b64 s[16:17], exec
	v_lshrrev_b32_e32 v3, 21, v3
	s_or_saveexec_b64 s[18:19], s[18:19]
                                        ; implicit-def: $sgpr24
	s_xor_b64 exec, exec, s[18:19]
	s_cbranch_execnz .LBB71_1765
.LBB71_1506:
	s_or_b64 exec, exec, s[18:19]
	v_mov_b32_e32 v7, s24
	s_and_saveexec_b64 s[18:19], s[16:17]
.LBB71_1507:
	v_lshrrev_b32_e32 v2, 24, v2
	s_movk_i32 s16, 0x80
	v_and_or_b32 v7, v2, s16, v3
.LBB71_1508:
	s_or_b64 exec, exec, s[18:19]
.LBB71_1509:
	s_or_b64 exec, exec, s[14:15]
	s_mov_b64 s[14:15], 0
	global_store_byte v[4:5], v7, off
.LBB71_1510:
	s_and_b64 vcc, exec, s[14:15]
	s_cbranch_vccz .LBB71_1520
; %bb.1511:
	v_cvt_f32_f64_e32 v2, v[0:1]
	v_and_b32_e32 v7, 0x7fffffff, v2
	s_mov_b32 s14, 0x43f00000
	v_cmp_gt_u32_e32 vcc, s14, v7
                                        ; implicit-def: $vgpr3
	s_and_saveexec_b64 s[14:15], vcc
	s_xor_b64 s[14:15], exec, s[14:15]
	s_cbranch_execz .LBB71_1517
; %bb.1512:
	s_mov_b32 s16, 0x3c7fffff
	v_cmp_lt_u32_e32 vcc, s16, v7
                                        ; implicit-def: $vgpr3
	s_and_saveexec_b64 s[16:17], vcc
	s_xor_b64 s[16:17], exec, s[16:17]
; %bb.1513:
	v_bfe_u32 v3, v2, 20, 1
	s_mov_b32 s18, 0x407ffff
	v_add3_u32 v3, v2, v3, s18
	v_lshrrev_b32_e32 v7, 20, v3
	v_and_b32_e32 v3, 0xff00000, v3
	s_mov_b32 s18, 0x7f00000
	v_mov_b32_e32 v8, 0x7e
	v_cmp_ne_u32_e32 vcc, s18, v3
	v_cndmask_b32_e32 v3, v8, v7, vcc
; %bb.1514:
	s_andn2_saveexec_b64 s[16:17], s[16:17]
; %bb.1515:
	s_mov_b32 s18, 0x46800000
	v_add_f32_e64 v3, |v2|, s18
; %bb.1516:
	s_or_b64 exec, exec, s[16:17]
                                        ; implicit-def: $vgpr7
.LBB71_1517:
	s_andn2_saveexec_b64 s[14:15], s[14:15]
; %bb.1518:
	s_mov_b32 s16, 0x7f800000
	v_mov_b32_e32 v3, 0x7e
	v_mov_b32_e32 v8, 0x7f
	v_cmp_lt_u32_e32 vcc, s16, v7
	v_cndmask_b32_e32 v3, v3, v8, vcc
; %bb.1519:
	s_or_b64 exec, exec, s[14:15]
	v_lshrrev_b32_e32 v2, 24, v2
	s_movk_i32 s14, 0x80
	v_and_or_b32 v2, v2, s14, v3
	global_store_byte v[4:5], v2, off
.LBB71_1520:
	s_mov_b64 s[14:15], 0
.LBB71_1521:
	s_andn2_b64 vcc, exec, s[14:15]
	s_cbranch_vccnz .LBB71_1531
; %bb.1522:
	v_cvt_f32_f64_e32 v2, v[0:1]
	v_and_b32_e32 v7, 0x7fffffff, v2
	s_mov_b32 s14, 0x47800000
	v_cmp_gt_u32_e32 vcc, s14, v7
                                        ; implicit-def: $vgpr3
	s_and_saveexec_b64 s[14:15], vcc
	s_xor_b64 s[14:15], exec, s[14:15]
	s_cbranch_execz .LBB71_1528
; %bb.1523:
	s_mov_b32 s16, 0x387fffff
	v_cmp_lt_u32_e32 vcc, s16, v7
                                        ; implicit-def: $vgpr3
	s_and_saveexec_b64 s[16:17], vcc
	s_xor_b64 s[16:17], exec, s[16:17]
; %bb.1524:
	v_bfe_u32 v3, v2, 21, 1
	s_mov_b32 s18, 0x80fffff
	v_add3_u32 v3, v2, v3, s18
	v_lshrrev_b32_e32 v3, 21, v3
; %bb.1525:
	s_andn2_saveexec_b64 s[16:17], s[16:17]
; %bb.1526:
	s_mov_b32 s18, 0x43000000
	v_add_f32_e64 v3, |v2|, s18
; %bb.1527:
	s_or_b64 exec, exec, s[16:17]
                                        ; implicit-def: $vgpr7
.LBB71_1528:
	s_andn2_saveexec_b64 s[14:15], s[14:15]
; %bb.1529:
	s_mov_b32 s16, 0x7f800000
	v_mov_b32_e32 v3, 0x7c
	v_mov_b32_e32 v8, 0x7f
	v_cmp_lt_u32_e32 vcc, s16, v7
	v_cndmask_b32_e32 v3, v3, v8, vcc
; %bb.1530:
	s_or_b64 exec, exec, s[14:15]
	v_lshrrev_b32_e32 v2, 24, v2
	s_movk_i32 s14, 0x80
	v_and_or_b32 v2, v2, s14, v3
	global_store_byte v[4:5], v2, off
.LBB71_1531:
	s_mov_b64 s[14:15], 0
.LBB71_1532:
	s_andn2_b64 vcc, exec, s[14:15]
	s_mov_b64 s[16:17], 0
	s_cbranch_vccnz .LBB71_1544
; %bb.1533:
	v_cmp_lt_i16_e32 vcc, 14, v6
	s_mov_b64 s[14:15], -1
	s_cbranch_vccz .LBB71_1537
; %bb.1534:
	v_cmp_eq_u16_e32 vcc, 15, v6
	s_mov_b64 s[0:1], -1
	s_cbranch_vccz .LBB71_1536
; %bb.1535:
	v_cvt_f32_f64_e32 v2, v[0:1]
	v_bfe_u32 v3, v2, 16, 1
	s_movk_i32 s0, 0x7fff
	v_add3_u32 v3, v2, v3, s0
	v_lshrrev_b32_e32 v3, 16, v3
	v_mov_b32_e32 v7, 0x7fc0
	v_cmp_o_f32_e32 vcc, v2, v2
	v_cndmask_b32_e32 v2, v7, v3, vcc
	global_store_short v[4:5], v2, off
	s_mov_b64 s[0:1], 0
.LBB71_1536:
	s_mov_b64 s[14:15], 0
.LBB71_1537:
	s_and_b64 vcc, exec, s[14:15]
	s_cbranch_vccz .LBB71_1544
; %bb.1538:
	v_cmp_ne_u16_e32 vcc, 11, v6
	s_andn2_b64 s[0:1], s[0:1], exec
	s_and_b64 s[14:15], vcc, exec
	s_mov_b64 s[16:17], -1
	s_or_b64 s[0:1], s[0:1], s[14:15]
	s_branch .LBB71_1544
.LBB71_1539:
	s_or_b64 exec, exec, s[12:13]
	s_and_saveexec_b64 s[0:1], s[36:37]
	s_cbranch_execnz .LBB71_1545
.LBB71_1540:
	s_or_b64 exec, exec, s[0:1]
	s_and_saveexec_b64 s[0:1], s[18:19]
	s_xor_b64 s[0:1], exec, s[0:1]
	s_cbranch_execz .LBB71_1546
.LBB71_1541:
	s_waitcnt vmcnt(0)
	v_cmp_neq_f64_e32 vcc, 0, v[0:1]
	v_cndmask_b32_e64 v2, 0, 1, vcc
	global_store_byte v[4:5], v2, off
	s_or_b64 exec, exec, s[0:1]
	s_and_saveexec_b64 s[0:1], s[14:15]
	s_xor_b64 s[0:1], exec, s[0:1]
	s_cbranch_execz .LBB71_1584
	s_branch .LBB71_1547
.LBB71_1542:
	s_mov_b64 s[16:17], 0
	s_mov_b64 s[8:9], -1
	s_mov_b64 s[0:1], s[36:37]
	s_branch .LBB71_1544
.LBB71_1543:
	s_mov_b64 s[16:17], 0
.LBB71_1544:
	s_and_b64 s[14:15], s[8:9], exec
	s_andn2_b64 s[8:9], s[36:37], exec
	s_and_b64 s[0:1], s[0:1], exec
	s_and_b64 s[18:19], s[16:17], exec
	s_or_b64 s[36:37], s[8:9], s[0:1]
	s_or_b64 exec, exec, s[12:13]
	s_and_saveexec_b64 s[0:1], s[36:37]
	s_cbranch_execz .LBB71_1540
.LBB71_1545:
	s_or_b64 s[10:11], s[10:11], exec
	s_andn2_b64 s[18:19], s[18:19], exec
	s_trap 2
	s_or_b64 exec, exec, s[0:1]
	s_and_saveexec_b64 s[0:1], s[18:19]
	s_xor_b64 s[0:1], exec, s[0:1]
	s_cbranch_execnz .LBB71_1541
.LBB71_1546:
	s_or_b64 exec, exec, s[0:1]
	s_and_saveexec_b64 s[0:1], s[14:15]
	s_xor_b64 s[0:1], exec, s[0:1]
	s_cbranch_execz .LBB71_1584
.LBB71_1547:
	s_waitcnt vmcnt(0)
	v_cmp_gt_i16_e32 vcc, 5, v6
	s_mov_b64 s[8:9], -1
	s_cbranch_vccnz .LBB71_1568
; %bb.1548:
	v_cmp_gt_i16_e32 vcc, 8, v6
	s_cbranch_vccnz .LBB71_1558
; %bb.1549:
	v_cmp_gt_i16_e32 vcc, 9, v6
	s_cbranch_vccnz .LBB71_1555
; %bb.1550:
	v_cmp_lt_i16_e32 vcc, 9, v6
	s_cbranch_vccz .LBB71_1552
; %bb.1551:
	v_mov_b32_e32 v2, 0
	v_mov_b32_e32 v3, v2
	s_mov_b64 s[8:9], 0
	global_store_dwordx4 v[4:5], v[0:3], off
.LBB71_1552:
	s_andn2_b64 vcc, exec, s[8:9]
	s_cbranch_vccnz .LBB71_1554
; %bb.1553:
	v_cvt_f32_f64_e32 v2, v[0:1]
	v_mov_b32_e32 v3, 0
	global_store_dwordx2 v[4:5], v[2:3], off
.LBB71_1554:
	s_mov_b64 s[8:9], 0
.LBB71_1555:
	s_andn2_b64 vcc, exec, s[8:9]
	s_cbranch_vccnz .LBB71_1557
; %bb.1556:
	v_cvt_f32_f64_e32 v2, v[0:1]
	v_cvt_f16_f32_e32 v2, v2
	global_store_dword v[4:5], v2, off
.LBB71_1557:
	s_mov_b64 s[8:9], 0
.LBB71_1558:
	s_andn2_b64 vcc, exec, s[8:9]
	s_cbranch_vccnz .LBB71_1567
; %bb.1559:
	v_cmp_gt_i16_e32 vcc, 6, v6
	s_mov_b64 s[8:9], -1
	s_cbranch_vccnz .LBB71_1565
; %bb.1560:
	v_cmp_lt_i16_e32 vcc, 6, v6
	s_cbranch_vccz .LBB71_1562
; %bb.1561:
	s_mov_b64 s[8:9], 0
	global_store_dwordx2 v[4:5], v[0:1], off
.LBB71_1562:
	s_andn2_b64 vcc, exec, s[8:9]
	s_cbranch_vccnz .LBB71_1564
; %bb.1563:
	v_cvt_f32_f64_e32 v2, v[0:1]
	global_store_dword v[4:5], v2, off
.LBB71_1564:
	s_mov_b64 s[8:9], 0
.LBB71_1565:
	s_andn2_b64 vcc, exec, s[8:9]
	s_cbranch_vccnz .LBB71_1567
; %bb.1566:
	v_cvt_f32_f64_e32 v2, v[0:1]
	v_cvt_f16_f32_e32 v2, v2
	global_store_short v[4:5], v2, off
.LBB71_1567:
	s_mov_b64 s[8:9], 0
.LBB71_1568:
	s_andn2_b64 vcc, exec, s[8:9]
	s_cbranch_vccnz .LBB71_1584
; %bb.1569:
	v_cmp_gt_i16_e32 vcc, 2, v6
	s_mov_b64 s[8:9], -1
	s_cbranch_vccnz .LBB71_1579
; %bb.1570:
	v_cmp_gt_i16_e32 vcc, 3, v6
	s_cbranch_vccnz .LBB71_1576
; %bb.1571:
	v_cmp_lt_i16_e32 vcc, 3, v6
	s_cbranch_vccz .LBB71_1573
; %bb.1572:
	v_trunc_f64_e32 v[2:3], v[0:1]
	s_movk_i32 s8, 0xffe0
	v_ldexp_f64 v[8:9], v[2:3], s8
	v_floor_f64_e32 v[8:9], v[8:9]
	v_fmac_f64_e32 v[2:3], 0xc1f00000, v[8:9]
	v_cvt_i32_f64_e32 v11, v[8:9]
	v_cvt_u32_f64_e32 v10, v[2:3]
	s_mov_b64 s[8:9], 0
	global_store_dwordx2 v[4:5], v[10:11], off
.LBB71_1573:
	s_andn2_b64 vcc, exec, s[8:9]
	s_cbranch_vccnz .LBB71_1575
; %bb.1574:
	v_cvt_i32_f64_e32 v2, v[0:1]
	global_store_dword v[4:5], v2, off
.LBB71_1575:
	s_mov_b64 s[8:9], 0
.LBB71_1576:
	s_andn2_b64 vcc, exec, s[8:9]
	s_cbranch_vccnz .LBB71_1578
; %bb.1577:
	v_cvt_i32_f64_e32 v2, v[0:1]
	global_store_short v[4:5], v2, off
.LBB71_1578:
	s_mov_b64 s[8:9], 0
.LBB71_1579:
	s_andn2_b64 vcc, exec, s[8:9]
	s_cbranch_vccnz .LBB71_1584
; %bb.1580:
	v_cmp_lt_i16_e32 vcc, 0, v6
	s_mov_b64 s[8:9], -1
	s_cbranch_vccz .LBB71_1582
; %bb.1581:
	v_cvt_i32_f64_e32 v2, v[0:1]
	s_mov_b64 s[8:9], 0
	global_store_byte v[4:5], v2, off
.LBB71_1582:
	s_andn2_b64 vcc, exec, s[8:9]
	s_cbranch_vccnz .LBB71_1584
; %bb.1583:
	v_trunc_f64_e32 v[0:1], v[0:1]
	s_movk_i32 s8, 0xffe0
	v_ldexp_f64 v[2:3], v[0:1], s8
	v_floor_f64_e32 v[2:3], v[2:3]
	v_fmac_f64_e32 v[0:1], 0xc1f00000, v[2:3]
	v_cvt_u32_f64_e32 v0, v[0:1]
	global_store_byte v[4:5], v0, off
.LBB71_1584:
	s_or_b64 exec, exec, s[0:1]
	s_and_b64 s[12:13], s[10:11], exec
                                        ; implicit-def: $vgpr24
                                        ; implicit-def: $vgpr8
.LBB71_1585:
	s_or_saveexec_b64 s[14:15], s[22:23]
	s_mov_b64 s[0:1], 0
                                        ; implicit-def: $vgpr0_vgpr1
                                        ; implicit-def: $vgpr2
                                        ; implicit-def: $vgpr12_vgpr13
	s_xor_b64 exec, exec, s[14:15]
	s_cbranch_execz .LBB71_3115
; %bb.1586:
	s_waitcnt vmcnt(0)
	v_cndmask_b32_e64 v0, 0, 1, s[20:21]
	v_cmp_ne_u32_e64 s[0:1], 1, v0
	s_andn2_b64 vcc, exec, s[20:21]
	s_cbranch_vccnz .LBB71_1592
; %bb.1587:
	s_cmp_lg_u32 s33, 0
	v_mov_b32_e32 v18, 0
	v_mov_b32_e32 v0, 0
	;; [unrolled: 1-line block ×3, first 2 shown]
	s_cbranch_scc0 .LBB71_1593
; %bb.1588:
	s_min_u32 s8, s68, 15
	s_add_i32 s6, s8, 1
	s_and_b32 s9, s6, 30
	s_add_u32 s6, s2, 0xffffffec
	s_addc_u32 s7, s3, -1
	v_mov_b32_e32 v2, 0
	v_mov_b32_e32 v1, v8
	;; [unrolled: 1-line block ×4, first 2 shown]
.LBB71_1589:                            ; =>This Inner Loop Header: Depth=1
	s_mov_b64 s[10:11], s[6:7]
	s_load_dwordx4 s[16:19], s[10:11], 0x18
	s_load_dwordx2 s[24:25], s[10:11], 0x28
	s_load_dwordx2 s[26:27], s[10:11], 0xe8
	s_load_dwordx4 s[20:23], s[10:11], 0xd8
	s_add_u32 s6, s10, 24
	s_waitcnt lgkmcnt(0)
	v_mul_hi_u32 v3, s17, v1
	v_add_u32_e32 v3, v1, v3
	v_lshrrev_b32_e32 v3, s18, v3
	v_mul_lo_u32 v4, v3, s16
	v_mul_hi_u32 v5, s24, v3
	v_sub_u32_e32 v1, v1, v4
	v_add_u32_e32 v4, v3, v5
	v_mul_lo_u32 v5, v1, s20
	v_mul_lo_u32 v6, v1, s21
	;; [unrolled: 1-line block ×3, first 2 shown]
	v_lshrrev_b32_e32 v1, s25, v4
	v_mul_lo_u32 v4, v1, s19
	v_sub_u32_e32 v3, v3, v4
	s_addc_u32 s7, s11, 0
	s_add_i32 s9, s9, -2
	v_mul_lo_u32 v4, v3, s23
	v_mul_lo_u32 v9, v3, s26
	;; [unrolled: 1-line block ×3, first 2 shown]
	s_cmp_lg_u32 s9, 0
	v_add3_u32 v2, v5, v2, v4
	v_add3_u32 v18, v7, v18, v3
	;; [unrolled: 1-line block ×3, first 2 shown]
	s_cbranch_scc1 .LBB71_1589
; %bb.1590:
	s_bitcmp1_b32 s8, 0
	s_cselect_b64 s[8:9], -1, 0
	s_and_b64 vcc, exec, s[8:9]
	s_cbranch_vccnz .LBB71_1593
; %bb.1591:
	s_load_dwordx2 s[8:9], s[6:7], 0x18
	s_load_dword s16, s[6:7], 0x20
	s_load_dword s17, s[6:7], 0xe0
	s_load_dwordx2 s[10:11], s[6:7], 0xd8
	s_waitcnt lgkmcnt(0)
	v_mul_hi_u32 v3, s9, v1
	v_add_u32_e32 v3, v1, v3
	v_lshrrev_b32_e32 v3, s16, v3
	v_mul_lo_u32 v3, v3, s8
	v_sub_u32_e32 v4, v1, v3
	v_mad_u64_u32 v[2:3], s[6:7], v4, s10, v[2:3]
	v_mad_u64_u32 v[0:1], s[6:7], v4, s11, v[0:1]
	;; [unrolled: 1-line block ×3, first 2 shown]
	s_cbranch_execz .LBB71_1594
	s_branch .LBB71_1596
.LBB71_1592:
                                        ; implicit-def: $vgpr18
                                        ; implicit-def: $vgpr0
                                        ; implicit-def: $vgpr2
	s_branch .LBB71_1594
.LBB71_1593:
	s_cbranch_execnz .LBB71_1596
.LBB71_1594:
	s_load_dwordx4 s[8:11], s[2:3], 0x4
	s_load_dwordx4 s[16:19], s[2:3], 0xc4
	s_cmp_lt_u32 s33, 2
	s_waitcnt lgkmcnt(0)
	v_mul_hi_u32 v0, s9, v8
	v_add_u32_e32 v0, v8, v0
	v_lshrrev_b32_e32 v1, s10, v0
	v_mul_lo_u32 v0, v1, s8
	v_sub_u32_e32 v0, v8, v0
	v_mul_lo_u32 v2, v0, s16
	v_mul_lo_u32 v18, v0, s18
	;; [unrolled: 1-line block ×3, first 2 shown]
	s_cbranch_scc1 .LBB71_1596
; %bb.1595:
	s_load_dwordx4 s[8:11], s[2:3], 0x10
	s_load_dwordx4 s[16:19], s[2:3], 0xd0
	s_waitcnt lgkmcnt(0)
	v_mul_hi_u32 v3, s9, v1
	v_add_u32_e32 v3, v1, v3
	v_lshrrev_b32_e32 v3, s10, v3
	v_mul_lo_u32 v3, v3, s8
	v_sub_u32_e32 v4, v1, v3
	v_mad_u64_u32 v[2:3], s[6:7], v4, s16, v[2:3]
	v_mad_u64_u32 v[0:1], s[6:7], v4, s17, v[0:1]
	;; [unrolled: 1-line block ×3, first 2 shown]
.LBB71_1596:
	s_and_b64 vcc, exec, s[0:1]
	v_add_u32_e32 v1, 0x80, v8
	s_cbranch_vccnz .LBB71_1602
; %bb.1597:
	s_cmp_lg_u32 s33, 0
	v_mov_b32_e32 v20, 0
	v_mov_b32_e32 v4, 0
	;; [unrolled: 1-line block ×3, first 2 shown]
	s_cbranch_scc0 .LBB71_1603
; %bb.1598:
	s_min_u32 s8, s68, 15
	s_add_i32 s6, s8, 1
	s_and_b32 s9, s6, 30
	s_add_u32 s6, s2, 0xffffffec
	s_addc_u32 s7, s3, -1
	v_mov_b32_e32 v6, 0
	v_mov_b32_e32 v3, v1
	;; [unrolled: 1-line block ×4, first 2 shown]
.LBB71_1599:                            ; =>This Inner Loop Header: Depth=1
	s_mov_b64 s[10:11], s[6:7]
	s_load_dwordx4 s[16:19], s[10:11], 0x18
	s_load_dwordx2 s[24:25], s[10:11], 0x28
	s_load_dwordx2 s[26:27], s[10:11], 0xe8
	s_load_dwordx4 s[20:23], s[10:11], 0xd8
	s_add_u32 s6, s10, 24
	s_waitcnt lgkmcnt(0)
	v_mul_hi_u32 v5, s17, v3
	v_add_u32_e32 v5, v3, v5
	v_lshrrev_b32_e32 v5, s18, v5
	v_mul_lo_u32 v7, v5, s16
	v_mul_hi_u32 v9, s24, v5
	v_sub_u32_e32 v3, v3, v7
	v_add_u32_e32 v7, v5, v9
	v_mul_lo_u32 v9, v3, s20
	v_mul_lo_u32 v10, v3, s21
	;; [unrolled: 1-line block ×3, first 2 shown]
	v_lshrrev_b32_e32 v3, s25, v7
	v_mul_lo_u32 v7, v3, s19
	v_sub_u32_e32 v5, v5, v7
	s_addc_u32 s7, s11, 0
	s_add_i32 s9, s9, -2
	v_mul_lo_u32 v7, v5, s23
	v_mul_lo_u32 v12, v5, s26
	;; [unrolled: 1-line block ×3, first 2 shown]
	s_cmp_lg_u32 s9, 0
	v_add3_u32 v6, v9, v6, v7
	v_add3_u32 v20, v11, v20, v5
	;; [unrolled: 1-line block ×3, first 2 shown]
	s_cbranch_scc1 .LBB71_1599
; %bb.1600:
	s_bitcmp1_b32 s8, 0
	s_cselect_b64 s[8:9], -1, 0
	s_and_b64 vcc, exec, s[8:9]
	s_cbranch_vccnz .LBB71_1603
; %bb.1601:
	s_load_dwordx2 s[8:9], s[6:7], 0x18
	s_load_dword s16, s[6:7], 0x20
	s_load_dword s17, s[6:7], 0xe0
	s_load_dwordx2 s[10:11], s[6:7], 0xd8
	s_waitcnt lgkmcnt(0)
	v_mul_hi_u32 v5, s9, v3
	v_add_u32_e32 v5, v3, v5
	v_lshrrev_b32_e32 v5, s16, v5
	v_mul_lo_u32 v5, v5, s8
	v_sub_u32_e32 v3, v3, v5
	v_mad_u64_u32 v[6:7], s[6:7], v3, s10, v[6:7]
	v_mad_u64_u32 v[4:5], s[6:7], v3, s11, v[4:5]
	;; [unrolled: 1-line block ×3, first 2 shown]
	s_cbranch_execz .LBB71_1604
	s_branch .LBB71_1606
.LBB71_1602:
                                        ; implicit-def: $vgpr20
                                        ; implicit-def: $vgpr4
                                        ; implicit-def: $vgpr6
	s_branch .LBB71_1604
.LBB71_1603:
	s_cbranch_execnz .LBB71_1606
.LBB71_1604:
	s_load_dwordx4 s[8:11], s[2:3], 0x4
	s_load_dwordx4 s[16:19], s[2:3], 0xc4
	s_cmp_lt_u32 s33, 2
	s_waitcnt lgkmcnt(0)
	v_mul_hi_u32 v3, s9, v1
	v_add_u32_e32 v3, v1, v3
	v_lshrrev_b32_e32 v3, s10, v3
	v_mul_lo_u32 v4, v3, s8
	v_sub_u32_e32 v1, v1, v4
	v_mul_lo_u32 v6, v1, s16
	v_mul_lo_u32 v20, v1, s18
	;; [unrolled: 1-line block ×3, first 2 shown]
	s_cbranch_scc1 .LBB71_1606
; %bb.1605:
	s_load_dwordx4 s[8:11], s[2:3], 0x10
	s_load_dwordx4 s[16:19], s[2:3], 0xd0
	s_waitcnt lgkmcnt(0)
	v_mul_hi_u32 v1, s9, v3
	v_add_u32_e32 v1, v3, v1
	v_lshrrev_b32_e32 v1, s10, v1
	v_mul_lo_u32 v1, v1, s8
	v_sub_u32_e32 v1, v3, v1
	v_mad_u64_u32 v[6:7], s[6:7], v1, s16, v[6:7]
	v_mad_u64_u32 v[4:5], s[6:7], v1, s17, v[4:5]
	;; [unrolled: 1-line block ×3, first 2 shown]
.LBB71_1606:
	s_and_b64 vcc, exec, s[0:1]
	v_add_u32_e32 v1, 0x100, v8
	s_cbranch_vccnz .LBB71_1612
; %bb.1607:
	s_cmp_lg_u32 s33, 0
	v_mov_b32_e32 v22, 0
	v_mov_b32_e32 v8, 0
	;; [unrolled: 1-line block ×3, first 2 shown]
	s_cbranch_scc0 .LBB71_1613
; %bb.1608:
	s_min_u32 s8, s68, 15
	s_add_i32 s6, s8, 1
	s_and_b32 s9, s6, 30
	s_add_u32 s6, s2, 0xffffffec
	s_addc_u32 s7, s3, -1
	v_mov_b32_e32 v10, 0
	v_mov_b32_e32 v3, v1
	v_mov_b32_e32 v8, 0
	v_mov_b32_e32 v22, 0
.LBB71_1609:                            ; =>This Inner Loop Header: Depth=1
	s_mov_b64 s[10:11], s[6:7]
	s_load_dwordx4 s[16:19], s[10:11], 0x18
	s_load_dwordx2 s[24:25], s[10:11], 0x28
	s_load_dwordx2 s[26:27], s[10:11], 0xe8
	s_load_dwordx4 s[20:23], s[10:11], 0xd8
	s_add_u32 s6, s10, 24
	s_waitcnt lgkmcnt(0)
	v_mul_hi_u32 v5, s17, v3
	v_add_u32_e32 v5, v3, v5
	v_lshrrev_b32_e32 v5, s18, v5
	v_mul_lo_u32 v7, v5, s16
	v_mul_hi_u32 v9, s24, v5
	v_sub_u32_e32 v3, v3, v7
	v_add_u32_e32 v7, v5, v9
	v_mul_lo_u32 v9, v3, s20
	v_mul_lo_u32 v11, v3, s21
	;; [unrolled: 1-line block ×3, first 2 shown]
	v_lshrrev_b32_e32 v3, s25, v7
	v_mul_lo_u32 v7, v3, s19
	v_sub_u32_e32 v5, v5, v7
	s_addc_u32 s7, s11, 0
	s_add_i32 s9, s9, -2
	v_mul_lo_u32 v7, v5, s23
	v_mul_lo_u32 v13, v5, s26
	;; [unrolled: 1-line block ×3, first 2 shown]
	s_cmp_lg_u32 s9, 0
	v_add3_u32 v10, v9, v10, v7
	v_add3_u32 v22, v12, v22, v5
	;; [unrolled: 1-line block ×3, first 2 shown]
	s_cbranch_scc1 .LBB71_1609
; %bb.1610:
	s_bitcmp1_b32 s8, 0
	s_cselect_b64 s[8:9], -1, 0
	s_and_b64 vcc, exec, s[8:9]
	s_cbranch_vccnz .LBB71_1613
; %bb.1611:
	s_load_dwordx2 s[8:9], s[6:7], 0x18
	s_load_dword s16, s[6:7], 0x20
	s_load_dword s17, s[6:7], 0xe0
	s_load_dwordx2 s[10:11], s[6:7], 0xd8
	s_waitcnt lgkmcnt(0)
	v_mul_hi_u32 v5, s9, v3
	v_add_u32_e32 v5, v3, v5
	v_lshrrev_b32_e32 v5, s16, v5
	v_mul_lo_u32 v5, v5, s8
	v_sub_u32_e32 v3, v3, v5
	v_mad_u64_u32 v[10:11], s[6:7], v3, s10, v[10:11]
	v_mad_u64_u32 v[8:9], s[6:7], v3, s11, v[8:9]
	;; [unrolled: 1-line block ×3, first 2 shown]
	s_cbranch_execz .LBB71_1614
	s_branch .LBB71_1616
.LBB71_1612:
                                        ; implicit-def: $vgpr22
                                        ; implicit-def: $vgpr8
                                        ; implicit-def: $vgpr10
	s_branch .LBB71_1614
.LBB71_1613:
	s_cbranch_execnz .LBB71_1616
.LBB71_1614:
	s_load_dwordx4 s[8:11], s[2:3], 0x4
	s_load_dwordx4 s[16:19], s[2:3], 0xc4
	s_cmp_lt_u32 s33, 2
	s_waitcnt lgkmcnt(0)
	v_mul_hi_u32 v3, s9, v1
	v_add_u32_e32 v3, v1, v3
	v_lshrrev_b32_e32 v3, s10, v3
	v_mul_lo_u32 v5, v3, s8
	v_sub_u32_e32 v1, v1, v5
	v_mul_lo_u32 v10, v1, s16
	v_mul_lo_u32 v22, v1, s18
	;; [unrolled: 1-line block ×3, first 2 shown]
	s_cbranch_scc1 .LBB71_1616
; %bb.1615:
	s_load_dwordx4 s[8:11], s[2:3], 0x10
	s_load_dwordx4 s[16:19], s[2:3], 0xd0
	s_waitcnt lgkmcnt(0)
	v_mul_hi_u32 v1, s9, v3
	v_add_u32_e32 v1, v3, v1
	v_lshrrev_b32_e32 v1, s10, v1
	v_mul_lo_u32 v1, v1, s8
	v_sub_u32_e32 v1, v3, v1
	v_mad_u64_u32 v[10:11], s[6:7], v1, s16, v[10:11]
	v_mad_u64_u32 v[8:9], s[6:7], v1, s17, v[8:9]
	;; [unrolled: 1-line block ×3, first 2 shown]
.LBB71_1616:
	s_and_b64 vcc, exec, s[0:1]
	s_cbranch_vccnz .LBB71_1622
; %bb.1617:
	s_cmp_lg_u32 s33, 0
	v_mov_b32_e32 v16, 0
	v_mov_b32_e32 v12, 0
	;; [unrolled: 1-line block ×3, first 2 shown]
	s_cbranch_scc0 .LBB71_1623
; %bb.1618:
	s_min_u32 s6, s68, 15
	s_add_i32 s0, s6, 1
	s_and_b32 s7, s0, 30
	s_add_u32 s0, s2, 0xffffffec
	s_addc_u32 s1, s3, -1
	v_mov_b32_e32 v14, 0
	v_mov_b32_e32 v1, v24
	;; [unrolled: 1-line block ×4, first 2 shown]
.LBB71_1619:                            ; =>This Inner Loop Header: Depth=1
	s_mov_b64 s[20:21], s[0:1]
	s_load_dwordx4 s[8:11], s[20:21], 0x18
	s_load_dwordx2 s[22:23], s[20:21], 0x28
	s_load_dwordx2 s[24:25], s[20:21], 0xe8
	s_load_dwordx4 s[16:19], s[20:21], 0xd8
	s_add_u32 s0, s20, 24
	s_waitcnt lgkmcnt(0)
	v_mul_hi_u32 v3, s9, v1
	v_add_u32_e32 v3, v1, v3
	v_lshrrev_b32_e32 v3, s10, v3
	v_mul_lo_u32 v5, v3, s8
	v_mul_hi_u32 v7, s22, v3
	v_sub_u32_e32 v1, v1, v5
	v_add_u32_e32 v5, v3, v7
	v_mul_lo_u32 v7, v1, s16
	v_mul_lo_u32 v9, v1, s17
	;; [unrolled: 1-line block ×3, first 2 shown]
	v_lshrrev_b32_e32 v1, s23, v5
	v_mul_lo_u32 v5, v1, s11
	v_sub_u32_e32 v3, v3, v5
	s_addc_u32 s1, s21, 0
	s_add_i32 s7, s7, -2
	v_mul_lo_u32 v5, v3, s19
	v_mul_lo_u32 v13, v3, s24
	;; [unrolled: 1-line block ×3, first 2 shown]
	s_cmp_lg_u32 s7, 0
	v_add3_u32 v14, v7, v14, v5
	v_add3_u32 v16, v11, v16, v3
	;; [unrolled: 1-line block ×3, first 2 shown]
	s_cbranch_scc1 .LBB71_1619
; %bb.1620:
	s_bitcmp1_b32 s6, 0
	s_cselect_b64 s[6:7], -1, 0
	s_and_b64 vcc, exec, s[6:7]
	s_cbranch_vccnz .LBB71_1623
; %bb.1621:
	s_load_dwordx2 s[6:7], s[0:1], 0x18
	s_load_dword s10, s[0:1], 0x20
	s_load_dword s11, s[0:1], 0xe0
	s_load_dwordx2 s[8:9], s[0:1], 0xd8
	s_waitcnt lgkmcnt(0)
	v_mul_hi_u32 v3, s7, v1
	v_add_u32_e32 v3, v1, v3
	v_lshrrev_b32_e32 v3, s10, v3
	v_mul_lo_u32 v3, v3, s6
	v_sub_u32_e32 v1, v1, v3
	v_mad_u64_u32 v[14:15], s[0:1], v1, s8, v[14:15]
	v_mad_u64_u32 v[12:13], s[0:1], v1, s9, v[12:13]
	;; [unrolled: 1-line block ×3, first 2 shown]
	s_cbranch_execz .LBB71_1624
	s_branch .LBB71_1626
.LBB71_1622:
                                        ; implicit-def: $vgpr16
                                        ; implicit-def: $vgpr12
                                        ; implicit-def: $vgpr14
	s_branch .LBB71_1624
.LBB71_1623:
	s_cbranch_execnz .LBB71_1626
.LBB71_1624:
	s_load_dwordx4 s[8:11], s[2:3], 0x4
	s_load_dwordx4 s[16:19], s[2:3], 0xc4
	s_cmp_lt_u32 s33, 2
	s_waitcnt lgkmcnt(0)
	v_mul_hi_u32 v1, s9, v24
	v_add_u32_e32 v1, v24, v1
	v_lshrrev_b32_e32 v1, s10, v1
	v_mul_lo_u32 v3, v1, s8
	v_sub_u32_e32 v3, v24, v3
	v_mul_lo_u32 v14, v3, s16
	v_mul_lo_u32 v16, v3, s18
	;; [unrolled: 1-line block ×3, first 2 shown]
	s_cbranch_scc1 .LBB71_1626
; %bb.1625:
	s_load_dwordx4 s[8:11], s[2:3], 0x10
	s_load_dwordx4 s[16:19], s[2:3], 0xd0
	s_waitcnt lgkmcnt(0)
	v_mul_hi_u32 v3, s9, v1
	v_add_u32_e32 v3, v1, v3
	v_lshrrev_b32_e32 v3, s10, v3
	v_mul_lo_u32 v3, v3, s8
	v_sub_u32_e32 v1, v1, v3
	v_mad_u64_u32 v[14:15], s[0:1], v1, s16, v[14:15]
	v_mad_u64_u32 v[12:13], s[0:1], v1, s17, v[12:13]
	;; [unrolled: 1-line block ×3, first 2 shown]
.LBB71_1626:
	s_load_dword s26, s[4:5], 0x1a8
	s_load_dwordx4 s[8:11], s[2:3], 0x188
	s_waitcnt lgkmcnt(0)
	s_lshr_b32 s27, s26, 16
	v_mov_b32_e32 v1, s11
	v_add_co_u32_e32 v24, vcc, s10, v0
	v_mov_b32_e32 v0, 11
	v_addc_co_u32_e32 v25, vcc, 0, v1, vcc
	v_cmp_lt_i16_sdwa s[0:1], s27, v0 src0_sel:BYTE_0 src1_sel:DWORD
	s_and_b64 vcc, exec, s[0:1]
	s_cbranch_vccnz .LBB71_1633
; %bb.1627:
	v_mov_b32_e32 v0, 25
	v_cmp_gt_i16_sdwa s[0:1], s27, v0 src0_sel:BYTE_0 src1_sel:DWORD
	s_mov_b64 s[6:7], 0
	s_and_b64 vcc, exec, s[0:1]
	s_cbranch_vccz .LBB71_1635
; %bb.1628:
	v_mov_b32_e32 v0, 28
	v_cmp_gt_i16_sdwa s[0:1], s27, v0 src0_sel:BYTE_0 src1_sel:DWORD
	s_and_b64 vcc, exec, s[0:1]
	s_cbranch_vccz .LBB71_1636
; %bb.1629:
	v_mov_b32_e32 v0, 43
	v_cmp_gt_i16_sdwa s[0:1], s27, v0 src0_sel:BYTE_0 src1_sel:DWORD
	;; [unrolled: 5-line block ×3, first 2 shown]
	s_and_b64 vcc, exec, s[0:1]
	s_cbranch_vccz .LBB71_1638
; %bb.1631:
	v_mov_b32_e32 v0, 46
	v_cmp_eq_u16_sdwa s[0:1], s27, v0 src0_sel:BYTE_0 src1_sel:DWORD
	s_mov_b64 s[4:5], 0
	s_and_b64 vcc, exec, s[0:1]
	s_cbranch_vccz .LBB71_1641
; %bb.1632:
	global_load_dword v0, v[24:25], off
	s_mov_b64 s[0:1], 0
	s_mov_b64 s[16:17], -1
	s_waitcnt vmcnt(0)
	v_lshlrev_b32_e32 v0, 16, v0
	v_cvt_f64_f32_e32 v[0:1], v0
	s_branch .LBB71_1642
.LBB71_1633:
	s_mov_b64 s[16:17], 0
                                        ; implicit-def: $vgpr0_vgpr1
	s_mov_b64 s[4:5], s[12:13]
	s_cbranch_execnz .LBB71_1705
.LBB71_1634:
	s_andn2_b64 vcc, exec, s[16:17]
	s_cbranch_vccz .LBB71_1750
	s_branch .LBB71_3113
.LBB71_1635:
	s_mov_b64 s[16:17], 0
	s_mov_b64 s[0:1], 0
                                        ; implicit-def: $vgpr0_vgpr1
	s_cbranch_execnz .LBB71_1670
	s_branch .LBB71_1701
.LBB71_1636:
	s_mov_b64 s[4:5], -1
	s_mov_b64 s[16:17], 0
	s_mov_b64 s[0:1], 0
                                        ; implicit-def: $vgpr0_vgpr1
	s_branch .LBB71_1651
.LBB71_1637:
	s_mov_b64 s[16:17], 0
	s_mov_b64 s[0:1], 0
                                        ; implicit-def: $vgpr0_vgpr1
	s_cbranch_execnz .LBB71_1647
	s_branch .LBB71_1650
.LBB71_1638:
	s_mov_b64 s[4:5], -1
	s_mov_b64 s[16:17], 0
	s_mov_b64 s[0:1], 0
                                        ; implicit-def: $vgpr0_vgpr1
	s_branch .LBB71_1642
.LBB71_1639:
	s_or_saveexec_b64 s[16:17], s[16:17]
                                        ; implicit-def: $sgpr18
	s_xor_b64 exec, exec, s[16:17]
	s_cbranch_execz .LBB71_1494
.LBB71_1640:
	s_mov_b32 s18, 0x46000000
	v_add_f32_e64 v3, |v2|, s18
	v_and_b32_e32 v3, 0xff, v3
	v_cmp_ne_u32_e32 vcc, 0, v3
	s_andn2_b64 s[14:15], s[14:15], exec
	s_and_b64 s[24:25], vcc, exec
	s_mov_b32 s18, 0
	s_or_b64 s[14:15], s[14:15], s[24:25]
	s_or_b64 exec, exec, s[16:17]
	v_mov_b32_e32 v7, s18
	s_and_saveexec_b64 s[16:17], s[14:15]
	s_cbranch_execnz .LBB71_1495
	s_branch .LBB71_1496
.LBB71_1641:
	s_mov_b64 s[0:1], -1
                                        ; implicit-def: $vgpr0_vgpr1
	s_mov_b64 s[16:17], 0
.LBB71_1642:
	s_and_b64 vcc, exec, s[4:5]
	s_cbranch_vccz .LBB71_1645
; %bb.1643:
	v_mov_b32_e32 v0, 44
	v_cmp_eq_u16_sdwa s[0:1], s27, v0 src0_sel:BYTE_0 src1_sel:DWORD
	s_and_b64 vcc, exec, s[0:1]
	s_cbranch_vccz .LBB71_1646
; %bb.1644:
	global_load_ubyte v3, v[24:25], off
	s_movk_i32 s4, 0xff
	v_bfrev_b32_e32 v5, 4
	v_mov_b32_e32 v7, 0x7ff80000
	v_bfrev_b32_e32 v9, 28
	s_mov_b64 s[0:1], 0
	s_mov_b64 s[16:17], -1
	s_waitcnt vmcnt(0)
	v_lshlrev_b32_e32 v0, 23, v3
	v_cvt_f64_f32_e32 v[0:1], v0
	v_cmp_ne_u32_e32 vcc, s4, v3
	v_cndmask_b32_e32 v0, v5, v0, vcc
	v_cndmask_b32_e32 v1, v7, v1, vcc
	v_cmp_ne_u32_e32 vcc, 0, v3
	v_cndmask_b32_e32 v1, v9, v1, vcc
	v_cndmask_b32_e32 v0, 0, v0, vcc
.LBB71_1645:
	s_branch .LBB71_1650
.LBB71_1646:
	s_mov_b64 s[0:1], -1
                                        ; implicit-def: $vgpr0_vgpr1
	s_branch .LBB71_1650
.LBB71_1647:
	v_mov_b32_e32 v0, 29
	v_cmp_eq_u16_sdwa s[0:1], s27, v0 src0_sel:BYTE_0 src1_sel:DWORD
	s_and_b64 vcc, exec, s[0:1]
	s_cbranch_vccz .LBB71_1649
; %bb.1648:
	global_load_dwordx2 v[0:1], v[24:25], off
	s_mov_b64 s[0:1], 0
	s_mov_b64 s[16:17], -1
	s_mov_b64 s[4:5], 0
	s_waitcnt vmcnt(0)
	v_cvt_f64_u32_e32 v[26:27], v1
	v_cvt_f64_u32_e32 v[0:1], v0
	v_ldexp_f64 v[26:27], v[26:27], 32
	v_add_f64 v[0:1], v[26:27], v[0:1]
	s_branch .LBB71_1651
.LBB71_1649:
	s_mov_b64 s[0:1], -1
                                        ; implicit-def: $vgpr0_vgpr1
.LBB71_1650:
	s_mov_b64 s[4:5], 0
.LBB71_1651:
	s_and_b64 vcc, exec, s[4:5]
	s_cbranch_vccz .LBB71_1669
; %bb.1652:
	v_mov_b32_e32 v0, 27
	v_cmp_lt_i16_sdwa s[4:5], s27, v0 src0_sel:BYTE_0 src1_sel:DWORD
	s_and_b64 vcc, exec, s[4:5]
	s_cbranch_vccnz .LBB71_1655
; %bb.1653:
	v_cmp_gt_i16_sdwa s[4:5], s27, v0 src0_sel:BYTE_0 src1_sel:DWORD
	s_and_b64 vcc, exec, s[4:5]
	s_cbranch_vccz .LBB71_1656
; %bb.1654:
	global_load_dword v0, v[24:25], off
	s_mov_b64 s[4:5], 0
	s_waitcnt vmcnt(0)
	v_cvt_f64_u32_e32 v[0:1], v0
	s_branch .LBB71_1657
.LBB71_1655:
	s_mov_b64 s[4:5], -1
                                        ; implicit-def: $vgpr0_vgpr1
	s_branch .LBB71_1660
.LBB71_1656:
	s_mov_b64 s[4:5], -1
                                        ; implicit-def: $vgpr0_vgpr1
.LBB71_1657:
	s_andn2_b64 vcc, exec, s[4:5]
	s_cbranch_vccnz .LBB71_1659
; %bb.1658:
	global_load_ushort v0, v[24:25], off
	s_waitcnt vmcnt(0)
	v_cvt_f64_u32_e32 v[0:1], v0
.LBB71_1659:
	s_mov_b64 s[4:5], 0
.LBB71_1660:
	s_andn2_b64 vcc, exec, s[4:5]
	s_cbranch_vccnz .LBB71_1668
; %bb.1661:
	global_load_ubyte v3, v[24:25], off
	s_movk_i32 s4, 0x7f
                                        ; implicit-def: $sgpr16_sgpr17
	s_waitcnt vmcnt(0)
	v_cmp_lt_i16_e32 vcc, s4, v3
	s_mov_b64 s[4:5], 0
	s_and_saveexec_b64 s[18:19], vcc
	s_xor_b64 s[18:19], exec, s[18:19]
	s_cbranch_execz .LBB71_1681
; %bb.1662:
	s_movk_i32 s4, 0x80
	v_cmp_eq_u16_e32 vcc, s4, v3
	s_mov_b64 s[20:21], -1
                                        ; implicit-def: $sgpr16_sgpr17
	s_and_saveexec_b64 s[4:5], vcc
; %bb.1663:
	s_mov_b32 s17, 0x7ff80000
	s_brev_b32 s16, 4
	s_xor_b64 s[20:21], exec, -1
; %bb.1664:
	s_or_b64 exec, exec, s[4:5]
	s_and_b64 s[4:5], s[20:21], exec
	s_or_saveexec_b64 s[18:19], s[18:19]
	v_pk_mov_b32 v[0:1], s[16:17], s[16:17] op_sel:[0,1]
	s_xor_b64 exec, exec, s[18:19]
	s_cbranch_execnz .LBB71_1682
.LBB71_1665:
	s_or_b64 exec, exec, s[18:19]
	s_and_saveexec_b64 s[16:17], s[4:5]
	s_cbranch_execz .LBB71_1667
.LBB71_1666:
	v_and_b32_e32 v1, 0xffff, v3
	v_lshlrev_b32_e32 v0, 24, v3
	v_and_b32_e32 v3, 7, v1
	v_ffbh_u32_e32 v7, v3
	v_min_u32_e32 v7, 32, v7
	v_subrev_u32_e32 v9, 28, v7
	v_bfe_u32 v5, v1, 3, 4
	v_lshlrev_b32_e32 v1, v9, v1
	v_sub_u32_e32 v7, 29, v7
	v_and_b32_e32 v1, 7, v1
	v_cmp_eq_u32_e32 vcc, 0, v5
	v_cndmask_b32_e32 v5, v5, v7, vcc
	v_cndmask_b32_e32 v1, v3, v1, vcc
	v_mov_b32_e32 v3, 0x3b800000
	v_lshlrev_b32_e32 v1, 20, v1
	v_and_b32_e32 v0, 0x80000000, v0
	v_lshl_add_u32 v3, v5, 23, v3
	v_or3_b32 v0, v0, v3, v1
	v_cvt_f64_f32_e32 v[0:1], v0
.LBB71_1667:
	s_or_b64 exec, exec, s[16:17]
.LBB71_1668:
	s_mov_b64 s[16:17], -1
.LBB71_1669:
	s_branch .LBB71_1701
.LBB71_1670:
	v_mov_b32_e32 v0, 22
	v_cmp_gt_i16_sdwa s[4:5], s27, v0 src0_sel:BYTE_0 src1_sel:DWORD
	s_and_b64 vcc, exec, s[4:5]
	s_cbranch_vccz .LBB71_1680
; %bb.1671:
	v_mov_b32_e32 v0, 24
	v_cmp_lt_i16_sdwa s[4:5], s27, v0 src0_sel:BYTE_0 src1_sel:DWORD
	s_and_b64 vcc, exec, s[4:5]
	s_cbranch_vccnz .LBB71_1683
; %bb.1672:
	v_cmp_gt_i16_sdwa s[4:5], s27, v0 src0_sel:BYTE_0 src1_sel:DWORD
	s_and_b64 vcc, exec, s[4:5]
	s_cbranch_vccz .LBB71_1684
; %bb.1673:
	global_load_ubyte v3, v[24:25], off
	s_movk_i32 s4, 0x7f
                                        ; implicit-def: $sgpr6_sgpr7
	s_waitcnt vmcnt(0)
	v_cmp_lt_i16_e32 vcc, s4, v3
	s_mov_b64 s[4:5], 0
	s_and_saveexec_b64 s[16:17], vcc
	s_xor_b64 s[16:17], exec, s[16:17]
	s_cbranch_execz .LBB71_1695
; %bb.1674:
	s_movk_i32 s4, 0x80
	v_cmp_eq_u16_e32 vcc, s4, v3
	s_mov_b64 s[18:19], -1
                                        ; implicit-def: $sgpr6_sgpr7
	s_and_saveexec_b64 s[4:5], vcc
; %bb.1675:
	s_mov_b32 s7, 0x7ff80000
	s_brev_b32 s6, 4
	s_xor_b64 s[18:19], exec, -1
; %bb.1676:
	s_or_b64 exec, exec, s[4:5]
	s_and_b64 s[4:5], s[18:19], exec
	s_or_saveexec_b64 s[16:17], s[16:17]
	v_pk_mov_b32 v[0:1], s[6:7], s[6:7] op_sel:[0,1]
	s_xor_b64 exec, exec, s[16:17]
	s_cbranch_execnz .LBB71_1696
.LBB71_1677:
	s_or_b64 exec, exec, s[16:17]
	s_and_saveexec_b64 s[6:7], s[4:5]
	s_cbranch_execz .LBB71_1679
.LBB71_1678:
	v_and_b32_e32 v1, 0xffff, v3
	v_lshlrev_b32_e32 v0, 24, v3
	v_and_b32_e32 v3, 3, v1
	v_ffbh_u32_e32 v7, v3
	v_min_u32_e32 v7, 32, v7
	v_subrev_u32_e32 v9, 29, v7
	v_bfe_u32 v5, v1, 2, 5
	v_lshlrev_b32_e32 v1, v9, v1
	v_sub_u32_e32 v7, 30, v7
	v_and_b32_e32 v1, 3, v1
	v_cmp_eq_u32_e32 vcc, 0, v5
	v_cndmask_b32_e32 v5, v5, v7, vcc
	v_cndmask_b32_e32 v1, v3, v1, vcc
	v_mov_b32_e32 v3, 0x37800000
	v_lshlrev_b32_e32 v1, 21, v1
	v_and_b32_e32 v0, 0x80000000, v0
	v_lshl_add_u32 v3, v5, 23, v3
	v_or3_b32 v0, v0, v3, v1
	v_cvt_f64_f32_e32 v[0:1], v0
.LBB71_1679:
	s_or_b64 exec, exec, s[6:7]
	s_mov_b64 s[4:5], 0
	s_branch .LBB71_1685
.LBB71_1680:
                                        ; implicit-def: $vgpr0_vgpr1
	s_mov_b64 s[6:7], 0
	s_branch .LBB71_1691
.LBB71_1681:
	s_or_saveexec_b64 s[18:19], s[18:19]
	v_pk_mov_b32 v[0:1], s[16:17], s[16:17] op_sel:[0,1]
	s_xor_b64 exec, exec, s[18:19]
	s_cbranch_execz .LBB71_1665
.LBB71_1682:
	v_cmp_ne_u16_e32 vcc, 0, v3
	s_andn2_b64 s[4:5], s[4:5], exec
	s_and_b64 s[16:17], vcc, exec
	v_pk_mov_b32 v[0:1], 0, 0
	s_or_b64 s[4:5], s[4:5], s[16:17]
	s_or_b64 exec, exec, s[18:19]
	s_and_saveexec_b64 s[16:17], s[4:5]
	s_cbranch_execnz .LBB71_1666
	s_branch .LBB71_1667
.LBB71_1683:
	s_mov_b64 s[4:5], -1
                                        ; implicit-def: $vgpr0_vgpr1
	s_branch .LBB71_1688
.LBB71_1684:
	s_mov_b64 s[4:5], -1
                                        ; implicit-def: $vgpr0_vgpr1
.LBB71_1685:
	s_and_b64 vcc, exec, s[4:5]
	s_cbranch_vccz .LBB71_1687
; %bb.1686:
	global_load_ubyte v0, v[24:25], off
	s_mov_b32 s4, 0x7f800000
	s_waitcnt vmcnt(0)
	v_lshlrev_b32_e32 v0, 24, v0
	v_and_b32_e32 v1, 0x7f000000, v0
	v_ffbh_u32_e32 v3, v1
	v_min_u32_e32 v3, 32, v3
	v_sub_u32_e64 v3, v3, 4 clamp
	v_lshlrev_b32_e32 v7, v3, v1
	v_lshlrev_b32_e32 v3, 23, v3
	v_lshrrev_b32_e32 v7, 4, v7
	v_add_u32_e32 v5, 0x1000000, v1
	v_sub_u32_e32 v3, v7, v3
	v_ashrrev_i32_e32 v5, 8, v5
	v_add_u32_e32 v3, 0x3c000000, v3
	v_and_or_b32 v3, v5, s4, v3
	v_cmp_ne_u32_e32 vcc, 0, v1
	v_cndmask_b32_e32 v1, 0, v3, vcc
	s_brev_b32 s4, 1
	v_and_or_b32 v0, v0, s4, v1
	v_cvt_f64_f32_e32 v[0:1], v0
.LBB71_1687:
	s_mov_b64 s[4:5], 0
.LBB71_1688:
	s_andn2_b64 vcc, exec, s[4:5]
	s_cbranch_vccnz .LBB71_1690
; %bb.1689:
	global_load_ubyte v0, v[24:25], off
	s_movk_i32 s4, 0x7f00
	s_brev_b32 s5, 16
	s_waitcnt vmcnt(0)
	v_lshlrev_b16_e32 v1, 8, v0
	v_lshlrev_b32_e32 v0, 25, v0
	v_lshrrev_b32_e32 v3, 4, v0
	v_and_or_b32 v5, v1, s4, 0.5
	v_or_b32_e32 v3, 0x70000000, v3
	v_add_f32_e32 v5, -0.5, v5
	v_mul_f32_e32 v3, 0x7800000, v3
	v_cmp_gt_u32_e32 vcc, s5, v0
	v_bfe_i32 v1, v1, 0, 16
	v_cndmask_b32_e32 v0, v3, v5, vcc
	s_brev_b32 s4, 1
	v_and_or_b32 v0, v1, s4, v0
	v_cvt_f64_f32_e32 v[0:1], v0
.LBB71_1690:
	s_mov_b64 s[16:17], -1
	s_mov_b64 s[6:7], 0
	s_cbranch_execnz .LBB71_1701
.LBB71_1691:
	v_mov_b32_e32 v0, 14
	v_cmp_gt_i16_sdwa s[4:5], s27, v0 src0_sel:BYTE_0 src1_sel:DWORD
	s_and_b64 vcc, exec, s[4:5]
	s_cbranch_vccz .LBB71_1694
; %bb.1692:
	v_mov_b32_e32 v0, 15
	v_cmp_eq_u16_sdwa s[0:1], s27, v0 src0_sel:BYTE_0 src1_sel:DWORD
	s_and_b64 vcc, exec, s[0:1]
	s_cbranch_vccz .LBB71_1697
; %bb.1693:
	global_load_ushort v0, v[24:25], off
	s_mov_b64 s[0:1], 0
	s_mov_b64 s[16:17], -1
	s_waitcnt vmcnt(0)
	v_lshlrev_b32_e32 v0, 16, v0
	v_cvt_f64_f32_e32 v[0:1], v0
	s_branch .LBB71_1698
.LBB71_1694:
	s_mov_b64 s[4:5], -1
                                        ; implicit-def: $vgpr0_vgpr1
	s_branch .LBB71_1699
.LBB71_1695:
	s_or_saveexec_b64 s[16:17], s[16:17]
	v_pk_mov_b32 v[0:1], s[6:7], s[6:7] op_sel:[0,1]
	s_xor_b64 exec, exec, s[16:17]
	s_cbranch_execz .LBB71_1677
.LBB71_1696:
	v_cmp_ne_u16_e32 vcc, 0, v3
	s_andn2_b64 s[4:5], s[4:5], exec
	s_and_b64 s[6:7], vcc, exec
	v_pk_mov_b32 v[0:1], 0, 0
	s_or_b64 s[4:5], s[4:5], s[6:7]
	s_or_b64 exec, exec, s[16:17]
	s_and_saveexec_b64 s[6:7], s[4:5]
	s_cbranch_execnz .LBB71_1678
	s_branch .LBB71_1679
.LBB71_1697:
	s_mov_b64 s[0:1], -1
                                        ; implicit-def: $vgpr0_vgpr1
.LBB71_1698:
	s_mov_b64 s[4:5], 0
.LBB71_1699:
	s_and_b64 vcc, exec, s[4:5]
	s_cbranch_vccz .LBB71_1701
; %bb.1700:
	v_mov_b32_e32 v0, 11
	v_cmp_ne_u16_sdwa s[0:1], s27, v0 src0_sel:BYTE_0 src1_sel:DWORD
	s_mov_b64 s[6:7], -1
                                        ; implicit-def: $vgpr0_vgpr1
.LBB71_1701:
	s_and_b64 vcc, exec, s[0:1]
	s_mov_b64 s[4:5], s[12:13]
	s_cbranch_vccnz .LBB71_1762
; %bb.1702:
	s_andn2_b64 vcc, exec, s[6:7]
	s_cbranch_vccnz .LBB71_1704
.LBB71_1703:
	global_load_ubyte v1, v[24:25], off
	v_mov_b32_e32 v3, 0x3ff00000
	v_mov_b32_e32 v0, 0
	s_mov_b64 s[16:17], -1
	s_waitcnt vmcnt(0)
	v_cmp_ne_u16_e32 vcc, 0, v1
	v_cndmask_b32_e32 v1, 0, v3, vcc
.LBB71_1704:
	s_branch .LBB71_1634
.LBB71_1705:
	v_mov_b32_e32 v0, 5
	v_cmp_lt_i16_sdwa s[0:1], s27, v0 src0_sel:BYTE_0 src1_sel:DWORD
	s_and_b64 vcc, exec, s[0:1]
	s_cbranch_vccnz .LBB71_1710
; %bb.1706:
	v_mov_b32_e32 v0, 8
	v_cmp_lt_i16_sdwa s[0:1], s27, v0 src0_sel:BYTE_0 src1_sel:DWORD
	s_and_b64 vcc, exec, s[0:1]
	s_cbranch_vccnz .LBB71_1711
; %bb.1707:
	;; [unrolled: 5-line block ×3, first 2 shown]
	v_cmp_gt_i16_sdwa s[0:1], s27, v0 src0_sel:BYTE_0 src1_sel:DWORD
	s_and_b64 vcc, exec, s[0:1]
	s_cbranch_vccz .LBB71_1713
; %bb.1709:
	global_load_dwordx2 v[0:1], v[24:25], off
	s_mov_b64 s[0:1], 0
	s_branch .LBB71_1714
.LBB71_1710:
                                        ; implicit-def: $vgpr0_vgpr1
	s_branch .LBB71_1731
.LBB71_1711:
                                        ; implicit-def: $vgpr0_vgpr1
	s_branch .LBB71_1720
.LBB71_1712:
	s_mov_b64 s[0:1], -1
                                        ; implicit-def: $vgpr0_vgpr1
	s_branch .LBB71_1717
.LBB71_1713:
	s_mov_b64 s[0:1], -1
                                        ; implicit-def: $vgpr0_vgpr1
.LBB71_1714:
	s_andn2_b64 vcc, exec, s[0:1]
	s_cbranch_vccnz .LBB71_1716
; %bb.1715:
	global_load_dword v0, v[24:25], off
	s_waitcnt vmcnt(0)
	v_cvt_f64_f32_e32 v[0:1], v0
.LBB71_1716:
	s_mov_b64 s[0:1], 0
.LBB71_1717:
	s_andn2_b64 vcc, exec, s[0:1]
	s_cbranch_vccnz .LBB71_1719
; %bb.1718:
	global_load_dword v0, v[24:25], off
	s_waitcnt vmcnt(0)
	v_cvt_f32_f16_e32 v0, v0
	v_cvt_f64_f32_e32 v[0:1], v0
.LBB71_1719:
	s_cbranch_execnz .LBB71_1730
.LBB71_1720:
	s_waitcnt vmcnt(0)
	v_mov_b32_e32 v0, 6
	v_cmp_lt_i16_sdwa s[0:1], s27, v0 src0_sel:BYTE_0 src1_sel:DWORD
	s_and_b64 vcc, exec, s[0:1]
	s_cbranch_vccnz .LBB71_1723
; %bb.1721:
	v_cmp_gt_i16_sdwa s[0:1], s27, v0 src0_sel:BYTE_0 src1_sel:DWORD
	s_and_b64 vcc, exec, s[0:1]
	s_cbranch_vccz .LBB71_1724
; %bb.1722:
	global_load_dwordx2 v[0:1], v[24:25], off
	s_mov_b64 s[0:1], 0
	s_branch .LBB71_1725
.LBB71_1723:
	s_mov_b64 s[0:1], -1
                                        ; implicit-def: $vgpr0_vgpr1
	s_branch .LBB71_1728
.LBB71_1724:
	s_mov_b64 s[0:1], -1
                                        ; implicit-def: $vgpr0_vgpr1
.LBB71_1725:
	s_andn2_b64 vcc, exec, s[0:1]
	s_cbranch_vccnz .LBB71_1727
; %bb.1726:
	global_load_dword v0, v[24:25], off
	s_waitcnt vmcnt(0)
	v_cvt_f64_f32_e32 v[0:1], v0
.LBB71_1727:
	s_mov_b64 s[0:1], 0
.LBB71_1728:
	s_andn2_b64 vcc, exec, s[0:1]
	s_cbranch_vccnz .LBB71_1730
; %bb.1729:
	global_load_ushort v0, v[24:25], off
	s_waitcnt vmcnt(0)
	v_cvt_f32_f16_e32 v0, v0
	v_cvt_f64_f32_e32 v[0:1], v0
.LBB71_1730:
	s_cbranch_execnz .LBB71_1749
.LBB71_1731:
	s_waitcnt vmcnt(0)
	v_mov_b32_e32 v0, 2
	v_cmp_lt_i16_sdwa s[0:1], s27, v0 src0_sel:BYTE_0 src1_sel:DWORD
	s_and_b64 vcc, exec, s[0:1]
	s_cbranch_vccnz .LBB71_1735
; %bb.1732:
	v_mov_b32_e32 v0, 3
	v_cmp_lt_i16_sdwa s[0:1], s27, v0 src0_sel:BYTE_0 src1_sel:DWORD
	s_and_b64 vcc, exec, s[0:1]
	s_cbranch_vccnz .LBB71_1736
; %bb.1733:
	v_cmp_gt_i16_sdwa s[0:1], s27, v0 src0_sel:BYTE_0 src1_sel:DWORD
	s_and_b64 vcc, exec, s[0:1]
	s_cbranch_vccz .LBB71_1737
; %bb.1734:
	global_load_dwordx2 v[0:1], v[24:25], off
	s_mov_b64 s[0:1], 0
	s_waitcnt vmcnt(0)
	v_cvt_f64_i32_e32 v[26:27], v1
	v_cvt_f64_u32_e32 v[0:1], v0
	v_ldexp_f64 v[26:27], v[26:27], 32
	v_add_f64 v[0:1], v[26:27], v[0:1]
	s_branch .LBB71_1738
.LBB71_1735:
                                        ; implicit-def: $vgpr0_vgpr1
	s_branch .LBB71_1744
.LBB71_1736:
	s_mov_b64 s[0:1], -1
                                        ; implicit-def: $vgpr0_vgpr1
	s_branch .LBB71_1741
.LBB71_1737:
	s_mov_b64 s[0:1], -1
                                        ; implicit-def: $vgpr0_vgpr1
.LBB71_1738:
	s_andn2_b64 vcc, exec, s[0:1]
	s_cbranch_vccnz .LBB71_1740
; %bb.1739:
	global_load_dword v0, v[24:25], off
	s_waitcnt vmcnt(0)
	v_cvt_f64_i32_e32 v[0:1], v0
.LBB71_1740:
	s_mov_b64 s[0:1], 0
.LBB71_1741:
	s_andn2_b64 vcc, exec, s[0:1]
	s_cbranch_vccnz .LBB71_1743
; %bb.1742:
	global_load_sshort v0, v[24:25], off
	s_waitcnt vmcnt(0)
	v_cvt_f64_i32_e32 v[0:1], v0
.LBB71_1743:
	s_cbranch_execnz .LBB71_1749
.LBB71_1744:
	v_mov_b32_e32 v0, 0
	v_cmp_gt_i16_sdwa s[0:1], s27, v0 src0_sel:BYTE_0 src1_sel:DWORD
	s_and_b64 vcc, exec, s[0:1]
	s_cbranch_vccz .LBB71_1746
; %bb.1745:
	global_load_sbyte v0, v[24:25], off
	s_mov_b64 s[0:1], 0
	s_waitcnt vmcnt(0)
	v_cvt_f64_i32_e32 v[0:1], v0
	s_branch .LBB71_1747
.LBB71_1746:
	s_mov_b64 s[0:1], -1
                                        ; implicit-def: $vgpr0_vgpr1
.LBB71_1747:
	s_andn2_b64 vcc, exec, s[0:1]
	s_cbranch_vccnz .LBB71_1749
; %bb.1748:
	global_load_ubyte v0, v[24:25], off
	s_waitcnt vmcnt(0)
	v_cvt_f64_u32_e32 v[0:1], v0
.LBB71_1749:
.LBB71_1750:
	s_load_dwordx2 s[0:1], s[2:3], 0x198
	s_lshr_b32 s28, s26, 24
	v_cmp_lt_i16_e64 s[2:3], s28, 11
	s_waitcnt lgkmcnt(0)
	v_mov_b32_e32 v3, s1
	v_add_co_u32_e32 v24, vcc, s0, v18
	v_addc_co_u32_e32 v25, vcc, 0, v3, vcc
	s_and_b64 vcc, exec, s[2:3]
	s_cbranch_vccnz .LBB71_1757
; %bb.1751:
	v_cmp_gt_i16_e64 s[6:7], s28, 25
	s_mov_b64 s[16:17], 0
	s_and_b64 vcc, exec, s[6:7]
	s_cbranch_vccz .LBB71_1759
; %bb.1752:
	v_cmp_gt_i16_e64 s[6:7], s28, 28
	s_and_b64 vcc, exec, s[6:7]
	s_cbranch_vccz .LBB71_1760
; %bb.1753:
	v_cmp_gt_i16_e64 s[6:7], s28, 43
	;; [unrolled: 4-line block ×3, first 2 shown]
	s_and_b64 vcc, exec, s[6:7]
	s_cbranch_vccz .LBB71_1763
; %bb.1755:
	v_cmp_eq_u16_e64 s[6:7], s28, 46
	s_mov_b64 s[20:21], 0
	s_and_b64 vcc, exec, s[6:7]
	s_cbranch_vccz .LBB71_1766
; %bb.1756:
	global_load_dword v3, v[24:25], off
	s_mov_b64 s[6:7], 0
	s_mov_b64 s[18:19], -1
	s_waitcnt vmcnt(0)
	v_lshlrev_b32_e32 v3, 16, v3
	v_cvt_f64_f32_e32 v[18:19], v3
	s_branch .LBB71_1767
.LBB71_1757:
	s_mov_b64 s[18:19], 0
                                        ; implicit-def: $vgpr18_vgpr19
	s_cbranch_execnz .LBB71_1832
.LBB71_1758:
	s_andn2_b64 vcc, exec, s[18:19]
	s_cbranch_vccnz .LBB71_3113
	s_branch .LBB71_1879
.LBB71_1759:
	s_mov_b64 s[18:19], 0
	s_mov_b64 s[6:7], 0
                                        ; implicit-def: $vgpr18_vgpr19
	s_cbranch_execnz .LBB71_1796
	s_branch .LBB71_1828
.LBB71_1760:
	s_mov_b64 s[20:21], -1
	s_mov_b64 s[18:19], 0
	s_mov_b64 s[6:7], 0
                                        ; implicit-def: $vgpr18_vgpr19
	s_branch .LBB71_1777
.LBB71_1761:
	s_mov_b64 s[20:21], -1
	s_mov_b64 s[18:19], 0
	s_mov_b64 s[6:7], 0
                                        ; implicit-def: $vgpr18_vgpr19
	s_branch .LBB71_1772
.LBB71_1762:
	s_or_b64 s[4:5], s[12:13], exec
	s_trap 2
                                        ; implicit-def: $vgpr0_vgpr1
	s_cbranch_execz .LBB71_1703
	s_branch .LBB71_1704
.LBB71_1763:
	s_mov_b64 s[20:21], -1
	s_mov_b64 s[18:19], 0
	s_mov_b64 s[6:7], 0
                                        ; implicit-def: $vgpr18_vgpr19
	s_branch .LBB71_1767
.LBB71_1764:
	s_or_saveexec_b64 s[18:19], s[18:19]
                                        ; implicit-def: $sgpr24
	s_xor_b64 exec, exec, s[18:19]
	s_cbranch_execz .LBB71_1506
.LBB71_1765:
	s_mov_b32 s24, 0x42800000
	v_add_f32_e64 v3, |v2|, s24
	v_and_b32_e32 v3, 0xff, v3
	v_cmp_ne_u32_e32 vcc, 0, v3
	s_andn2_b64 s[16:17], s[16:17], exec
	s_and_b64 s[26:27], vcc, exec
	s_mov_b32 s24, 0
	s_or_b64 s[16:17], s[16:17], s[26:27]
	s_or_b64 exec, exec, s[18:19]
	v_mov_b32_e32 v7, s24
	s_and_saveexec_b64 s[18:19], s[16:17]
	s_cbranch_execnz .LBB71_1507
	s_branch .LBB71_1508
.LBB71_1766:
	s_mov_b64 s[6:7], -1
                                        ; implicit-def: $vgpr18_vgpr19
	s_mov_b64 s[18:19], 0
.LBB71_1767:
	s_and_b64 vcc, exec, s[20:21]
	s_cbranch_vccz .LBB71_1771
; %bb.1768:
	v_cmp_eq_u16_e64 s[6:7], s28, 44
	s_and_b64 vcc, exec, s[6:7]
	s_cbranch_vccz .LBB71_1770
; %bb.1769:
	global_load_ubyte v3, v[24:25], off
	s_movk_i32 s18, 0xff
	v_mov_b32_e32 v5, 0x7ff80000
	v_bfrev_b32_e32 v7, 28
	s_mov_b64 s[6:7], 0
	s_waitcnt vmcnt(0)
	v_lshlrev_b32_e32 v9, 23, v3
	v_cvt_f64_f32_e32 v[18:19], v9
	v_cmp_ne_u32_e32 vcc, s18, v3
	v_cndmask_b32_e32 v5, v5, v19, vcc
	v_cmp_ne_u32_e32 vcc, 0, v3
	v_cndmask_b32_e32 v19, v7, v5, vcc
	s_mov_b64 s[18:19], -1
	s_branch .LBB71_1771
.LBB71_1770:
	s_mov_b64 s[6:7], -1
                                        ; implicit-def: $vgpr18_vgpr19
.LBB71_1771:
	s_mov_b64 s[20:21], 0
.LBB71_1772:
	s_and_b64 vcc, exec, s[20:21]
	s_cbranch_vccz .LBB71_1776
; %bb.1773:
	v_cmp_eq_u16_e64 s[6:7], s28, 29
	s_and_b64 vcc, exec, s[6:7]
	s_cbranch_vccz .LBB71_1775
; %bb.1774:
	global_load_dwordx2 v[18:19], v[24:25], off
	s_mov_b64 s[6:7], 0
	s_mov_b64 s[18:19], -1
	s_mov_b64 s[20:21], 0
	s_waitcnt vmcnt(0)
	v_cvt_f64_u32_e32 v[26:27], v19
	v_cvt_f64_u32_e32 v[18:19], v18
	v_ldexp_f64 v[26:27], v[26:27], 32
	v_add_f64 v[18:19], v[26:27], v[18:19]
	s_branch .LBB71_1777
.LBB71_1775:
	s_mov_b64 s[6:7], -1
                                        ; implicit-def: $vgpr18_vgpr19
.LBB71_1776:
	s_mov_b64 s[20:21], 0
.LBB71_1777:
	s_and_b64 vcc, exec, s[20:21]
	s_cbranch_vccz .LBB71_1795
; %bb.1778:
	v_cmp_lt_i16_e64 s[18:19], s28, 27
	s_and_b64 vcc, exec, s[18:19]
	s_cbranch_vccnz .LBB71_1781
; %bb.1779:
	v_cmp_gt_i16_e64 s[18:19], s28, 27
	s_and_b64 vcc, exec, s[18:19]
	s_cbranch_vccz .LBB71_1782
; %bb.1780:
	global_load_dword v3, v[24:25], off
	s_mov_b64 s[18:19], 0
	s_waitcnt vmcnt(0)
	v_cvt_f64_u32_e32 v[18:19], v3
	s_branch .LBB71_1783
.LBB71_1781:
	s_mov_b64 s[18:19], -1
                                        ; implicit-def: $vgpr18_vgpr19
	s_branch .LBB71_1786
.LBB71_1782:
	s_mov_b64 s[18:19], -1
                                        ; implicit-def: $vgpr18_vgpr19
.LBB71_1783:
	s_andn2_b64 vcc, exec, s[18:19]
	s_cbranch_vccnz .LBB71_1785
; %bb.1784:
	global_load_ushort v3, v[24:25], off
	s_waitcnt vmcnt(0)
	v_cvt_f64_u32_e32 v[18:19], v3
.LBB71_1785:
	s_mov_b64 s[18:19], 0
.LBB71_1786:
	s_andn2_b64 vcc, exec, s[18:19]
	s_cbranch_vccnz .LBB71_1794
; %bb.1787:
	global_load_ubyte v3, v[24:25], off
	s_movk_i32 s18, 0x7f
                                        ; implicit-def: $sgpr20_sgpr21
	s_waitcnt vmcnt(0)
	v_cmp_lt_i16_e32 vcc, s18, v3
	s_mov_b64 s[18:19], 0
	s_and_saveexec_b64 s[22:23], vcc
	s_xor_b64 s[22:23], exec, s[22:23]
	s_cbranch_execz .LBB71_1807
; %bb.1788:
	s_movk_i32 s18, 0x80
	v_cmp_eq_u16_e32 vcc, s18, v3
	s_mov_b64 s[24:25], -1
                                        ; implicit-def: $sgpr20_sgpr21
	s_and_saveexec_b64 s[18:19], vcc
; %bb.1789:
	s_mov_b32 s21, 0x7ff80000
	s_brev_b32 s20, 4
	s_xor_b64 s[24:25], exec, -1
; %bb.1790:
	s_or_b64 exec, exec, s[18:19]
	s_and_b64 s[18:19], s[24:25], exec
	s_or_saveexec_b64 s[22:23], s[22:23]
	v_pk_mov_b32 v[18:19], s[20:21], s[20:21] op_sel:[0,1]
	s_xor_b64 exec, exec, s[22:23]
	s_cbranch_execnz .LBB71_1808
.LBB71_1791:
	s_or_b64 exec, exec, s[22:23]
	s_and_saveexec_b64 s[20:21], s[18:19]
	s_cbranch_execz .LBB71_1793
.LBB71_1792:
	v_lshlrev_b32_e32 v5, 24, v3
	v_and_b32_e32 v3, 0xffff, v3
	v_and_b32_e32 v7, 7, v3
	v_ffbh_u32_e32 v11, v7
	v_min_u32_e32 v11, 32, v11
	v_subrev_u32_e32 v13, 28, v11
	v_bfe_u32 v9, v3, 3, 4
	v_lshlrev_b32_e32 v3, v13, v3
	v_sub_u32_e32 v11, 29, v11
	v_and_b32_e32 v3, 7, v3
	v_cmp_eq_u32_e32 vcc, 0, v9
	v_cndmask_b32_e32 v9, v9, v11, vcc
	v_cndmask_b32_e32 v3, v7, v3, vcc
	v_mov_b32_e32 v7, 0x3b800000
	v_lshlrev_b32_e32 v3, 20, v3
	v_and_b32_e32 v5, 0x80000000, v5
	v_lshl_add_u32 v7, v9, 23, v7
	v_or3_b32 v3, v5, v7, v3
	v_cvt_f64_f32_e32 v[18:19], v3
.LBB71_1793:
	s_or_b64 exec, exec, s[20:21]
.LBB71_1794:
	s_mov_b64 s[18:19], -1
.LBB71_1795:
	s_branch .LBB71_1828
.LBB71_1796:
	v_cmp_gt_i16_e64 s[16:17], s28, 22
	s_and_b64 vcc, exec, s[16:17]
	s_cbranch_vccz .LBB71_1806
; %bb.1797:
	v_cmp_lt_i16_e64 s[16:17], s28, 24
	s_and_b64 vcc, exec, s[16:17]
	s_cbranch_vccnz .LBB71_1809
; %bb.1798:
	v_cmp_gt_i16_e64 s[16:17], s28, 24
	s_and_b64 vcc, exec, s[16:17]
	s_cbranch_vccz .LBB71_1810
; %bb.1799:
	global_load_ubyte v3, v[24:25], off
	s_movk_i32 s16, 0x7f
                                        ; implicit-def: $sgpr18_sgpr19
	s_waitcnt vmcnt(0)
	v_cmp_lt_i16_e32 vcc, s16, v3
	s_mov_b64 s[16:17], 0
	s_and_saveexec_b64 s[20:21], vcc
	s_xor_b64 s[20:21], exec, s[20:21]
	s_cbranch_execz .LBB71_1822
; %bb.1800:
	s_movk_i32 s16, 0x80
	v_cmp_eq_u16_e32 vcc, s16, v3
	s_mov_b64 s[22:23], -1
                                        ; implicit-def: $sgpr18_sgpr19
	s_and_saveexec_b64 s[16:17], vcc
; %bb.1801:
	s_mov_b32 s19, 0x7ff80000
	s_brev_b32 s18, 4
	s_xor_b64 s[22:23], exec, -1
; %bb.1802:
	s_or_b64 exec, exec, s[16:17]
	s_and_b64 s[16:17], s[22:23], exec
	s_or_saveexec_b64 s[20:21], s[20:21]
	v_pk_mov_b32 v[18:19], s[18:19], s[18:19] op_sel:[0,1]
	s_xor_b64 exec, exec, s[20:21]
	s_cbranch_execnz .LBB71_1823
.LBB71_1803:
	s_or_b64 exec, exec, s[20:21]
	s_and_saveexec_b64 s[18:19], s[16:17]
	s_cbranch_execz .LBB71_1805
.LBB71_1804:
	v_lshlrev_b32_e32 v5, 24, v3
	v_and_b32_e32 v3, 0xffff, v3
	v_and_b32_e32 v7, 3, v3
	v_ffbh_u32_e32 v11, v7
	v_min_u32_e32 v11, 32, v11
	v_subrev_u32_e32 v13, 29, v11
	v_bfe_u32 v9, v3, 2, 5
	v_lshlrev_b32_e32 v3, v13, v3
	v_sub_u32_e32 v11, 30, v11
	v_and_b32_e32 v3, 3, v3
	v_cmp_eq_u32_e32 vcc, 0, v9
	v_cndmask_b32_e32 v9, v9, v11, vcc
	v_cndmask_b32_e32 v3, v7, v3, vcc
	v_mov_b32_e32 v7, 0x37800000
	v_lshlrev_b32_e32 v3, 21, v3
	v_and_b32_e32 v5, 0x80000000, v5
	v_lshl_add_u32 v7, v9, 23, v7
	v_or3_b32 v3, v5, v7, v3
	v_cvt_f64_f32_e32 v[18:19], v3
.LBB71_1805:
	s_or_b64 exec, exec, s[18:19]
	s_mov_b64 s[16:17], 0
	s_branch .LBB71_1811
.LBB71_1806:
	s_mov_b64 s[16:17], -1
                                        ; implicit-def: $vgpr18_vgpr19
	s_branch .LBB71_1817
.LBB71_1807:
	s_or_saveexec_b64 s[22:23], s[22:23]
	v_pk_mov_b32 v[18:19], s[20:21], s[20:21] op_sel:[0,1]
	s_xor_b64 exec, exec, s[22:23]
	s_cbranch_execz .LBB71_1791
.LBB71_1808:
	v_cmp_ne_u16_e32 vcc, 0, v3
	s_andn2_b64 s[18:19], s[18:19], exec
	s_and_b64 s[20:21], vcc, exec
	v_pk_mov_b32 v[18:19], 0, 0
	s_or_b64 s[18:19], s[18:19], s[20:21]
	s_or_b64 exec, exec, s[22:23]
	s_and_saveexec_b64 s[20:21], s[18:19]
	s_cbranch_execnz .LBB71_1792
	s_branch .LBB71_1793
.LBB71_1809:
	s_mov_b64 s[16:17], -1
                                        ; implicit-def: $vgpr18_vgpr19
	s_branch .LBB71_1814
.LBB71_1810:
	s_mov_b64 s[16:17], -1
                                        ; implicit-def: $vgpr18_vgpr19
.LBB71_1811:
	s_and_b64 vcc, exec, s[16:17]
	s_cbranch_vccz .LBB71_1813
; %bb.1812:
	global_load_ubyte v3, v[24:25], off
	s_mov_b32 s16, 0x7f800000
	s_waitcnt vmcnt(0)
	v_lshlrev_b32_e32 v3, 24, v3
	v_and_b32_e32 v5, 0x7f000000, v3
	v_ffbh_u32_e32 v7, v5
	v_min_u32_e32 v7, 32, v7
	v_sub_u32_e64 v7, v7, 4 clamp
	v_lshlrev_b32_e32 v11, v7, v5
	v_lshlrev_b32_e32 v7, 23, v7
	v_lshrrev_b32_e32 v11, 4, v11
	v_add_u32_e32 v9, 0x1000000, v5
	v_sub_u32_e32 v7, v11, v7
	v_ashrrev_i32_e32 v9, 8, v9
	v_add_u32_e32 v7, 0x3c000000, v7
	v_and_or_b32 v7, v9, s16, v7
	v_cmp_ne_u32_e32 vcc, 0, v5
	v_cndmask_b32_e32 v5, 0, v7, vcc
	s_brev_b32 s16, 1
	v_and_or_b32 v3, v3, s16, v5
	v_cvt_f64_f32_e32 v[18:19], v3
.LBB71_1813:
	s_mov_b64 s[16:17], 0
.LBB71_1814:
	s_andn2_b64 vcc, exec, s[16:17]
	s_cbranch_vccnz .LBB71_1816
; %bb.1815:
	global_load_ubyte v3, v[24:25], off
	s_movk_i32 s16, 0x7f00
	s_brev_b32 s17, 16
	s_waitcnt vmcnt(0)
	v_lshlrev_b16_e32 v5, 8, v3
	v_lshlrev_b32_e32 v3, 25, v3
	v_lshrrev_b32_e32 v7, 4, v3
	v_and_or_b32 v9, v5, s16, 0.5
	v_or_b32_e32 v7, 0x70000000, v7
	v_add_f32_e32 v9, -0.5, v9
	v_mul_f32_e32 v7, 0x7800000, v7
	v_cmp_gt_u32_e32 vcc, s17, v3
	v_bfe_i32 v5, v5, 0, 16
	v_cndmask_b32_e32 v3, v7, v9, vcc
	s_brev_b32 s16, 1
	v_and_or_b32 v3, v5, s16, v3
	v_cvt_f64_f32_e32 v[18:19], v3
.LBB71_1816:
	s_mov_b64 s[16:17], 0
	s_mov_b64 s[18:19], -1
.LBB71_1817:
	s_andn2_b64 vcc, exec, s[16:17]
	s_mov_b64 s[16:17], 0
	s_cbranch_vccnz .LBB71_1828
; %bb.1818:
	v_cmp_gt_i16_e64 s[16:17], s28, 14
	s_and_b64 vcc, exec, s[16:17]
	s_cbranch_vccz .LBB71_1821
; %bb.1819:
	v_cmp_eq_u16_e64 s[6:7], s28, 15
	s_and_b64 vcc, exec, s[6:7]
	s_cbranch_vccz .LBB71_1824
; %bb.1820:
	global_load_ushort v3, v[24:25], off
	s_mov_b64 s[6:7], 0
	s_mov_b64 s[18:19], -1
	s_waitcnt vmcnt(0)
	v_lshlrev_b32_e32 v3, 16, v3
	v_cvt_f64_f32_e32 v[18:19], v3
	s_branch .LBB71_1825
.LBB71_1821:
	s_mov_b64 s[20:21], -1
                                        ; implicit-def: $vgpr18_vgpr19
	s_branch .LBB71_1826
.LBB71_1822:
	s_or_saveexec_b64 s[20:21], s[20:21]
	v_pk_mov_b32 v[18:19], s[18:19], s[18:19] op_sel:[0,1]
	s_xor_b64 exec, exec, s[20:21]
	s_cbranch_execz .LBB71_1803
.LBB71_1823:
	v_cmp_ne_u16_e32 vcc, 0, v3
	s_andn2_b64 s[16:17], s[16:17], exec
	s_and_b64 s[18:19], vcc, exec
	v_pk_mov_b32 v[18:19], 0, 0
	s_or_b64 s[16:17], s[16:17], s[18:19]
	s_or_b64 exec, exec, s[20:21]
	s_and_saveexec_b64 s[18:19], s[16:17]
	s_cbranch_execnz .LBB71_1804
	s_branch .LBB71_1805
.LBB71_1824:
	s_mov_b64 s[6:7], -1
                                        ; implicit-def: $vgpr18_vgpr19
.LBB71_1825:
	s_mov_b64 s[20:21], 0
.LBB71_1826:
	s_mov_b64 s[16:17], 0
	s_and_b64 vcc, exec, s[20:21]
	s_cbranch_vccz .LBB71_1828
; %bb.1827:
	v_cmp_ne_u16_e64 s[6:7], s28, 11
	s_mov_b64 s[16:17], -1
                                        ; implicit-def: $vgpr18_vgpr19
.LBB71_1828:
	s_and_b64 vcc, exec, s[6:7]
	s_cbranch_vccnz .LBB71_1891
; %bb.1829:
	s_andn2_b64 vcc, exec, s[16:17]
	s_cbranch_vccnz .LBB71_1831
.LBB71_1830:
	global_load_ubyte v3, v[24:25], off
	v_mov_b32_e32 v5, 0x3ff00000
	s_mov_b64 s[18:19], -1
	s_waitcnt vmcnt(0)
	v_cmp_ne_u16_e32 vcc, 0, v3
	v_cndmask_b32_e32 v19, 0, v5, vcc
.LBB71_1831:
	s_branch .LBB71_1758
.LBB71_1832:
	v_cmp_lt_i16_e64 s[6:7], s28, 5
	s_and_b64 vcc, exec, s[6:7]
	s_cbranch_vccnz .LBB71_1837
; %bb.1833:
	v_cmp_lt_i16_e64 s[6:7], s28, 8
	s_and_b64 vcc, exec, s[6:7]
	s_cbranch_vccnz .LBB71_1838
; %bb.1834:
	;; [unrolled: 4-line block ×3, first 2 shown]
	v_cmp_gt_i16_e64 s[6:7], s28, 9
	s_and_b64 vcc, exec, s[6:7]
	s_cbranch_vccz .LBB71_1840
; %bb.1836:
	global_load_dwordx2 v[18:19], v[24:25], off
	s_mov_b64 s[6:7], 0
	s_branch .LBB71_1841
.LBB71_1837:
                                        ; implicit-def: $vgpr18_vgpr19
	s_branch .LBB71_1859
.LBB71_1838:
	s_mov_b64 s[6:7], -1
                                        ; implicit-def: $vgpr18_vgpr19
	s_branch .LBB71_1847
.LBB71_1839:
	s_mov_b64 s[6:7], -1
                                        ; implicit-def: $vgpr18_vgpr19
	s_branch .LBB71_1844
.LBB71_1840:
	s_mov_b64 s[6:7], -1
                                        ; implicit-def: $vgpr18_vgpr19
.LBB71_1841:
	s_andn2_b64 vcc, exec, s[6:7]
	s_cbranch_vccnz .LBB71_1843
; %bb.1842:
	global_load_dword v3, v[24:25], off
	s_waitcnt vmcnt(0)
	v_cvt_f64_f32_e32 v[18:19], v3
.LBB71_1843:
	s_mov_b64 s[6:7], 0
.LBB71_1844:
	s_andn2_b64 vcc, exec, s[6:7]
	s_cbranch_vccnz .LBB71_1846
; %bb.1845:
	global_load_dword v3, v[24:25], off
	s_waitcnt vmcnt(0)
	v_cvt_f32_f16_e32 v3, v3
	v_cvt_f64_f32_e32 v[18:19], v3
.LBB71_1846:
	s_mov_b64 s[6:7], 0
.LBB71_1847:
	s_andn2_b64 vcc, exec, s[6:7]
	s_cbranch_vccnz .LBB71_1858
; %bb.1848:
	v_cmp_lt_i16_e64 s[6:7], s28, 6
	s_and_b64 vcc, exec, s[6:7]
	s_cbranch_vccnz .LBB71_1851
; %bb.1849:
	v_cmp_gt_i16_e64 s[6:7], s28, 6
	s_and_b64 vcc, exec, s[6:7]
	s_cbranch_vccz .LBB71_1852
; %bb.1850:
	global_load_dwordx2 v[18:19], v[24:25], off
	s_mov_b64 s[6:7], 0
	s_branch .LBB71_1853
.LBB71_1851:
	s_mov_b64 s[6:7], -1
                                        ; implicit-def: $vgpr18_vgpr19
	s_branch .LBB71_1856
.LBB71_1852:
	s_mov_b64 s[6:7], -1
                                        ; implicit-def: $vgpr18_vgpr19
.LBB71_1853:
	s_andn2_b64 vcc, exec, s[6:7]
	s_cbranch_vccnz .LBB71_1855
; %bb.1854:
	global_load_dword v3, v[24:25], off
	s_waitcnt vmcnt(0)
	v_cvt_f64_f32_e32 v[18:19], v3
.LBB71_1855:
	s_mov_b64 s[6:7], 0
.LBB71_1856:
	s_andn2_b64 vcc, exec, s[6:7]
	s_cbranch_vccnz .LBB71_1858
; %bb.1857:
	global_load_ushort v3, v[24:25], off
	s_waitcnt vmcnt(0)
	v_cvt_f32_f16_e32 v3, v3
	v_cvt_f64_f32_e32 v[18:19], v3
.LBB71_1858:
	s_cbranch_execnz .LBB71_1878
.LBB71_1859:
	v_cmp_lt_i16_e64 s[6:7], s28, 2
	s_and_b64 vcc, exec, s[6:7]
	s_cbranch_vccnz .LBB71_1863
; %bb.1860:
	v_cmp_lt_i16_e64 s[6:7], s28, 3
	s_and_b64 vcc, exec, s[6:7]
	s_cbranch_vccnz .LBB71_1864
; %bb.1861:
	v_cmp_gt_i16_e64 s[6:7], s28, 3
	s_and_b64 vcc, exec, s[6:7]
	s_cbranch_vccz .LBB71_1865
; %bb.1862:
	global_load_dwordx2 v[18:19], v[24:25], off
	s_mov_b64 s[6:7], 0
	s_waitcnt vmcnt(0)
	v_cvt_f64_i32_e32 v[26:27], v19
	v_cvt_f64_u32_e32 v[18:19], v18
	v_ldexp_f64 v[26:27], v[26:27], 32
	v_add_f64 v[18:19], v[26:27], v[18:19]
	s_branch .LBB71_1866
.LBB71_1863:
	s_mov_b64 s[6:7], -1
                                        ; implicit-def: $vgpr18_vgpr19
	s_branch .LBB71_1872
.LBB71_1864:
	s_mov_b64 s[6:7], -1
                                        ; implicit-def: $vgpr18_vgpr19
	s_branch .LBB71_1869
.LBB71_1865:
	s_mov_b64 s[6:7], -1
                                        ; implicit-def: $vgpr18_vgpr19
.LBB71_1866:
	s_andn2_b64 vcc, exec, s[6:7]
	s_cbranch_vccnz .LBB71_1868
; %bb.1867:
	global_load_dword v3, v[24:25], off
	s_waitcnt vmcnt(0)
	v_cvt_f64_i32_e32 v[18:19], v3
.LBB71_1868:
	s_mov_b64 s[6:7], 0
.LBB71_1869:
	s_andn2_b64 vcc, exec, s[6:7]
	s_cbranch_vccnz .LBB71_1871
; %bb.1870:
	global_load_sshort v3, v[24:25], off
	s_waitcnt vmcnt(0)
	v_cvt_f64_i32_e32 v[18:19], v3
.LBB71_1871:
	s_mov_b64 s[6:7], 0
.LBB71_1872:
	s_andn2_b64 vcc, exec, s[6:7]
	s_cbranch_vccnz .LBB71_1878
; %bb.1873:
	v_cmp_gt_i16_e64 s[6:7], s28, 0
	s_and_b64 vcc, exec, s[6:7]
	s_cbranch_vccz .LBB71_1875
; %bb.1874:
	global_load_sbyte v3, v[24:25], off
	s_mov_b64 s[6:7], 0
	s_waitcnt vmcnt(0)
	v_cvt_f64_i32_e32 v[18:19], v3
	s_branch .LBB71_1876
.LBB71_1875:
	s_mov_b64 s[6:7], -1
                                        ; implicit-def: $vgpr18_vgpr19
.LBB71_1876:
	s_andn2_b64 vcc, exec, s[6:7]
	s_cbranch_vccnz .LBB71_1878
; %bb.1877:
	global_load_ubyte v3, v[24:25], off
	s_waitcnt vmcnt(0)
	v_cvt_f64_u32_e32 v[18:19], v3
.LBB71_1878:
.LBB71_1879:
	v_mov_b32_e32 v3, s11
	v_add_co_u32_e32 v24, vcc, s10, v4
	v_addc_co_u32_e32 v25, vcc, 0, v3, vcc
	v_mov_b32_e32 v3, 11
	v_cmp_lt_i16_sdwa s[6:7], s27, v3 src0_sel:BYTE_0 src1_sel:DWORD
	s_and_b64 vcc, exec, s[6:7]
	s_cbranch_vccnz .LBB71_1886
; %bb.1880:
	v_mov_b32_e32 v3, 25
	v_cmp_gt_i16_sdwa s[6:7], s27, v3 src0_sel:BYTE_0 src1_sel:DWORD
	s_mov_b64 s[16:17], 0
	s_and_b64 vcc, exec, s[6:7]
	s_cbranch_vccz .LBB71_1888
; %bb.1881:
	v_mov_b32_e32 v3, 28
	v_cmp_gt_i16_sdwa s[6:7], s27, v3 src0_sel:BYTE_0 src1_sel:DWORD
	s_and_b64 vcc, exec, s[6:7]
	s_cbranch_vccz .LBB71_1889
; %bb.1882:
	v_mov_b32_e32 v3, 43
	v_cmp_gt_i16_sdwa s[6:7], s27, v3 src0_sel:BYTE_0 src1_sel:DWORD
	;; [unrolled: 5-line block ×3, first 2 shown]
	s_and_b64 vcc, exec, s[6:7]
	s_cbranch_vccz .LBB71_1892
; %bb.1884:
	v_mov_b32_e32 v3, 46
	v_cmp_eq_u16_sdwa s[6:7], s27, v3 src0_sel:BYTE_0 src1_sel:DWORD
	s_mov_b64 s[20:21], 0
	s_and_b64 vcc, exec, s[6:7]
	s_cbranch_vccz .LBB71_1893
; %bb.1885:
	global_load_dword v3, v[24:25], off
	s_mov_b64 s[6:7], 0
	s_mov_b64 s[18:19], -1
	s_waitcnt vmcnt(0)
	v_lshlrev_b32_e32 v3, 16, v3
	v_cvt_f64_f32_e32 v[4:5], v3
	s_branch .LBB71_1894
.LBB71_1886:
	s_mov_b64 s[18:19], 0
                                        ; implicit-def: $vgpr4_vgpr5
	s_cbranch_execnz .LBB71_1960
.LBB71_1887:
	s_andn2_b64 vcc, exec, s[18:19]
	s_cbranch_vccnz .LBB71_3113
	s_branch .LBB71_2008
.LBB71_1888:
	s_mov_b64 s[20:21], -1
	s_mov_b64 s[18:19], 0
	s_mov_b64 s[6:7], 0
                                        ; implicit-def: $vgpr4_vgpr5
	s_branch .LBB71_1923
.LBB71_1889:
	s_mov_b64 s[20:21], -1
	s_mov_b64 s[18:19], 0
	s_mov_b64 s[6:7], 0
                                        ; implicit-def: $vgpr4_vgpr5
	s_branch .LBB71_1904
.LBB71_1890:
	s_mov_b64 s[20:21], -1
	s_mov_b64 s[18:19], 0
	s_mov_b64 s[6:7], 0
                                        ; implicit-def: $vgpr4_vgpr5
	s_branch .LBB71_1899
.LBB71_1891:
	s_trap 2
	s_or_b64 s[4:5], s[4:5], exec
                                        ; implicit-def: $vgpr18_vgpr19
	s_cbranch_execz .LBB71_1830
	s_branch .LBB71_1831
.LBB71_1892:
	s_mov_b64 s[20:21], -1
	s_mov_b64 s[18:19], 0
	s_mov_b64 s[6:7], 0
                                        ; implicit-def: $vgpr4_vgpr5
	s_branch .LBB71_1894
.LBB71_1893:
	s_mov_b64 s[6:7], -1
                                        ; implicit-def: $vgpr4_vgpr5
	s_mov_b64 s[18:19], 0
.LBB71_1894:
	s_and_b64 vcc, exec, s[20:21]
	s_cbranch_vccz .LBB71_1898
; %bb.1895:
	v_mov_b32_e32 v3, 44
	v_cmp_eq_u16_sdwa s[6:7], s27, v3 src0_sel:BYTE_0 src1_sel:DWORD
	s_and_b64 vcc, exec, s[6:7]
	s_cbranch_vccz .LBB71_1897
; %bb.1896:
	global_load_ubyte v3, v[24:25], off
	s_movk_i32 s18, 0xff
	v_bfrev_b32_e32 v7, 4
	v_mov_b32_e32 v9, 0x7ff80000
	v_bfrev_b32_e32 v11, 28
	s_mov_b64 s[6:7], 0
	s_waitcnt vmcnt(0)
	v_lshlrev_b32_e32 v4, 23, v3
	v_cvt_f64_f32_e32 v[4:5], v4
	v_cmp_ne_u32_e32 vcc, s18, v3
	v_cndmask_b32_e32 v4, v7, v4, vcc
	v_cndmask_b32_e32 v5, v9, v5, vcc
	v_cmp_ne_u32_e32 vcc, 0, v3
	v_cndmask_b32_e32 v5, v11, v5, vcc
	v_cndmask_b32_e32 v4, 0, v4, vcc
	s_mov_b64 s[18:19], -1
	s_branch .LBB71_1898
.LBB71_1897:
	s_mov_b64 s[6:7], -1
                                        ; implicit-def: $vgpr4_vgpr5
.LBB71_1898:
	s_mov_b64 s[20:21], 0
.LBB71_1899:
	s_and_b64 vcc, exec, s[20:21]
	s_cbranch_vccz .LBB71_1903
; %bb.1900:
	v_mov_b32_e32 v3, 29
	v_cmp_eq_u16_sdwa s[6:7], s27, v3 src0_sel:BYTE_0 src1_sel:DWORD
	s_and_b64 vcc, exec, s[6:7]
	s_cbranch_vccz .LBB71_1902
; %bb.1901:
	global_load_dwordx2 v[4:5], v[24:25], off
	s_mov_b64 s[6:7], 0
	s_mov_b64 s[18:19], -1
	s_mov_b64 s[20:21], 0
	s_waitcnt vmcnt(0)
	v_cvt_f64_u32_e32 v[26:27], v5
	v_cvt_f64_u32_e32 v[4:5], v4
	v_ldexp_f64 v[26:27], v[26:27], 32
	v_add_f64 v[4:5], v[26:27], v[4:5]
	s_branch .LBB71_1904
.LBB71_1902:
	s_mov_b64 s[6:7], -1
                                        ; implicit-def: $vgpr4_vgpr5
.LBB71_1903:
	s_mov_b64 s[20:21], 0
.LBB71_1904:
	s_and_b64 vcc, exec, s[20:21]
	s_cbranch_vccz .LBB71_1922
; %bb.1905:
	v_mov_b32_e32 v3, 27
	v_cmp_lt_i16_sdwa s[18:19], s27, v3 src0_sel:BYTE_0 src1_sel:DWORD
	s_and_b64 vcc, exec, s[18:19]
	s_cbranch_vccnz .LBB71_1908
; %bb.1906:
	v_cmp_gt_i16_sdwa s[18:19], s27, v3 src0_sel:BYTE_0 src1_sel:DWORD
	s_and_b64 vcc, exec, s[18:19]
	s_cbranch_vccz .LBB71_1909
; %bb.1907:
	global_load_dword v3, v[24:25], off
	s_mov_b64 s[18:19], 0
	s_waitcnt vmcnt(0)
	v_cvt_f64_u32_e32 v[4:5], v3
	s_branch .LBB71_1910
.LBB71_1908:
	s_mov_b64 s[18:19], -1
                                        ; implicit-def: $vgpr4_vgpr5
	s_branch .LBB71_1913
.LBB71_1909:
	s_mov_b64 s[18:19], -1
                                        ; implicit-def: $vgpr4_vgpr5
.LBB71_1910:
	s_andn2_b64 vcc, exec, s[18:19]
	s_cbranch_vccnz .LBB71_1912
; %bb.1911:
	global_load_ushort v3, v[24:25], off
	s_waitcnt vmcnt(0)
	v_cvt_f64_u32_e32 v[4:5], v3
.LBB71_1912:
	s_mov_b64 s[18:19], 0
.LBB71_1913:
	s_andn2_b64 vcc, exec, s[18:19]
	s_cbranch_vccnz .LBB71_1921
; %bb.1914:
	global_load_ubyte v3, v[24:25], off
	s_movk_i32 s18, 0x7f
                                        ; implicit-def: $sgpr20_sgpr21
	s_waitcnt vmcnt(0)
	v_cmp_lt_i16_e32 vcc, s18, v3
	s_mov_b64 s[18:19], 0
	s_and_saveexec_b64 s[22:23], vcc
	s_xor_b64 s[22:23], exec, s[22:23]
	s_cbranch_execz .LBB71_1935
; %bb.1915:
	s_movk_i32 s18, 0x80
	v_cmp_eq_u16_e32 vcc, s18, v3
	s_mov_b64 s[24:25], -1
                                        ; implicit-def: $sgpr20_sgpr21
	s_and_saveexec_b64 s[18:19], vcc
; %bb.1916:
	s_mov_b32 s21, 0x7ff80000
	s_brev_b32 s20, 4
	s_xor_b64 s[24:25], exec, -1
; %bb.1917:
	s_or_b64 exec, exec, s[18:19]
	s_and_b64 s[18:19], s[24:25], exec
	s_or_saveexec_b64 s[22:23], s[22:23]
	v_pk_mov_b32 v[4:5], s[20:21], s[20:21] op_sel:[0,1]
	s_xor_b64 exec, exec, s[22:23]
	s_cbranch_execnz .LBB71_1936
.LBB71_1918:
	s_or_b64 exec, exec, s[22:23]
	s_and_saveexec_b64 s[20:21], s[18:19]
	s_cbranch_execz .LBB71_1920
.LBB71_1919:
	v_lshlrev_b32_e32 v4, 24, v3
	v_and_b32_e32 v3, 0xffff, v3
	v_and_b32_e32 v5, 7, v3
	v_ffbh_u32_e32 v9, v5
	v_min_u32_e32 v9, 32, v9
	v_subrev_u32_e32 v11, 28, v9
	v_bfe_u32 v7, v3, 3, 4
	v_lshlrev_b32_e32 v3, v11, v3
	v_sub_u32_e32 v9, 29, v9
	v_and_b32_e32 v3, 7, v3
	v_cmp_eq_u32_e32 vcc, 0, v7
	v_cndmask_b32_e32 v7, v7, v9, vcc
	v_cndmask_b32_e32 v3, v5, v3, vcc
	v_mov_b32_e32 v5, 0x3b800000
	v_lshlrev_b32_e32 v3, 20, v3
	v_and_b32_e32 v4, 0x80000000, v4
	v_lshl_add_u32 v5, v7, 23, v5
	v_or3_b32 v3, v4, v5, v3
	v_cvt_f64_f32_e32 v[4:5], v3
.LBB71_1920:
	s_or_b64 exec, exec, s[20:21]
.LBB71_1921:
	s_mov_b64 s[18:19], -1
.LBB71_1922:
	s_mov_b64 s[20:21], 0
.LBB71_1923:
	s_and_b64 vcc, exec, s[20:21]
	s_cbranch_vccz .LBB71_1956
; %bb.1924:
	v_mov_b32_e32 v3, 22
	v_cmp_gt_i16_sdwa s[16:17], s27, v3 src0_sel:BYTE_0 src1_sel:DWORD
	s_and_b64 vcc, exec, s[16:17]
	s_cbranch_vccz .LBB71_1934
; %bb.1925:
	v_mov_b32_e32 v3, 24
	v_cmp_lt_i16_sdwa s[16:17], s27, v3 src0_sel:BYTE_0 src1_sel:DWORD
	s_and_b64 vcc, exec, s[16:17]
	s_cbranch_vccnz .LBB71_1937
; %bb.1926:
	v_cmp_gt_i16_sdwa s[16:17], s27, v3 src0_sel:BYTE_0 src1_sel:DWORD
	s_and_b64 vcc, exec, s[16:17]
	s_cbranch_vccz .LBB71_1938
; %bb.1927:
	global_load_ubyte v3, v[24:25], off
	s_movk_i32 s16, 0x7f
                                        ; implicit-def: $sgpr18_sgpr19
	s_waitcnt vmcnt(0)
	v_cmp_lt_i16_e32 vcc, s16, v3
	s_mov_b64 s[16:17], 0
	s_and_saveexec_b64 s[20:21], vcc
	s_xor_b64 s[20:21], exec, s[20:21]
	s_cbranch_execz .LBB71_1950
; %bb.1928:
	s_movk_i32 s16, 0x80
	v_cmp_eq_u16_e32 vcc, s16, v3
	s_mov_b64 s[22:23], -1
                                        ; implicit-def: $sgpr18_sgpr19
	s_and_saveexec_b64 s[16:17], vcc
; %bb.1929:
	s_mov_b32 s19, 0x7ff80000
	s_brev_b32 s18, 4
	s_xor_b64 s[22:23], exec, -1
; %bb.1930:
	s_or_b64 exec, exec, s[16:17]
	s_and_b64 s[16:17], s[22:23], exec
	s_or_saveexec_b64 s[20:21], s[20:21]
	v_pk_mov_b32 v[4:5], s[18:19], s[18:19] op_sel:[0,1]
	s_xor_b64 exec, exec, s[20:21]
	s_cbranch_execnz .LBB71_1951
.LBB71_1931:
	s_or_b64 exec, exec, s[20:21]
	s_and_saveexec_b64 s[18:19], s[16:17]
	s_cbranch_execz .LBB71_1933
.LBB71_1932:
	v_lshlrev_b32_e32 v4, 24, v3
	v_and_b32_e32 v3, 0xffff, v3
	v_and_b32_e32 v5, 3, v3
	v_ffbh_u32_e32 v9, v5
	v_min_u32_e32 v9, 32, v9
	v_subrev_u32_e32 v11, 29, v9
	v_bfe_u32 v7, v3, 2, 5
	v_lshlrev_b32_e32 v3, v11, v3
	v_sub_u32_e32 v9, 30, v9
	v_and_b32_e32 v3, 3, v3
	v_cmp_eq_u32_e32 vcc, 0, v7
	v_cndmask_b32_e32 v7, v7, v9, vcc
	v_cndmask_b32_e32 v3, v5, v3, vcc
	v_mov_b32_e32 v5, 0x37800000
	v_lshlrev_b32_e32 v3, 21, v3
	v_and_b32_e32 v4, 0x80000000, v4
	v_lshl_add_u32 v5, v7, 23, v5
	v_or3_b32 v3, v4, v5, v3
	v_cvt_f64_f32_e32 v[4:5], v3
.LBB71_1933:
	s_or_b64 exec, exec, s[18:19]
	s_mov_b64 s[16:17], 0
	s_branch .LBB71_1939
.LBB71_1934:
	s_mov_b64 s[16:17], -1
                                        ; implicit-def: $vgpr4_vgpr5
	s_branch .LBB71_1945
.LBB71_1935:
	s_or_saveexec_b64 s[22:23], s[22:23]
	v_pk_mov_b32 v[4:5], s[20:21], s[20:21] op_sel:[0,1]
	s_xor_b64 exec, exec, s[22:23]
	s_cbranch_execz .LBB71_1918
.LBB71_1936:
	v_cmp_ne_u16_e32 vcc, 0, v3
	s_andn2_b64 s[18:19], s[18:19], exec
	s_and_b64 s[20:21], vcc, exec
	v_pk_mov_b32 v[4:5], 0, 0
	s_or_b64 s[18:19], s[18:19], s[20:21]
	s_or_b64 exec, exec, s[22:23]
	s_and_saveexec_b64 s[20:21], s[18:19]
	s_cbranch_execnz .LBB71_1919
	s_branch .LBB71_1920
.LBB71_1937:
	s_mov_b64 s[16:17], -1
                                        ; implicit-def: $vgpr4_vgpr5
	s_branch .LBB71_1942
.LBB71_1938:
	s_mov_b64 s[16:17], -1
                                        ; implicit-def: $vgpr4_vgpr5
.LBB71_1939:
	s_and_b64 vcc, exec, s[16:17]
	s_cbranch_vccz .LBB71_1941
; %bb.1940:
	global_load_ubyte v3, v[24:25], off
	s_mov_b32 s16, 0x7f800000
	s_waitcnt vmcnt(0)
	v_lshlrev_b32_e32 v3, 24, v3
	v_and_b32_e32 v4, 0x7f000000, v3
	v_ffbh_u32_e32 v5, v4
	v_min_u32_e32 v5, 32, v5
	v_sub_u32_e64 v5, v5, 4 clamp
	v_lshlrev_b32_e32 v9, v5, v4
	v_lshlrev_b32_e32 v5, 23, v5
	v_lshrrev_b32_e32 v9, 4, v9
	v_add_u32_e32 v7, 0x1000000, v4
	v_sub_u32_e32 v5, v9, v5
	v_ashrrev_i32_e32 v7, 8, v7
	v_add_u32_e32 v5, 0x3c000000, v5
	v_and_or_b32 v5, v7, s16, v5
	v_cmp_ne_u32_e32 vcc, 0, v4
	v_cndmask_b32_e32 v4, 0, v5, vcc
	s_brev_b32 s16, 1
	v_and_or_b32 v3, v3, s16, v4
	v_cvt_f64_f32_e32 v[4:5], v3
.LBB71_1941:
	s_mov_b64 s[16:17], 0
.LBB71_1942:
	s_andn2_b64 vcc, exec, s[16:17]
	s_cbranch_vccnz .LBB71_1944
; %bb.1943:
	global_load_ubyte v3, v[24:25], off
	s_movk_i32 s16, 0x7f00
	s_brev_b32 s17, 16
	s_waitcnt vmcnt(0)
	v_lshlrev_b16_e32 v4, 8, v3
	v_lshlrev_b32_e32 v3, 25, v3
	v_lshrrev_b32_e32 v5, 4, v3
	v_and_or_b32 v7, v4, s16, 0.5
	v_or_b32_e32 v5, 0x70000000, v5
	v_add_f32_e32 v7, -0.5, v7
	v_mul_f32_e32 v5, 0x7800000, v5
	v_cmp_gt_u32_e32 vcc, s17, v3
	v_bfe_i32 v4, v4, 0, 16
	v_cndmask_b32_e32 v3, v5, v7, vcc
	s_brev_b32 s16, 1
	v_and_or_b32 v3, v4, s16, v3
	v_cvt_f64_f32_e32 v[4:5], v3
.LBB71_1944:
	s_mov_b64 s[16:17], 0
	s_mov_b64 s[18:19], -1
.LBB71_1945:
	s_andn2_b64 vcc, exec, s[16:17]
	s_mov_b64 s[16:17], 0
	s_cbranch_vccnz .LBB71_1956
; %bb.1946:
	v_mov_b32_e32 v3, 14
	v_cmp_gt_i16_sdwa s[16:17], s27, v3 src0_sel:BYTE_0 src1_sel:DWORD
	s_and_b64 vcc, exec, s[16:17]
	s_cbranch_vccz .LBB71_1949
; %bb.1947:
	v_mov_b32_e32 v3, 15
	v_cmp_eq_u16_sdwa s[6:7], s27, v3 src0_sel:BYTE_0 src1_sel:DWORD
	s_and_b64 vcc, exec, s[6:7]
	s_cbranch_vccz .LBB71_1952
; %bb.1948:
	global_load_ushort v3, v[24:25], off
	s_mov_b64 s[6:7], 0
	s_mov_b64 s[18:19], -1
	s_waitcnt vmcnt(0)
	v_lshlrev_b32_e32 v3, 16, v3
	v_cvt_f64_f32_e32 v[4:5], v3
	s_branch .LBB71_1953
.LBB71_1949:
	s_mov_b64 s[20:21], -1
                                        ; implicit-def: $vgpr4_vgpr5
	s_branch .LBB71_1954
.LBB71_1950:
	s_or_saveexec_b64 s[20:21], s[20:21]
	v_pk_mov_b32 v[4:5], s[18:19], s[18:19] op_sel:[0,1]
	s_xor_b64 exec, exec, s[20:21]
	s_cbranch_execz .LBB71_1931
.LBB71_1951:
	v_cmp_ne_u16_e32 vcc, 0, v3
	s_andn2_b64 s[16:17], s[16:17], exec
	s_and_b64 s[18:19], vcc, exec
	v_pk_mov_b32 v[4:5], 0, 0
	s_or_b64 s[16:17], s[16:17], s[18:19]
	s_or_b64 exec, exec, s[20:21]
	s_and_saveexec_b64 s[18:19], s[16:17]
	s_cbranch_execnz .LBB71_1932
	s_branch .LBB71_1933
.LBB71_1952:
	s_mov_b64 s[6:7], -1
                                        ; implicit-def: $vgpr4_vgpr5
.LBB71_1953:
	s_mov_b64 s[20:21], 0
.LBB71_1954:
	s_mov_b64 s[16:17], 0
	s_and_b64 vcc, exec, s[20:21]
	s_cbranch_vccz .LBB71_1956
; %bb.1955:
	v_mov_b32_e32 v3, 11
	v_cmp_ne_u16_sdwa s[6:7], s27, v3 src0_sel:BYTE_0 src1_sel:DWORD
	s_mov_b64 s[16:17], -1
                                        ; implicit-def: $vgpr4_vgpr5
.LBB71_1956:
	s_and_b64 vcc, exec, s[6:7]
	s_cbranch_vccnz .LBB71_2019
; %bb.1957:
	s_andn2_b64 vcc, exec, s[16:17]
	s_cbranch_vccnz .LBB71_1959
.LBB71_1958:
	global_load_ubyte v3, v[24:25], off
	v_mov_b32_e32 v5, 0x3ff00000
	v_mov_b32_e32 v4, 0
	s_mov_b64 s[18:19], -1
	s_waitcnt vmcnt(0)
	v_cmp_ne_u16_e32 vcc, 0, v3
	v_cndmask_b32_e32 v5, 0, v5, vcc
.LBB71_1959:
	s_branch .LBB71_1887
.LBB71_1960:
	v_mov_b32_e32 v3, 5
	v_cmp_lt_i16_sdwa s[6:7], s27, v3 src0_sel:BYTE_0 src1_sel:DWORD
	s_and_b64 vcc, exec, s[6:7]
	s_cbranch_vccnz .LBB71_1965
; %bb.1961:
	v_mov_b32_e32 v3, 8
	v_cmp_lt_i16_sdwa s[6:7], s27, v3 src0_sel:BYTE_0 src1_sel:DWORD
	s_and_b64 vcc, exec, s[6:7]
	s_cbranch_vccnz .LBB71_1966
; %bb.1962:
	;; [unrolled: 5-line block ×3, first 2 shown]
	v_cmp_gt_i16_sdwa s[6:7], s27, v3 src0_sel:BYTE_0 src1_sel:DWORD
	s_and_b64 vcc, exec, s[6:7]
	s_cbranch_vccz .LBB71_1968
; %bb.1964:
	global_load_dwordx2 v[4:5], v[24:25], off
	s_mov_b64 s[6:7], 0
	s_branch .LBB71_1969
.LBB71_1965:
	s_mov_b64 s[6:7], -1
                                        ; implicit-def: $vgpr4_vgpr5
	s_branch .LBB71_1987
.LBB71_1966:
	s_mov_b64 s[6:7], -1
                                        ; implicit-def: $vgpr4_vgpr5
	s_branch .LBB71_1975
.LBB71_1967:
	s_mov_b64 s[6:7], -1
                                        ; implicit-def: $vgpr4_vgpr5
	s_branch .LBB71_1972
.LBB71_1968:
	s_mov_b64 s[6:7], -1
                                        ; implicit-def: $vgpr4_vgpr5
.LBB71_1969:
	s_andn2_b64 vcc, exec, s[6:7]
	s_cbranch_vccnz .LBB71_1971
; %bb.1970:
	global_load_dword v3, v[24:25], off
	s_waitcnt vmcnt(0)
	v_cvt_f64_f32_e32 v[4:5], v3
.LBB71_1971:
	s_mov_b64 s[6:7], 0
.LBB71_1972:
	s_andn2_b64 vcc, exec, s[6:7]
	s_cbranch_vccnz .LBB71_1974
; %bb.1973:
	global_load_dword v3, v[24:25], off
	s_waitcnt vmcnt(0)
	v_cvt_f32_f16_e32 v3, v3
	v_cvt_f64_f32_e32 v[4:5], v3
.LBB71_1974:
	s_mov_b64 s[6:7], 0
.LBB71_1975:
	s_andn2_b64 vcc, exec, s[6:7]
	s_cbranch_vccnz .LBB71_1986
; %bb.1976:
	v_mov_b32_e32 v3, 6
	v_cmp_lt_i16_sdwa s[6:7], s27, v3 src0_sel:BYTE_0 src1_sel:DWORD
	s_and_b64 vcc, exec, s[6:7]
	s_cbranch_vccnz .LBB71_1979
; %bb.1977:
	v_cmp_gt_i16_sdwa s[6:7], s27, v3 src0_sel:BYTE_0 src1_sel:DWORD
	s_and_b64 vcc, exec, s[6:7]
	s_cbranch_vccz .LBB71_1980
; %bb.1978:
	global_load_dwordx2 v[4:5], v[24:25], off
	s_mov_b64 s[6:7], 0
	s_branch .LBB71_1981
.LBB71_1979:
	s_mov_b64 s[6:7], -1
                                        ; implicit-def: $vgpr4_vgpr5
	s_branch .LBB71_1984
.LBB71_1980:
	s_mov_b64 s[6:7], -1
                                        ; implicit-def: $vgpr4_vgpr5
.LBB71_1981:
	s_andn2_b64 vcc, exec, s[6:7]
	s_cbranch_vccnz .LBB71_1983
; %bb.1982:
	global_load_dword v3, v[24:25], off
	s_waitcnt vmcnt(0)
	v_cvt_f64_f32_e32 v[4:5], v3
.LBB71_1983:
	s_mov_b64 s[6:7], 0
.LBB71_1984:
	s_andn2_b64 vcc, exec, s[6:7]
	s_cbranch_vccnz .LBB71_1986
; %bb.1985:
	global_load_ushort v3, v[24:25], off
	s_waitcnt vmcnt(0)
	v_cvt_f32_f16_e32 v3, v3
	v_cvt_f64_f32_e32 v[4:5], v3
.LBB71_1986:
	s_mov_b64 s[6:7], 0
.LBB71_1987:
	s_andn2_b64 vcc, exec, s[6:7]
	s_cbranch_vccnz .LBB71_2007
; %bb.1988:
	v_mov_b32_e32 v3, 2
	v_cmp_lt_i16_sdwa s[6:7], s27, v3 src0_sel:BYTE_0 src1_sel:DWORD
	s_and_b64 vcc, exec, s[6:7]
	s_cbranch_vccnz .LBB71_1992
; %bb.1989:
	v_mov_b32_e32 v3, 3
	v_cmp_lt_i16_sdwa s[6:7], s27, v3 src0_sel:BYTE_0 src1_sel:DWORD
	s_and_b64 vcc, exec, s[6:7]
	s_cbranch_vccnz .LBB71_1993
; %bb.1990:
	v_cmp_gt_i16_sdwa s[6:7], s27, v3 src0_sel:BYTE_0 src1_sel:DWORD
	s_and_b64 vcc, exec, s[6:7]
	s_cbranch_vccz .LBB71_1994
; %bb.1991:
	global_load_dwordx2 v[4:5], v[24:25], off
	s_mov_b64 s[6:7], 0
	s_waitcnt vmcnt(0)
	v_cvt_f64_i32_e32 v[26:27], v5
	v_cvt_f64_u32_e32 v[4:5], v4
	v_ldexp_f64 v[26:27], v[26:27], 32
	v_add_f64 v[4:5], v[26:27], v[4:5]
	s_branch .LBB71_1995
.LBB71_1992:
	s_mov_b64 s[6:7], -1
                                        ; implicit-def: $vgpr4_vgpr5
	s_branch .LBB71_2001
.LBB71_1993:
	s_mov_b64 s[6:7], -1
                                        ; implicit-def: $vgpr4_vgpr5
	s_branch .LBB71_1998
.LBB71_1994:
	s_mov_b64 s[6:7], -1
                                        ; implicit-def: $vgpr4_vgpr5
.LBB71_1995:
	s_andn2_b64 vcc, exec, s[6:7]
	s_cbranch_vccnz .LBB71_1997
; %bb.1996:
	global_load_dword v3, v[24:25], off
	s_waitcnt vmcnt(0)
	v_cvt_f64_i32_e32 v[4:5], v3
.LBB71_1997:
	s_mov_b64 s[6:7], 0
.LBB71_1998:
	s_andn2_b64 vcc, exec, s[6:7]
	s_cbranch_vccnz .LBB71_2000
; %bb.1999:
	global_load_sshort v3, v[24:25], off
	s_waitcnt vmcnt(0)
	v_cvt_f64_i32_e32 v[4:5], v3
.LBB71_2000:
	s_mov_b64 s[6:7], 0
.LBB71_2001:
	s_andn2_b64 vcc, exec, s[6:7]
	s_cbranch_vccnz .LBB71_2007
; %bb.2002:
	v_mov_b32_e32 v3, 0
	v_cmp_gt_i16_sdwa s[6:7], s27, v3 src0_sel:BYTE_0 src1_sel:DWORD
	s_and_b64 vcc, exec, s[6:7]
	s_cbranch_vccz .LBB71_2004
; %bb.2003:
	global_load_sbyte v3, v[24:25], off
	s_mov_b64 s[6:7], 0
	s_waitcnt vmcnt(0)
	v_cvt_f64_i32_e32 v[4:5], v3
	s_branch .LBB71_2005
.LBB71_2004:
	s_mov_b64 s[6:7], -1
                                        ; implicit-def: $vgpr4_vgpr5
.LBB71_2005:
	s_andn2_b64 vcc, exec, s[6:7]
	s_cbranch_vccnz .LBB71_2007
; %bb.2006:
	global_load_ubyte v3, v[24:25], off
	s_waitcnt vmcnt(0)
	v_cvt_f64_u32_e32 v[4:5], v3
.LBB71_2007:
.LBB71_2008:
	v_mov_b32_e32 v3, s1
	v_add_co_u32_e32 v24, vcc, s0, v20
	v_addc_co_u32_e32 v25, vcc, 0, v3, vcc
	s_and_b64 vcc, exec, s[2:3]
	s_cbranch_vccnz .LBB71_2015
; %bb.2009:
	v_cmp_gt_i16_e64 s[6:7], s28, 25
	s_mov_b64 s[16:17], 0
	s_and_b64 vcc, exec, s[6:7]
	s_cbranch_vccz .LBB71_2016
; %bb.2010:
	v_cmp_gt_i16_e64 s[6:7], s28, 28
	s_and_b64 vcc, exec, s[6:7]
	s_cbranch_vccz .LBB71_2017
; %bb.2011:
	v_cmp_gt_i16_e64 s[6:7], s28, 43
	;; [unrolled: 4-line block ×3, first 2 shown]
	s_and_b64 vcc, exec, s[6:7]
	s_cbranch_vccz .LBB71_2020
; %bb.2013:
	v_cmp_eq_u16_e64 s[6:7], s28, 46
	s_mov_b64 s[20:21], 0
	s_and_b64 vcc, exec, s[6:7]
	s_cbranch_vccz .LBB71_2021
; %bb.2014:
	global_load_dword v3, v[24:25], off
	s_mov_b64 s[6:7], 0
	s_mov_b64 s[18:19], -1
	s_waitcnt vmcnt(0)
	v_lshlrev_b32_e32 v3, 16, v3
	v_cvt_f64_f32_e32 v[20:21], v3
	s_branch .LBB71_2022
.LBB71_2015:
	s_mov_b64 s[6:7], -1
	s_mov_b64 s[18:19], 0
                                        ; implicit-def: $vgpr20_vgpr21
	s_branch .LBB71_2088
.LBB71_2016:
	s_mov_b64 s[20:21], -1
	s_mov_b64 s[18:19], 0
	s_mov_b64 s[6:7], 0
                                        ; implicit-def: $vgpr20_vgpr21
	s_branch .LBB71_2051
.LBB71_2017:
	s_mov_b64 s[20:21], -1
	s_mov_b64 s[18:19], 0
	s_mov_b64 s[6:7], 0
                                        ; implicit-def: $vgpr20_vgpr21
	s_branch .LBB71_2032
.LBB71_2018:
	s_mov_b64 s[20:21], -1
	s_mov_b64 s[18:19], 0
	s_mov_b64 s[6:7], 0
                                        ; implicit-def: $vgpr20_vgpr21
	s_branch .LBB71_2027
.LBB71_2019:
	s_trap 2
	s_or_b64 s[4:5], s[4:5], exec
                                        ; implicit-def: $vgpr4_vgpr5
	s_cbranch_execz .LBB71_1958
	s_branch .LBB71_1959
.LBB71_2020:
	s_mov_b64 s[20:21], -1
	s_mov_b64 s[18:19], 0
	s_mov_b64 s[6:7], 0
                                        ; implicit-def: $vgpr20_vgpr21
	s_branch .LBB71_2022
.LBB71_2021:
	s_mov_b64 s[6:7], -1
                                        ; implicit-def: $vgpr20_vgpr21
	s_mov_b64 s[18:19], 0
.LBB71_2022:
	s_and_b64 vcc, exec, s[20:21]
	s_cbranch_vccz .LBB71_2026
; %bb.2023:
	v_cmp_eq_u16_e64 s[6:7], s28, 44
	s_and_b64 vcc, exec, s[6:7]
	s_cbranch_vccz .LBB71_2025
; %bb.2024:
	global_load_ubyte v3, v[24:25], off
	s_movk_i32 s18, 0xff
	v_mov_b32_e32 v7, 0x7ff80000
	v_bfrev_b32_e32 v9, 28
	s_mov_b64 s[6:7], 0
	s_waitcnt vmcnt(0)
	v_lshlrev_b32_e32 v11, 23, v3
	v_cvt_f64_f32_e32 v[20:21], v11
	v_cmp_ne_u32_e32 vcc, s18, v3
	v_cndmask_b32_e32 v7, v7, v21, vcc
	v_cmp_ne_u32_e32 vcc, 0, v3
	v_cndmask_b32_e32 v21, v9, v7, vcc
	s_mov_b64 s[18:19], -1
	s_branch .LBB71_2026
.LBB71_2025:
	s_mov_b64 s[6:7], -1
                                        ; implicit-def: $vgpr20_vgpr21
.LBB71_2026:
	s_mov_b64 s[20:21], 0
.LBB71_2027:
	s_and_b64 vcc, exec, s[20:21]
	s_cbranch_vccz .LBB71_2031
; %bb.2028:
	v_cmp_eq_u16_e64 s[6:7], s28, 29
	s_and_b64 vcc, exec, s[6:7]
	s_cbranch_vccz .LBB71_2030
; %bb.2029:
	global_load_dwordx2 v[20:21], v[24:25], off
	s_mov_b64 s[6:7], 0
	s_mov_b64 s[18:19], -1
	s_mov_b64 s[20:21], 0
	s_waitcnt vmcnt(0)
	v_cvt_f64_u32_e32 v[26:27], v21
	v_cvt_f64_u32_e32 v[20:21], v20
	v_ldexp_f64 v[26:27], v[26:27], 32
	v_add_f64 v[20:21], v[26:27], v[20:21]
	s_branch .LBB71_2032
.LBB71_2030:
	s_mov_b64 s[6:7], -1
                                        ; implicit-def: $vgpr20_vgpr21
.LBB71_2031:
	s_mov_b64 s[20:21], 0
.LBB71_2032:
	s_and_b64 vcc, exec, s[20:21]
	s_cbranch_vccz .LBB71_2050
; %bb.2033:
	v_cmp_lt_i16_e64 s[18:19], s28, 27
	s_and_b64 vcc, exec, s[18:19]
	s_cbranch_vccnz .LBB71_2036
; %bb.2034:
	v_cmp_gt_i16_e64 s[18:19], s28, 27
	s_and_b64 vcc, exec, s[18:19]
	s_cbranch_vccz .LBB71_2037
; %bb.2035:
	global_load_dword v3, v[24:25], off
	s_mov_b64 s[18:19], 0
	s_waitcnt vmcnt(0)
	v_cvt_f64_u32_e32 v[20:21], v3
	s_branch .LBB71_2038
.LBB71_2036:
	s_mov_b64 s[18:19], -1
                                        ; implicit-def: $vgpr20_vgpr21
	s_branch .LBB71_2041
.LBB71_2037:
	s_mov_b64 s[18:19], -1
                                        ; implicit-def: $vgpr20_vgpr21
.LBB71_2038:
	s_andn2_b64 vcc, exec, s[18:19]
	s_cbranch_vccnz .LBB71_2040
; %bb.2039:
	global_load_ushort v3, v[24:25], off
	s_waitcnt vmcnt(0)
	v_cvt_f64_u32_e32 v[20:21], v3
.LBB71_2040:
	s_mov_b64 s[18:19], 0
.LBB71_2041:
	s_andn2_b64 vcc, exec, s[18:19]
	s_cbranch_vccnz .LBB71_2049
; %bb.2042:
	global_load_ubyte v3, v[24:25], off
	s_movk_i32 s18, 0x7f
                                        ; implicit-def: $sgpr20_sgpr21
	s_waitcnt vmcnt(0)
	v_cmp_lt_i16_e32 vcc, s18, v3
	s_mov_b64 s[18:19], 0
	s_and_saveexec_b64 s[22:23], vcc
	s_xor_b64 s[22:23], exec, s[22:23]
	s_cbranch_execz .LBB71_2063
; %bb.2043:
	s_movk_i32 s18, 0x80
	v_cmp_eq_u16_e32 vcc, s18, v3
	s_mov_b64 s[24:25], -1
                                        ; implicit-def: $sgpr20_sgpr21
	s_and_saveexec_b64 s[18:19], vcc
; %bb.2044:
	s_mov_b32 s21, 0x7ff80000
	s_brev_b32 s20, 4
	s_xor_b64 s[24:25], exec, -1
; %bb.2045:
	s_or_b64 exec, exec, s[18:19]
	s_and_b64 s[18:19], s[24:25], exec
	s_or_saveexec_b64 s[22:23], s[22:23]
	v_pk_mov_b32 v[20:21], s[20:21], s[20:21] op_sel:[0,1]
	s_xor_b64 exec, exec, s[22:23]
	s_cbranch_execnz .LBB71_2064
.LBB71_2046:
	s_or_b64 exec, exec, s[22:23]
	s_and_saveexec_b64 s[20:21], s[18:19]
	s_cbranch_execz .LBB71_2048
.LBB71_2047:
	v_lshlrev_b32_e32 v7, 24, v3
	v_and_b32_e32 v3, 0xffff, v3
	v_and_b32_e32 v9, 7, v3
	v_ffbh_u32_e32 v13, v9
	v_min_u32_e32 v13, 32, v13
	v_subrev_u32_e32 v15, 28, v13
	v_bfe_u32 v11, v3, 3, 4
	v_lshlrev_b32_e32 v3, v15, v3
	v_sub_u32_e32 v13, 29, v13
	v_and_b32_e32 v3, 7, v3
	v_cmp_eq_u32_e32 vcc, 0, v11
	v_cndmask_b32_e32 v11, v11, v13, vcc
	v_cndmask_b32_e32 v3, v9, v3, vcc
	v_mov_b32_e32 v9, 0x3b800000
	v_lshlrev_b32_e32 v3, 20, v3
	v_and_b32_e32 v7, 0x80000000, v7
	v_lshl_add_u32 v9, v11, 23, v9
	v_or3_b32 v3, v7, v9, v3
	v_cvt_f64_f32_e32 v[20:21], v3
.LBB71_2048:
	s_or_b64 exec, exec, s[20:21]
.LBB71_2049:
	s_mov_b64 s[18:19], -1
.LBB71_2050:
	s_mov_b64 s[20:21], 0
.LBB71_2051:
	s_and_b64 vcc, exec, s[20:21]
	s_cbranch_vccz .LBB71_2084
; %bb.2052:
	v_cmp_gt_i16_e64 s[16:17], s28, 22
	s_and_b64 vcc, exec, s[16:17]
	s_cbranch_vccz .LBB71_2062
; %bb.2053:
	v_cmp_lt_i16_e64 s[16:17], s28, 24
	s_and_b64 vcc, exec, s[16:17]
	s_cbranch_vccnz .LBB71_2065
; %bb.2054:
	v_cmp_gt_i16_e64 s[16:17], s28, 24
	s_and_b64 vcc, exec, s[16:17]
	s_cbranch_vccz .LBB71_2066
; %bb.2055:
	global_load_ubyte v3, v[24:25], off
	s_movk_i32 s16, 0x7f
                                        ; implicit-def: $sgpr18_sgpr19
	s_waitcnt vmcnt(0)
	v_cmp_lt_i16_e32 vcc, s16, v3
	s_mov_b64 s[16:17], 0
	s_and_saveexec_b64 s[20:21], vcc
	s_xor_b64 s[20:21], exec, s[20:21]
	s_cbranch_execz .LBB71_2078
; %bb.2056:
	s_movk_i32 s16, 0x80
	v_cmp_eq_u16_e32 vcc, s16, v3
	s_mov_b64 s[22:23], -1
                                        ; implicit-def: $sgpr18_sgpr19
	s_and_saveexec_b64 s[16:17], vcc
; %bb.2057:
	s_mov_b32 s19, 0x7ff80000
	s_brev_b32 s18, 4
	s_xor_b64 s[22:23], exec, -1
; %bb.2058:
	s_or_b64 exec, exec, s[16:17]
	s_and_b64 s[16:17], s[22:23], exec
	s_or_saveexec_b64 s[20:21], s[20:21]
	v_pk_mov_b32 v[20:21], s[18:19], s[18:19] op_sel:[0,1]
	s_xor_b64 exec, exec, s[20:21]
	s_cbranch_execnz .LBB71_2079
.LBB71_2059:
	s_or_b64 exec, exec, s[20:21]
	s_and_saveexec_b64 s[18:19], s[16:17]
	s_cbranch_execz .LBB71_2061
.LBB71_2060:
	v_lshlrev_b32_e32 v7, 24, v3
	v_and_b32_e32 v3, 0xffff, v3
	v_and_b32_e32 v9, 3, v3
	v_ffbh_u32_e32 v13, v9
	v_min_u32_e32 v13, 32, v13
	v_subrev_u32_e32 v15, 29, v13
	v_bfe_u32 v11, v3, 2, 5
	v_lshlrev_b32_e32 v3, v15, v3
	v_sub_u32_e32 v13, 30, v13
	v_and_b32_e32 v3, 3, v3
	v_cmp_eq_u32_e32 vcc, 0, v11
	v_cndmask_b32_e32 v11, v11, v13, vcc
	v_cndmask_b32_e32 v3, v9, v3, vcc
	v_mov_b32_e32 v9, 0x37800000
	v_lshlrev_b32_e32 v3, 21, v3
	v_and_b32_e32 v7, 0x80000000, v7
	v_lshl_add_u32 v9, v11, 23, v9
	v_or3_b32 v3, v7, v9, v3
	v_cvt_f64_f32_e32 v[20:21], v3
.LBB71_2061:
	s_or_b64 exec, exec, s[18:19]
	s_mov_b64 s[16:17], 0
	s_branch .LBB71_2067
.LBB71_2062:
	s_mov_b64 s[16:17], -1
                                        ; implicit-def: $vgpr20_vgpr21
	s_branch .LBB71_2073
.LBB71_2063:
	s_or_saveexec_b64 s[22:23], s[22:23]
	v_pk_mov_b32 v[20:21], s[20:21], s[20:21] op_sel:[0,1]
	s_xor_b64 exec, exec, s[22:23]
	s_cbranch_execz .LBB71_2046
.LBB71_2064:
	v_cmp_ne_u16_e32 vcc, 0, v3
	s_andn2_b64 s[18:19], s[18:19], exec
	s_and_b64 s[20:21], vcc, exec
	v_pk_mov_b32 v[20:21], 0, 0
	s_or_b64 s[18:19], s[18:19], s[20:21]
	s_or_b64 exec, exec, s[22:23]
	s_and_saveexec_b64 s[20:21], s[18:19]
	s_cbranch_execnz .LBB71_2047
	s_branch .LBB71_2048
.LBB71_2065:
	s_mov_b64 s[16:17], -1
                                        ; implicit-def: $vgpr20_vgpr21
	s_branch .LBB71_2070
.LBB71_2066:
	s_mov_b64 s[16:17], -1
                                        ; implicit-def: $vgpr20_vgpr21
.LBB71_2067:
	s_and_b64 vcc, exec, s[16:17]
	s_cbranch_vccz .LBB71_2069
; %bb.2068:
	global_load_ubyte v3, v[24:25], off
	s_mov_b32 s16, 0x7f800000
	s_waitcnt vmcnt(0)
	v_lshlrev_b32_e32 v3, 24, v3
	v_and_b32_e32 v7, 0x7f000000, v3
	v_ffbh_u32_e32 v9, v7
	v_min_u32_e32 v9, 32, v9
	v_sub_u32_e64 v9, v9, 4 clamp
	v_lshlrev_b32_e32 v13, v9, v7
	v_lshlrev_b32_e32 v9, 23, v9
	v_lshrrev_b32_e32 v13, 4, v13
	v_add_u32_e32 v11, 0x1000000, v7
	v_sub_u32_e32 v9, v13, v9
	v_ashrrev_i32_e32 v11, 8, v11
	v_add_u32_e32 v9, 0x3c000000, v9
	v_and_or_b32 v9, v11, s16, v9
	v_cmp_ne_u32_e32 vcc, 0, v7
	v_cndmask_b32_e32 v7, 0, v9, vcc
	s_brev_b32 s16, 1
	v_and_or_b32 v3, v3, s16, v7
	v_cvt_f64_f32_e32 v[20:21], v3
.LBB71_2069:
	s_mov_b64 s[16:17], 0
.LBB71_2070:
	s_andn2_b64 vcc, exec, s[16:17]
	s_cbranch_vccnz .LBB71_2072
; %bb.2071:
	global_load_ubyte v3, v[24:25], off
	s_movk_i32 s16, 0x7f00
	s_brev_b32 s17, 16
	s_waitcnt vmcnt(0)
	v_lshlrev_b16_e32 v7, 8, v3
	v_lshlrev_b32_e32 v3, 25, v3
	v_lshrrev_b32_e32 v9, 4, v3
	v_and_or_b32 v11, v7, s16, 0.5
	v_or_b32_e32 v9, 0x70000000, v9
	v_add_f32_e32 v11, -0.5, v11
	v_mul_f32_e32 v9, 0x7800000, v9
	v_cmp_gt_u32_e32 vcc, s17, v3
	v_bfe_i32 v7, v7, 0, 16
	v_cndmask_b32_e32 v3, v9, v11, vcc
	s_brev_b32 s16, 1
	v_and_or_b32 v3, v7, s16, v3
	v_cvt_f64_f32_e32 v[20:21], v3
.LBB71_2072:
	s_mov_b64 s[16:17], 0
	s_mov_b64 s[18:19], -1
.LBB71_2073:
	s_andn2_b64 vcc, exec, s[16:17]
	s_mov_b64 s[16:17], 0
	s_cbranch_vccnz .LBB71_2084
; %bb.2074:
	v_cmp_gt_i16_e64 s[16:17], s28, 14
	s_and_b64 vcc, exec, s[16:17]
	s_cbranch_vccz .LBB71_2077
; %bb.2075:
	v_cmp_eq_u16_e64 s[6:7], s28, 15
	s_and_b64 vcc, exec, s[6:7]
	s_cbranch_vccz .LBB71_2080
; %bb.2076:
	global_load_ushort v3, v[24:25], off
	s_mov_b64 s[6:7], 0
	s_mov_b64 s[18:19], -1
	s_waitcnt vmcnt(0)
	v_lshlrev_b32_e32 v3, 16, v3
	v_cvt_f64_f32_e32 v[20:21], v3
	s_branch .LBB71_2081
.LBB71_2077:
	s_mov_b64 s[20:21], -1
                                        ; implicit-def: $vgpr20_vgpr21
	s_branch .LBB71_2082
.LBB71_2078:
	s_or_saveexec_b64 s[20:21], s[20:21]
	v_pk_mov_b32 v[20:21], s[18:19], s[18:19] op_sel:[0,1]
	s_xor_b64 exec, exec, s[20:21]
	s_cbranch_execz .LBB71_2059
.LBB71_2079:
	v_cmp_ne_u16_e32 vcc, 0, v3
	s_andn2_b64 s[16:17], s[16:17], exec
	s_and_b64 s[18:19], vcc, exec
	v_pk_mov_b32 v[20:21], 0, 0
	s_or_b64 s[16:17], s[16:17], s[18:19]
	s_or_b64 exec, exec, s[20:21]
	s_and_saveexec_b64 s[18:19], s[16:17]
	s_cbranch_execnz .LBB71_2060
	s_branch .LBB71_2061
.LBB71_2080:
	s_mov_b64 s[6:7], -1
                                        ; implicit-def: $vgpr20_vgpr21
.LBB71_2081:
	s_mov_b64 s[20:21], 0
.LBB71_2082:
	s_mov_b64 s[16:17], 0
	s_and_b64 vcc, exec, s[20:21]
	s_cbranch_vccz .LBB71_2084
; %bb.2083:
	v_cmp_ne_u16_e64 s[6:7], s28, 11
	s_mov_b64 s[16:17], -1
                                        ; implicit-def: $vgpr20_vgpr21
.LBB71_2084:
	s_and_b64 vcc, exec, s[6:7]
	s_cbranch_vccnz .LBB71_2149
; %bb.2085:
	s_andn2_b64 vcc, exec, s[16:17]
	s_cbranch_vccnz .LBB71_2087
.LBB71_2086:
	global_load_ubyte v3, v[24:25], off
	v_mov_b32_e32 v7, 0x3ff00000
	s_mov_b64 s[18:19], -1
	s_waitcnt vmcnt(0)
	v_cmp_ne_u16_e32 vcc, 0, v3
	v_cndmask_b32_e32 v21, 0, v7, vcc
.LBB71_2087:
	s_mov_b64 s[6:7], 0
.LBB71_2088:
	s_and_b64 vcc, exec, s[6:7]
	s_cbranch_vccz .LBB71_2137
; %bb.2089:
	v_cmp_lt_i16_e64 s[6:7], s28, 5
	s_and_b64 vcc, exec, s[6:7]
	s_cbranch_vccnz .LBB71_2094
; %bb.2090:
	v_cmp_lt_i16_e64 s[6:7], s28, 8
	s_and_b64 vcc, exec, s[6:7]
	s_cbranch_vccnz .LBB71_2095
	;; [unrolled: 4-line block ×3, first 2 shown]
; %bb.2092:
	v_cmp_gt_i16_e64 s[6:7], s28, 9
	s_and_b64 vcc, exec, s[6:7]
	s_cbranch_vccz .LBB71_2097
; %bb.2093:
	global_load_dwordx2 v[20:21], v[24:25], off
	s_mov_b64 s[6:7], 0
	s_branch .LBB71_2098
.LBB71_2094:
	s_mov_b64 s[6:7], -1
                                        ; implicit-def: $vgpr20_vgpr21
	s_branch .LBB71_2116
.LBB71_2095:
	s_mov_b64 s[6:7], -1
                                        ; implicit-def: $vgpr20_vgpr21
	s_branch .LBB71_2104
.LBB71_2096:
	s_mov_b64 s[6:7], -1
                                        ; implicit-def: $vgpr20_vgpr21
	s_branch .LBB71_2101
.LBB71_2097:
	s_mov_b64 s[6:7], -1
                                        ; implicit-def: $vgpr20_vgpr21
.LBB71_2098:
	s_andn2_b64 vcc, exec, s[6:7]
	s_cbranch_vccnz .LBB71_2100
; %bb.2099:
	global_load_dword v3, v[24:25], off
	s_waitcnt vmcnt(0)
	v_cvt_f64_f32_e32 v[20:21], v3
.LBB71_2100:
	s_mov_b64 s[6:7], 0
.LBB71_2101:
	s_andn2_b64 vcc, exec, s[6:7]
	s_cbranch_vccnz .LBB71_2103
; %bb.2102:
	global_load_dword v3, v[24:25], off
	s_waitcnt vmcnt(0)
	v_cvt_f32_f16_e32 v3, v3
	v_cvt_f64_f32_e32 v[20:21], v3
.LBB71_2103:
	s_mov_b64 s[6:7], 0
.LBB71_2104:
	s_andn2_b64 vcc, exec, s[6:7]
	s_cbranch_vccnz .LBB71_2115
; %bb.2105:
	v_cmp_lt_i16_e64 s[6:7], s28, 6
	s_and_b64 vcc, exec, s[6:7]
	s_cbranch_vccnz .LBB71_2108
; %bb.2106:
	v_cmp_gt_i16_e64 s[6:7], s28, 6
	s_and_b64 vcc, exec, s[6:7]
	s_cbranch_vccz .LBB71_2109
; %bb.2107:
	global_load_dwordx2 v[20:21], v[24:25], off
	s_mov_b64 s[6:7], 0
	s_branch .LBB71_2110
.LBB71_2108:
	s_mov_b64 s[6:7], -1
                                        ; implicit-def: $vgpr20_vgpr21
	s_branch .LBB71_2113
.LBB71_2109:
	s_mov_b64 s[6:7], -1
                                        ; implicit-def: $vgpr20_vgpr21
.LBB71_2110:
	s_andn2_b64 vcc, exec, s[6:7]
	s_cbranch_vccnz .LBB71_2112
; %bb.2111:
	global_load_dword v3, v[24:25], off
	s_waitcnt vmcnt(0)
	v_cvt_f64_f32_e32 v[20:21], v3
.LBB71_2112:
	s_mov_b64 s[6:7], 0
.LBB71_2113:
	s_andn2_b64 vcc, exec, s[6:7]
	s_cbranch_vccnz .LBB71_2115
; %bb.2114:
	global_load_ushort v3, v[24:25], off
	s_waitcnt vmcnt(0)
	v_cvt_f32_f16_e32 v3, v3
	v_cvt_f64_f32_e32 v[20:21], v3
.LBB71_2115:
	s_mov_b64 s[6:7], 0
.LBB71_2116:
	s_andn2_b64 vcc, exec, s[6:7]
	s_cbranch_vccnz .LBB71_2136
; %bb.2117:
	v_cmp_lt_i16_e64 s[6:7], s28, 2
	s_and_b64 vcc, exec, s[6:7]
	s_cbranch_vccnz .LBB71_2121
; %bb.2118:
	v_cmp_lt_i16_e64 s[6:7], s28, 3
	s_and_b64 vcc, exec, s[6:7]
	s_cbranch_vccnz .LBB71_2122
; %bb.2119:
	v_cmp_gt_i16_e64 s[6:7], s28, 3
	s_and_b64 vcc, exec, s[6:7]
	s_cbranch_vccz .LBB71_2123
; %bb.2120:
	global_load_dwordx2 v[20:21], v[24:25], off
	s_mov_b64 s[6:7], 0
	s_waitcnt vmcnt(0)
	v_cvt_f64_i32_e32 v[26:27], v21
	v_cvt_f64_u32_e32 v[20:21], v20
	v_ldexp_f64 v[26:27], v[26:27], 32
	v_add_f64 v[20:21], v[26:27], v[20:21]
	s_branch .LBB71_2124
.LBB71_2121:
	s_mov_b64 s[6:7], -1
                                        ; implicit-def: $vgpr20_vgpr21
	s_branch .LBB71_2130
.LBB71_2122:
	s_mov_b64 s[6:7], -1
                                        ; implicit-def: $vgpr20_vgpr21
	s_branch .LBB71_2127
.LBB71_2123:
	s_mov_b64 s[6:7], -1
                                        ; implicit-def: $vgpr20_vgpr21
.LBB71_2124:
	s_andn2_b64 vcc, exec, s[6:7]
	s_cbranch_vccnz .LBB71_2126
; %bb.2125:
	global_load_dword v3, v[24:25], off
	s_waitcnt vmcnt(0)
	v_cvt_f64_i32_e32 v[20:21], v3
.LBB71_2126:
	s_mov_b64 s[6:7], 0
.LBB71_2127:
	s_andn2_b64 vcc, exec, s[6:7]
	s_cbranch_vccnz .LBB71_2129
; %bb.2128:
	global_load_sshort v3, v[24:25], off
	s_waitcnt vmcnt(0)
	v_cvt_f64_i32_e32 v[20:21], v3
.LBB71_2129:
	s_mov_b64 s[6:7], 0
.LBB71_2130:
	s_andn2_b64 vcc, exec, s[6:7]
	s_cbranch_vccnz .LBB71_2136
; %bb.2131:
	v_cmp_gt_i16_e64 s[6:7], s28, 0
	s_and_b64 vcc, exec, s[6:7]
	s_cbranch_vccz .LBB71_2133
; %bb.2132:
	global_load_sbyte v3, v[24:25], off
	s_mov_b64 s[6:7], 0
	s_waitcnt vmcnt(0)
	v_cvt_f64_i32_e32 v[20:21], v3
	s_branch .LBB71_2134
.LBB71_2133:
	s_mov_b64 s[6:7], -1
                                        ; implicit-def: $vgpr20_vgpr21
.LBB71_2134:
	s_andn2_b64 vcc, exec, s[6:7]
	s_cbranch_vccnz .LBB71_2136
; %bb.2135:
	global_load_ubyte v3, v[24:25], off
	s_waitcnt vmcnt(0)
	v_cvt_f64_u32_e32 v[20:21], v3
.LBB71_2136:
	s_mov_b64 s[18:19], -1
.LBB71_2137:
	s_andn2_b64 vcc, exec, s[18:19]
	s_cbranch_vccnz .LBB71_3113
; %bb.2138:
	v_mov_b32_e32 v3, s11
	v_add_co_u32_e32 v24, vcc, s10, v8
	v_addc_co_u32_e32 v25, vcc, 0, v3, vcc
	v_mov_b32_e32 v3, 11
	v_cmp_lt_i16_sdwa s[6:7], s27, v3 src0_sel:BYTE_0 src1_sel:DWORD
	s_and_b64 vcc, exec, s[6:7]
	s_cbranch_vccnz .LBB71_2145
; %bb.2139:
	v_mov_b32_e32 v3, 25
	v_cmp_gt_i16_sdwa s[6:7], s27, v3 src0_sel:BYTE_0 src1_sel:DWORD
	s_mov_b64 s[16:17], 0
	s_and_b64 vcc, exec, s[6:7]
	s_cbranch_vccz .LBB71_2146
; %bb.2140:
	v_mov_b32_e32 v3, 28
	v_cmp_gt_i16_sdwa s[6:7], s27, v3 src0_sel:BYTE_0 src1_sel:DWORD
	s_and_b64 vcc, exec, s[6:7]
	s_cbranch_vccz .LBB71_2147
; %bb.2141:
	v_mov_b32_e32 v3, 43
	v_cmp_gt_i16_sdwa s[6:7], s27, v3 src0_sel:BYTE_0 src1_sel:DWORD
	;; [unrolled: 5-line block ×3, first 2 shown]
	s_and_b64 vcc, exec, s[6:7]
	s_cbranch_vccz .LBB71_2150
; %bb.2143:
	v_mov_b32_e32 v3, 46
	v_cmp_eq_u16_sdwa s[6:7], s27, v3 src0_sel:BYTE_0 src1_sel:DWORD
	s_mov_b64 s[20:21], 0
	s_and_b64 vcc, exec, s[6:7]
	s_cbranch_vccz .LBB71_2151
; %bb.2144:
	global_load_dword v3, v[24:25], off
	s_mov_b64 s[6:7], 0
	s_mov_b64 s[18:19], -1
	s_waitcnt vmcnt(0)
	v_lshlrev_b32_e32 v3, 16, v3
	v_cvt_f64_f32_e32 v[8:9], v3
	s_branch .LBB71_2152
.LBB71_2145:
	s_mov_b64 s[6:7], -1
	s_mov_b64 s[18:19], 0
                                        ; implicit-def: $vgpr8_vgpr9
	s_branch .LBB71_2218
.LBB71_2146:
	s_mov_b64 s[20:21], -1
	s_mov_b64 s[18:19], 0
	s_mov_b64 s[6:7], 0
                                        ; implicit-def: $vgpr8_vgpr9
	s_branch .LBB71_2181
.LBB71_2147:
	s_mov_b64 s[20:21], -1
	s_mov_b64 s[18:19], 0
	s_mov_b64 s[6:7], 0
                                        ; implicit-def: $vgpr8_vgpr9
	s_branch .LBB71_2162
.LBB71_2148:
	s_mov_b64 s[20:21], -1
	s_mov_b64 s[18:19], 0
	s_mov_b64 s[6:7], 0
                                        ; implicit-def: $vgpr8_vgpr9
	s_branch .LBB71_2157
.LBB71_2149:
	s_trap 2
	s_or_b64 s[4:5], s[4:5], exec
                                        ; implicit-def: $vgpr20_vgpr21
	s_cbranch_execz .LBB71_2086
	s_branch .LBB71_2087
.LBB71_2150:
	s_mov_b64 s[20:21], -1
	s_mov_b64 s[18:19], 0
	s_mov_b64 s[6:7], 0
                                        ; implicit-def: $vgpr8_vgpr9
	s_branch .LBB71_2152
.LBB71_2151:
	s_mov_b64 s[6:7], -1
                                        ; implicit-def: $vgpr8_vgpr9
	s_mov_b64 s[18:19], 0
.LBB71_2152:
	s_and_b64 vcc, exec, s[20:21]
	s_cbranch_vccz .LBB71_2156
; %bb.2153:
	v_mov_b32_e32 v3, 44
	v_cmp_eq_u16_sdwa s[6:7], s27, v3 src0_sel:BYTE_0 src1_sel:DWORD
	s_and_b64 vcc, exec, s[6:7]
	s_cbranch_vccz .LBB71_2155
; %bb.2154:
	global_load_ubyte v3, v[24:25], off
	s_movk_i32 s18, 0xff
	v_bfrev_b32_e32 v7, 4
	v_mov_b32_e32 v11, 0x7ff80000
	v_bfrev_b32_e32 v13, 28
	s_mov_b64 s[6:7], 0
	s_waitcnt vmcnt(0)
	v_lshlrev_b32_e32 v8, 23, v3
	v_cvt_f64_f32_e32 v[8:9], v8
	v_cmp_ne_u32_e32 vcc, s18, v3
	v_cndmask_b32_e32 v7, v7, v8, vcc
	v_cndmask_b32_e32 v8, v11, v9, vcc
	v_cmp_ne_u32_e32 vcc, 0, v3
	v_cndmask_b32_e32 v9, v13, v8, vcc
	v_cndmask_b32_e32 v8, 0, v7, vcc
	s_mov_b64 s[18:19], -1
	s_branch .LBB71_2156
.LBB71_2155:
	s_mov_b64 s[6:7], -1
                                        ; implicit-def: $vgpr8_vgpr9
.LBB71_2156:
	s_mov_b64 s[20:21], 0
.LBB71_2157:
	s_and_b64 vcc, exec, s[20:21]
	s_cbranch_vccz .LBB71_2161
; %bb.2158:
	v_mov_b32_e32 v3, 29
	v_cmp_eq_u16_sdwa s[6:7], s27, v3 src0_sel:BYTE_0 src1_sel:DWORD
	s_and_b64 vcc, exec, s[6:7]
	s_cbranch_vccz .LBB71_2160
; %bb.2159:
	global_load_dwordx2 v[8:9], v[24:25], off
	s_mov_b64 s[6:7], 0
	s_mov_b64 s[18:19], -1
	s_mov_b64 s[20:21], 0
	s_waitcnt vmcnt(0)
	v_cvt_f64_u32_e32 v[26:27], v9
	v_cvt_f64_u32_e32 v[8:9], v8
	v_ldexp_f64 v[26:27], v[26:27], 32
	v_add_f64 v[8:9], v[26:27], v[8:9]
	s_branch .LBB71_2162
.LBB71_2160:
	s_mov_b64 s[6:7], -1
                                        ; implicit-def: $vgpr8_vgpr9
.LBB71_2161:
	s_mov_b64 s[20:21], 0
.LBB71_2162:
	s_and_b64 vcc, exec, s[20:21]
	s_cbranch_vccz .LBB71_2180
; %bb.2163:
	v_mov_b32_e32 v3, 27
	v_cmp_lt_i16_sdwa s[18:19], s27, v3 src0_sel:BYTE_0 src1_sel:DWORD
	s_and_b64 vcc, exec, s[18:19]
	s_cbranch_vccnz .LBB71_2166
; %bb.2164:
	v_cmp_gt_i16_sdwa s[18:19], s27, v3 src0_sel:BYTE_0 src1_sel:DWORD
	s_and_b64 vcc, exec, s[18:19]
	s_cbranch_vccz .LBB71_2167
; %bb.2165:
	global_load_dword v3, v[24:25], off
	s_mov_b64 s[18:19], 0
	s_waitcnt vmcnt(0)
	v_cvt_f64_u32_e32 v[8:9], v3
	s_branch .LBB71_2168
.LBB71_2166:
	s_mov_b64 s[18:19], -1
                                        ; implicit-def: $vgpr8_vgpr9
	s_branch .LBB71_2171
.LBB71_2167:
	s_mov_b64 s[18:19], -1
                                        ; implicit-def: $vgpr8_vgpr9
.LBB71_2168:
	s_andn2_b64 vcc, exec, s[18:19]
	s_cbranch_vccnz .LBB71_2170
; %bb.2169:
	global_load_ushort v3, v[24:25], off
	s_waitcnt vmcnt(0)
	v_cvt_f64_u32_e32 v[8:9], v3
.LBB71_2170:
	s_mov_b64 s[18:19], 0
.LBB71_2171:
	s_andn2_b64 vcc, exec, s[18:19]
	s_cbranch_vccnz .LBB71_2179
; %bb.2172:
	global_load_ubyte v3, v[24:25], off
	s_movk_i32 s18, 0x7f
                                        ; implicit-def: $sgpr20_sgpr21
	s_waitcnt vmcnt(0)
	v_cmp_lt_i16_e32 vcc, s18, v3
	s_mov_b64 s[18:19], 0
	s_and_saveexec_b64 s[22:23], vcc
	s_xor_b64 s[22:23], exec, s[22:23]
	s_cbranch_execz .LBB71_2193
; %bb.2173:
	s_movk_i32 s18, 0x80
	v_cmp_eq_u16_e32 vcc, s18, v3
	s_mov_b64 s[24:25], -1
                                        ; implicit-def: $sgpr20_sgpr21
	s_and_saveexec_b64 s[18:19], vcc
; %bb.2174:
	s_mov_b32 s21, 0x7ff80000
	s_brev_b32 s20, 4
	s_xor_b64 s[24:25], exec, -1
; %bb.2175:
	s_or_b64 exec, exec, s[18:19]
	s_and_b64 s[18:19], s[24:25], exec
	s_or_saveexec_b64 s[22:23], s[22:23]
	v_pk_mov_b32 v[8:9], s[20:21], s[20:21] op_sel:[0,1]
	s_xor_b64 exec, exec, s[22:23]
	s_cbranch_execnz .LBB71_2194
.LBB71_2176:
	s_or_b64 exec, exec, s[22:23]
	s_and_saveexec_b64 s[20:21], s[18:19]
	s_cbranch_execz .LBB71_2178
.LBB71_2177:
	v_lshlrev_b32_e32 v7, 24, v3
	v_and_b32_e32 v3, 0xffff, v3
	v_and_b32_e32 v8, 7, v3
	v_ffbh_u32_e32 v11, v8
	v_min_u32_e32 v11, 32, v11
	v_subrev_u32_e32 v13, 28, v11
	v_bfe_u32 v9, v3, 3, 4
	v_lshlrev_b32_e32 v3, v13, v3
	v_sub_u32_e32 v11, 29, v11
	v_and_b32_e32 v3, 7, v3
	v_cmp_eq_u32_e32 vcc, 0, v9
	v_cndmask_b32_e32 v9, v9, v11, vcc
	v_cndmask_b32_e32 v3, v8, v3, vcc
	v_mov_b32_e32 v8, 0x3b800000
	v_lshlrev_b32_e32 v3, 20, v3
	v_and_b32_e32 v7, 0x80000000, v7
	v_lshl_add_u32 v8, v9, 23, v8
	v_or3_b32 v3, v7, v8, v3
	v_cvt_f64_f32_e32 v[8:9], v3
.LBB71_2178:
	s_or_b64 exec, exec, s[20:21]
.LBB71_2179:
	s_mov_b64 s[18:19], -1
.LBB71_2180:
	s_mov_b64 s[20:21], 0
.LBB71_2181:
	s_and_b64 vcc, exec, s[20:21]
	s_cbranch_vccz .LBB71_2214
; %bb.2182:
	v_mov_b32_e32 v3, 22
	v_cmp_gt_i16_sdwa s[16:17], s27, v3 src0_sel:BYTE_0 src1_sel:DWORD
	s_and_b64 vcc, exec, s[16:17]
	s_cbranch_vccz .LBB71_2192
; %bb.2183:
	v_mov_b32_e32 v3, 24
	v_cmp_lt_i16_sdwa s[16:17], s27, v3 src0_sel:BYTE_0 src1_sel:DWORD
	s_and_b64 vcc, exec, s[16:17]
	s_cbranch_vccnz .LBB71_2195
; %bb.2184:
	v_cmp_gt_i16_sdwa s[16:17], s27, v3 src0_sel:BYTE_0 src1_sel:DWORD
	s_and_b64 vcc, exec, s[16:17]
	s_cbranch_vccz .LBB71_2196
; %bb.2185:
	global_load_ubyte v3, v[24:25], off
	s_movk_i32 s16, 0x7f
                                        ; implicit-def: $sgpr18_sgpr19
	s_waitcnt vmcnt(0)
	v_cmp_lt_i16_e32 vcc, s16, v3
	s_mov_b64 s[16:17], 0
	s_and_saveexec_b64 s[20:21], vcc
	s_xor_b64 s[20:21], exec, s[20:21]
	s_cbranch_execz .LBB71_2208
; %bb.2186:
	s_movk_i32 s16, 0x80
	v_cmp_eq_u16_e32 vcc, s16, v3
	s_mov_b64 s[22:23], -1
                                        ; implicit-def: $sgpr18_sgpr19
	s_and_saveexec_b64 s[16:17], vcc
; %bb.2187:
	s_mov_b32 s19, 0x7ff80000
	s_brev_b32 s18, 4
	s_xor_b64 s[22:23], exec, -1
; %bb.2188:
	s_or_b64 exec, exec, s[16:17]
	s_and_b64 s[16:17], s[22:23], exec
	s_or_saveexec_b64 s[20:21], s[20:21]
	v_pk_mov_b32 v[8:9], s[18:19], s[18:19] op_sel:[0,1]
	s_xor_b64 exec, exec, s[20:21]
	s_cbranch_execnz .LBB71_2209
.LBB71_2189:
	s_or_b64 exec, exec, s[20:21]
	s_and_saveexec_b64 s[18:19], s[16:17]
	s_cbranch_execz .LBB71_2191
.LBB71_2190:
	v_lshlrev_b32_e32 v7, 24, v3
	v_and_b32_e32 v3, 0xffff, v3
	v_and_b32_e32 v8, 3, v3
	v_ffbh_u32_e32 v11, v8
	v_min_u32_e32 v11, 32, v11
	v_subrev_u32_e32 v13, 29, v11
	v_bfe_u32 v9, v3, 2, 5
	v_lshlrev_b32_e32 v3, v13, v3
	v_sub_u32_e32 v11, 30, v11
	v_and_b32_e32 v3, 3, v3
	v_cmp_eq_u32_e32 vcc, 0, v9
	v_cndmask_b32_e32 v9, v9, v11, vcc
	v_cndmask_b32_e32 v3, v8, v3, vcc
	v_mov_b32_e32 v8, 0x37800000
	v_lshlrev_b32_e32 v3, 21, v3
	v_and_b32_e32 v7, 0x80000000, v7
	v_lshl_add_u32 v8, v9, 23, v8
	v_or3_b32 v3, v7, v8, v3
	v_cvt_f64_f32_e32 v[8:9], v3
.LBB71_2191:
	s_or_b64 exec, exec, s[18:19]
	s_mov_b64 s[16:17], 0
	s_branch .LBB71_2197
.LBB71_2192:
	s_mov_b64 s[16:17], -1
                                        ; implicit-def: $vgpr8_vgpr9
	s_branch .LBB71_2203
.LBB71_2193:
	s_or_saveexec_b64 s[22:23], s[22:23]
	v_pk_mov_b32 v[8:9], s[20:21], s[20:21] op_sel:[0,1]
	s_xor_b64 exec, exec, s[22:23]
	s_cbranch_execz .LBB71_2176
.LBB71_2194:
	v_cmp_ne_u16_e32 vcc, 0, v3
	s_andn2_b64 s[18:19], s[18:19], exec
	s_and_b64 s[20:21], vcc, exec
	v_pk_mov_b32 v[8:9], 0, 0
	s_or_b64 s[18:19], s[18:19], s[20:21]
	s_or_b64 exec, exec, s[22:23]
	s_and_saveexec_b64 s[20:21], s[18:19]
	s_cbranch_execnz .LBB71_2177
	s_branch .LBB71_2178
.LBB71_2195:
	s_mov_b64 s[16:17], -1
                                        ; implicit-def: $vgpr8_vgpr9
	s_branch .LBB71_2200
.LBB71_2196:
	s_mov_b64 s[16:17], -1
                                        ; implicit-def: $vgpr8_vgpr9
.LBB71_2197:
	s_and_b64 vcc, exec, s[16:17]
	s_cbranch_vccz .LBB71_2199
; %bb.2198:
	global_load_ubyte v3, v[24:25], off
	s_mov_b32 s16, 0x7f800000
	s_waitcnt vmcnt(0)
	v_lshlrev_b32_e32 v3, 24, v3
	v_and_b32_e32 v7, 0x7f000000, v3
	v_ffbh_u32_e32 v8, v7
	v_min_u32_e32 v8, 32, v8
	v_sub_u32_e64 v8, v8, 4 clamp
	v_lshlrev_b32_e32 v11, v8, v7
	v_lshlrev_b32_e32 v8, 23, v8
	v_lshrrev_b32_e32 v11, 4, v11
	v_add_u32_e32 v9, 0x1000000, v7
	v_sub_u32_e32 v8, v11, v8
	v_ashrrev_i32_e32 v9, 8, v9
	v_add_u32_e32 v8, 0x3c000000, v8
	v_and_or_b32 v8, v9, s16, v8
	v_cmp_ne_u32_e32 vcc, 0, v7
	v_cndmask_b32_e32 v7, 0, v8, vcc
	s_brev_b32 s16, 1
	v_and_or_b32 v3, v3, s16, v7
	v_cvt_f64_f32_e32 v[8:9], v3
.LBB71_2199:
	s_mov_b64 s[16:17], 0
.LBB71_2200:
	s_andn2_b64 vcc, exec, s[16:17]
	s_cbranch_vccnz .LBB71_2202
; %bb.2201:
	global_load_ubyte v3, v[24:25], off
	s_movk_i32 s16, 0x7f00
	s_brev_b32 s17, 16
	s_waitcnt vmcnt(0)
	v_lshlrev_b16_e32 v7, 8, v3
	v_lshlrev_b32_e32 v3, 25, v3
	v_lshrrev_b32_e32 v8, 4, v3
	v_and_or_b32 v9, v7, s16, 0.5
	v_or_b32_e32 v8, 0x70000000, v8
	v_add_f32_e32 v9, -0.5, v9
	v_mul_f32_e32 v8, 0x7800000, v8
	v_cmp_gt_u32_e32 vcc, s17, v3
	v_bfe_i32 v7, v7, 0, 16
	v_cndmask_b32_e32 v3, v8, v9, vcc
	s_brev_b32 s16, 1
	v_and_or_b32 v3, v7, s16, v3
	v_cvt_f64_f32_e32 v[8:9], v3
.LBB71_2202:
	s_mov_b64 s[16:17], 0
	s_mov_b64 s[18:19], -1
.LBB71_2203:
	s_andn2_b64 vcc, exec, s[16:17]
	s_mov_b64 s[16:17], 0
	s_cbranch_vccnz .LBB71_2214
; %bb.2204:
	v_mov_b32_e32 v3, 14
	v_cmp_gt_i16_sdwa s[16:17], s27, v3 src0_sel:BYTE_0 src1_sel:DWORD
	s_and_b64 vcc, exec, s[16:17]
	s_cbranch_vccz .LBB71_2207
; %bb.2205:
	v_mov_b32_e32 v3, 15
	v_cmp_eq_u16_sdwa s[6:7], s27, v3 src0_sel:BYTE_0 src1_sel:DWORD
	s_and_b64 vcc, exec, s[6:7]
	s_cbranch_vccz .LBB71_2210
; %bb.2206:
	global_load_ushort v3, v[24:25], off
	s_mov_b64 s[6:7], 0
	s_mov_b64 s[18:19], -1
	s_waitcnt vmcnt(0)
	v_lshlrev_b32_e32 v3, 16, v3
	v_cvt_f64_f32_e32 v[8:9], v3
	s_branch .LBB71_2211
.LBB71_2207:
	s_mov_b64 s[20:21], -1
                                        ; implicit-def: $vgpr8_vgpr9
	s_branch .LBB71_2212
.LBB71_2208:
	s_or_saveexec_b64 s[20:21], s[20:21]
	v_pk_mov_b32 v[8:9], s[18:19], s[18:19] op_sel:[0,1]
	s_xor_b64 exec, exec, s[20:21]
	s_cbranch_execz .LBB71_2189
.LBB71_2209:
	v_cmp_ne_u16_e32 vcc, 0, v3
	s_andn2_b64 s[16:17], s[16:17], exec
	s_and_b64 s[18:19], vcc, exec
	v_pk_mov_b32 v[8:9], 0, 0
	s_or_b64 s[16:17], s[16:17], s[18:19]
	s_or_b64 exec, exec, s[20:21]
	s_and_saveexec_b64 s[18:19], s[16:17]
	s_cbranch_execnz .LBB71_2190
	s_branch .LBB71_2191
.LBB71_2210:
	s_mov_b64 s[6:7], -1
                                        ; implicit-def: $vgpr8_vgpr9
.LBB71_2211:
	s_mov_b64 s[20:21], 0
.LBB71_2212:
	s_mov_b64 s[16:17], 0
	s_and_b64 vcc, exec, s[20:21]
	s_cbranch_vccz .LBB71_2214
; %bb.2213:
	v_mov_b32_e32 v3, 11
	v_cmp_ne_u16_sdwa s[6:7], s27, v3 src0_sel:BYTE_0 src1_sel:DWORD
	s_mov_b64 s[16:17], -1
                                        ; implicit-def: $vgpr8_vgpr9
.LBB71_2214:
	s_and_b64 vcc, exec, s[6:7]
	s_cbranch_vccnz .LBB71_2279
; %bb.2215:
	s_andn2_b64 vcc, exec, s[16:17]
	s_cbranch_vccnz .LBB71_2217
.LBB71_2216:
	global_load_ubyte v3, v[24:25], off
	v_mov_b32_e32 v7, 0x3ff00000
	v_mov_b32_e32 v8, 0
	s_mov_b64 s[18:19], -1
	s_waitcnt vmcnt(0)
	v_cmp_ne_u16_e32 vcc, 0, v3
	v_cndmask_b32_e32 v9, 0, v7, vcc
.LBB71_2217:
	s_mov_b64 s[6:7], 0
.LBB71_2218:
	s_and_b64 vcc, exec, s[6:7]
	s_cbranch_vccz .LBB71_2267
; %bb.2219:
	v_mov_b32_e32 v3, 5
	v_cmp_lt_i16_sdwa s[6:7], s27, v3 src0_sel:BYTE_0 src1_sel:DWORD
	s_and_b64 vcc, exec, s[6:7]
	s_cbranch_vccnz .LBB71_2224
; %bb.2220:
	v_mov_b32_e32 v3, 8
	v_cmp_lt_i16_sdwa s[6:7], s27, v3 src0_sel:BYTE_0 src1_sel:DWORD
	s_and_b64 vcc, exec, s[6:7]
	s_cbranch_vccnz .LBB71_2225
	;; [unrolled: 5-line block ×3, first 2 shown]
; %bb.2222:
	v_cmp_gt_i16_sdwa s[6:7], s27, v3 src0_sel:BYTE_0 src1_sel:DWORD
	s_and_b64 vcc, exec, s[6:7]
	s_cbranch_vccz .LBB71_2227
; %bb.2223:
	global_load_dwordx2 v[8:9], v[24:25], off
	s_mov_b64 s[6:7], 0
	s_branch .LBB71_2228
.LBB71_2224:
	s_mov_b64 s[6:7], -1
                                        ; implicit-def: $vgpr8_vgpr9
	s_branch .LBB71_2246
.LBB71_2225:
	s_mov_b64 s[6:7], -1
                                        ; implicit-def: $vgpr8_vgpr9
	s_branch .LBB71_2234
.LBB71_2226:
	s_mov_b64 s[6:7], -1
                                        ; implicit-def: $vgpr8_vgpr9
	s_branch .LBB71_2231
.LBB71_2227:
	s_mov_b64 s[6:7], -1
                                        ; implicit-def: $vgpr8_vgpr9
.LBB71_2228:
	s_andn2_b64 vcc, exec, s[6:7]
	s_cbranch_vccnz .LBB71_2230
; %bb.2229:
	global_load_dword v3, v[24:25], off
	s_waitcnt vmcnt(0)
	v_cvt_f64_f32_e32 v[8:9], v3
.LBB71_2230:
	s_mov_b64 s[6:7], 0
.LBB71_2231:
	s_andn2_b64 vcc, exec, s[6:7]
	s_cbranch_vccnz .LBB71_2233
; %bb.2232:
	global_load_dword v3, v[24:25], off
	s_waitcnt vmcnt(0)
	v_cvt_f32_f16_e32 v3, v3
	v_cvt_f64_f32_e32 v[8:9], v3
.LBB71_2233:
	s_mov_b64 s[6:7], 0
.LBB71_2234:
	s_andn2_b64 vcc, exec, s[6:7]
	s_cbranch_vccnz .LBB71_2245
; %bb.2235:
	v_mov_b32_e32 v3, 6
	v_cmp_lt_i16_sdwa s[6:7], s27, v3 src0_sel:BYTE_0 src1_sel:DWORD
	s_and_b64 vcc, exec, s[6:7]
	s_cbranch_vccnz .LBB71_2238
; %bb.2236:
	v_cmp_gt_i16_sdwa s[6:7], s27, v3 src0_sel:BYTE_0 src1_sel:DWORD
	s_and_b64 vcc, exec, s[6:7]
	s_cbranch_vccz .LBB71_2239
; %bb.2237:
	global_load_dwordx2 v[8:9], v[24:25], off
	s_mov_b64 s[6:7], 0
	s_branch .LBB71_2240
.LBB71_2238:
	s_mov_b64 s[6:7], -1
                                        ; implicit-def: $vgpr8_vgpr9
	s_branch .LBB71_2243
.LBB71_2239:
	s_mov_b64 s[6:7], -1
                                        ; implicit-def: $vgpr8_vgpr9
.LBB71_2240:
	s_andn2_b64 vcc, exec, s[6:7]
	s_cbranch_vccnz .LBB71_2242
; %bb.2241:
	global_load_dword v3, v[24:25], off
	s_waitcnt vmcnt(0)
	v_cvt_f64_f32_e32 v[8:9], v3
.LBB71_2242:
	s_mov_b64 s[6:7], 0
.LBB71_2243:
	s_andn2_b64 vcc, exec, s[6:7]
	s_cbranch_vccnz .LBB71_2245
; %bb.2244:
	global_load_ushort v3, v[24:25], off
	s_waitcnt vmcnt(0)
	v_cvt_f32_f16_e32 v3, v3
	v_cvt_f64_f32_e32 v[8:9], v3
.LBB71_2245:
	s_mov_b64 s[6:7], 0
.LBB71_2246:
	s_andn2_b64 vcc, exec, s[6:7]
	s_cbranch_vccnz .LBB71_2266
; %bb.2247:
	v_mov_b32_e32 v3, 2
	v_cmp_lt_i16_sdwa s[6:7], s27, v3 src0_sel:BYTE_0 src1_sel:DWORD
	s_and_b64 vcc, exec, s[6:7]
	s_cbranch_vccnz .LBB71_2251
; %bb.2248:
	v_mov_b32_e32 v3, 3
	v_cmp_lt_i16_sdwa s[6:7], s27, v3 src0_sel:BYTE_0 src1_sel:DWORD
	s_and_b64 vcc, exec, s[6:7]
	s_cbranch_vccnz .LBB71_2252
; %bb.2249:
	v_cmp_gt_i16_sdwa s[6:7], s27, v3 src0_sel:BYTE_0 src1_sel:DWORD
	s_and_b64 vcc, exec, s[6:7]
	s_cbranch_vccz .LBB71_2253
; %bb.2250:
	global_load_dwordx2 v[8:9], v[24:25], off
	s_mov_b64 s[6:7], 0
	s_waitcnt vmcnt(0)
	v_cvt_f64_i32_e32 v[26:27], v9
	v_cvt_f64_u32_e32 v[8:9], v8
	v_ldexp_f64 v[26:27], v[26:27], 32
	v_add_f64 v[8:9], v[26:27], v[8:9]
	s_branch .LBB71_2254
.LBB71_2251:
	s_mov_b64 s[6:7], -1
                                        ; implicit-def: $vgpr8_vgpr9
	s_branch .LBB71_2260
.LBB71_2252:
	s_mov_b64 s[6:7], -1
                                        ; implicit-def: $vgpr8_vgpr9
	s_branch .LBB71_2257
.LBB71_2253:
	s_mov_b64 s[6:7], -1
                                        ; implicit-def: $vgpr8_vgpr9
.LBB71_2254:
	s_andn2_b64 vcc, exec, s[6:7]
	s_cbranch_vccnz .LBB71_2256
; %bb.2255:
	global_load_dword v3, v[24:25], off
	s_waitcnt vmcnt(0)
	v_cvt_f64_i32_e32 v[8:9], v3
.LBB71_2256:
	s_mov_b64 s[6:7], 0
.LBB71_2257:
	s_andn2_b64 vcc, exec, s[6:7]
	s_cbranch_vccnz .LBB71_2259
; %bb.2258:
	global_load_sshort v3, v[24:25], off
	s_waitcnt vmcnt(0)
	v_cvt_f64_i32_e32 v[8:9], v3
.LBB71_2259:
	s_mov_b64 s[6:7], 0
.LBB71_2260:
	s_andn2_b64 vcc, exec, s[6:7]
	s_cbranch_vccnz .LBB71_2266
; %bb.2261:
	v_mov_b32_e32 v3, 0
	v_cmp_gt_i16_sdwa s[6:7], s27, v3 src0_sel:BYTE_0 src1_sel:DWORD
	s_and_b64 vcc, exec, s[6:7]
	s_cbranch_vccz .LBB71_2263
; %bb.2262:
	global_load_sbyte v3, v[24:25], off
	s_mov_b64 s[6:7], 0
	s_waitcnt vmcnt(0)
	v_cvt_f64_i32_e32 v[8:9], v3
	s_branch .LBB71_2264
.LBB71_2263:
	s_mov_b64 s[6:7], -1
                                        ; implicit-def: $vgpr8_vgpr9
.LBB71_2264:
	s_andn2_b64 vcc, exec, s[6:7]
	s_cbranch_vccnz .LBB71_2266
; %bb.2265:
	global_load_ubyte v3, v[24:25], off
	s_waitcnt vmcnt(0)
	v_cvt_f64_u32_e32 v[8:9], v3
.LBB71_2266:
	s_mov_b64 s[18:19], -1
.LBB71_2267:
	s_andn2_b64 vcc, exec, s[18:19]
	s_cbranch_vccnz .LBB71_3113
; %bb.2268:
	v_mov_b32_e32 v3, s1
	v_add_co_u32_e32 v24, vcc, s0, v22
	v_addc_co_u32_e32 v25, vcc, 0, v3, vcc
	s_and_b64 vcc, exec, s[2:3]
	s_cbranch_vccnz .LBB71_2275
; %bb.2269:
	v_cmp_gt_i16_e64 s[6:7], s28, 25
	s_mov_b64 s[16:17], 0
	s_and_b64 vcc, exec, s[6:7]
	s_cbranch_vccz .LBB71_2276
; %bb.2270:
	v_cmp_gt_i16_e64 s[6:7], s28, 28
	s_and_b64 vcc, exec, s[6:7]
	s_cbranch_vccz .LBB71_2277
; %bb.2271:
	v_cmp_gt_i16_e64 s[6:7], s28, 43
	;; [unrolled: 4-line block ×3, first 2 shown]
	s_and_b64 vcc, exec, s[6:7]
	s_cbranch_vccz .LBB71_2280
; %bb.2273:
	v_cmp_eq_u16_e64 s[6:7], s28, 46
	s_mov_b64 s[20:21], 0
	s_and_b64 vcc, exec, s[6:7]
	s_cbranch_vccz .LBB71_2283
; %bb.2274:
	global_load_dword v3, v[24:25], off
	s_mov_b64 s[6:7], 0
	s_mov_b64 s[18:19], -1
	s_waitcnt vmcnt(0)
	v_lshlrev_b32_e32 v3, 16, v3
	v_cvt_f64_f32_e32 v[22:23], v3
	s_branch .LBB71_2284
.LBB71_2275:
	s_mov_b64 s[6:7], -1
	s_mov_b64 s[18:19], 0
                                        ; implicit-def: $vgpr22_vgpr23
	s_branch .LBB71_2350
.LBB71_2276:
	s_mov_b64 s[20:21], -1
	s_mov_b64 s[18:19], 0
	s_mov_b64 s[6:7], 0
                                        ; implicit-def: $vgpr22_vgpr23
	s_branch .LBB71_2313
.LBB71_2277:
	s_mov_b64 s[20:21], -1
	s_mov_b64 s[18:19], 0
	s_mov_b64 s[6:7], 0
                                        ; implicit-def: $vgpr22_vgpr23
	s_branch .LBB71_2294
.LBB71_2278:
	s_mov_b64 s[20:21], -1
	s_mov_b64 s[18:19], 0
	s_mov_b64 s[6:7], 0
                                        ; implicit-def: $vgpr22_vgpr23
	s_branch .LBB71_2289
.LBB71_2279:
	s_trap 2
	s_or_b64 s[4:5], s[4:5], exec
                                        ; implicit-def: $vgpr8_vgpr9
	s_cbranch_execz .LBB71_2216
	s_branch .LBB71_2217
.LBB71_2280:
	s_mov_b64 s[20:21], -1
	s_mov_b64 s[18:19], 0
	s_mov_b64 s[6:7], 0
                                        ; implicit-def: $vgpr22_vgpr23
	s_branch .LBB71_2284
.LBB71_2281:
	s_or_saveexec_b64 s[62:63], s[62:63]
                                        ; implicit-def: $sgpr64
	s_xor_b64 exec, exec, s[62:63]
	s_cbranch_execz .LBB71_1116
.LBB71_2282:
	s_mov_b32 s64, 0x42800000
	v_add_f32_e64 v3, |v2|, s64
	v_and_b32_e32 v3, 0xff, v3
	v_cmp_ne_u32_e32 vcc, 0, v3
	s_andn2_b64 s[60:61], s[60:61], exec
	s_and_b64 s[70:71], vcc, exec
	s_mov_b32 s64, 0
	s_or_b64 s[60:61], s[60:61], s[70:71]
	s_or_b64 exec, exec, s[62:63]
	v_mov_b32_e32 v6, s64
	s_and_saveexec_b64 s[62:63], s[60:61]
	s_cbranch_execnz .LBB71_1117
	s_branch .LBB71_1118
.LBB71_2283:
	s_mov_b64 s[6:7], -1
                                        ; implicit-def: $vgpr22_vgpr23
	s_mov_b64 s[18:19], 0
.LBB71_2284:
	s_and_b64 vcc, exec, s[20:21]
	s_cbranch_vccz .LBB71_2288
; %bb.2285:
	v_cmp_eq_u16_e64 s[6:7], s28, 44
	s_and_b64 vcc, exec, s[6:7]
	s_cbranch_vccz .LBB71_2287
; %bb.2286:
	global_load_ubyte v3, v[24:25], off
	s_movk_i32 s18, 0xff
	v_mov_b32_e32 v7, 0x7ff80000
	v_bfrev_b32_e32 v11, 28
	s_mov_b64 s[6:7], 0
	s_waitcnt vmcnt(0)
	v_lshlrev_b32_e32 v13, 23, v3
	v_cvt_f64_f32_e32 v[22:23], v13
	v_cmp_ne_u32_e32 vcc, s18, v3
	v_cndmask_b32_e32 v7, v7, v23, vcc
	v_cmp_ne_u32_e32 vcc, 0, v3
	v_cndmask_b32_e32 v23, v11, v7, vcc
	s_mov_b64 s[18:19], -1
	s_branch .LBB71_2288
.LBB71_2287:
	s_mov_b64 s[6:7], -1
                                        ; implicit-def: $vgpr22_vgpr23
.LBB71_2288:
	s_mov_b64 s[20:21], 0
.LBB71_2289:
	s_and_b64 vcc, exec, s[20:21]
	s_cbranch_vccz .LBB71_2293
; %bb.2290:
	v_cmp_eq_u16_e64 s[6:7], s28, 29
	s_and_b64 vcc, exec, s[6:7]
	s_cbranch_vccz .LBB71_2292
; %bb.2291:
	global_load_dwordx2 v[22:23], v[24:25], off
	s_mov_b64 s[6:7], 0
	s_mov_b64 s[18:19], -1
	s_mov_b64 s[20:21], 0
	s_waitcnt vmcnt(0)
	v_cvt_f64_u32_e32 v[26:27], v23
	v_cvt_f64_u32_e32 v[22:23], v22
	v_ldexp_f64 v[26:27], v[26:27], 32
	v_add_f64 v[22:23], v[26:27], v[22:23]
	s_branch .LBB71_2294
.LBB71_2292:
	s_mov_b64 s[6:7], -1
                                        ; implicit-def: $vgpr22_vgpr23
.LBB71_2293:
	s_mov_b64 s[20:21], 0
.LBB71_2294:
	s_and_b64 vcc, exec, s[20:21]
	s_cbranch_vccz .LBB71_2312
; %bb.2295:
	v_cmp_lt_i16_e64 s[18:19], s28, 27
	s_and_b64 vcc, exec, s[18:19]
	s_cbranch_vccnz .LBB71_2298
; %bb.2296:
	v_cmp_gt_i16_e64 s[18:19], s28, 27
	s_and_b64 vcc, exec, s[18:19]
	s_cbranch_vccz .LBB71_2299
; %bb.2297:
	global_load_dword v3, v[24:25], off
	s_mov_b64 s[18:19], 0
	s_waitcnt vmcnt(0)
	v_cvt_f64_u32_e32 v[22:23], v3
	s_branch .LBB71_2300
.LBB71_2298:
	s_mov_b64 s[18:19], -1
                                        ; implicit-def: $vgpr22_vgpr23
	s_branch .LBB71_2303
.LBB71_2299:
	s_mov_b64 s[18:19], -1
                                        ; implicit-def: $vgpr22_vgpr23
.LBB71_2300:
	s_andn2_b64 vcc, exec, s[18:19]
	s_cbranch_vccnz .LBB71_2302
; %bb.2301:
	global_load_ushort v3, v[24:25], off
	s_waitcnt vmcnt(0)
	v_cvt_f64_u32_e32 v[22:23], v3
.LBB71_2302:
	s_mov_b64 s[18:19], 0
.LBB71_2303:
	s_andn2_b64 vcc, exec, s[18:19]
	s_cbranch_vccnz .LBB71_2311
; %bb.2304:
	global_load_ubyte v3, v[24:25], off
	s_movk_i32 s18, 0x7f
                                        ; implicit-def: $sgpr20_sgpr21
	s_waitcnt vmcnt(0)
	v_cmp_lt_i16_e32 vcc, s18, v3
	s_mov_b64 s[18:19], 0
	s_and_saveexec_b64 s[22:23], vcc
	s_xor_b64 s[22:23], exec, s[22:23]
	s_cbranch_execz .LBB71_2325
; %bb.2305:
	s_movk_i32 s18, 0x80
	v_cmp_eq_u16_e32 vcc, s18, v3
	s_mov_b64 s[24:25], -1
                                        ; implicit-def: $sgpr20_sgpr21
	s_and_saveexec_b64 s[18:19], vcc
; %bb.2306:
	s_mov_b32 s21, 0x7ff80000
	s_brev_b32 s20, 4
	s_xor_b64 s[24:25], exec, -1
; %bb.2307:
	s_or_b64 exec, exec, s[18:19]
	s_and_b64 s[18:19], s[24:25], exec
	s_or_saveexec_b64 s[22:23], s[22:23]
	v_pk_mov_b32 v[22:23], s[20:21], s[20:21] op_sel:[0,1]
	s_xor_b64 exec, exec, s[22:23]
	s_cbranch_execnz .LBB71_2326
.LBB71_2308:
	s_or_b64 exec, exec, s[22:23]
	s_and_saveexec_b64 s[20:21], s[18:19]
	s_cbranch_execz .LBB71_2310
.LBB71_2309:
	v_lshlrev_b32_e32 v7, 24, v3
	v_and_b32_e32 v3, 0xffff, v3
	v_and_b32_e32 v11, 7, v3
	v_ffbh_u32_e32 v15, v11
	v_min_u32_e32 v15, 32, v15
	v_subrev_u32_e32 v17, 28, v15
	v_bfe_u32 v13, v3, 3, 4
	v_lshlrev_b32_e32 v3, v17, v3
	v_sub_u32_e32 v15, 29, v15
	v_and_b32_e32 v3, 7, v3
	v_cmp_eq_u32_e32 vcc, 0, v13
	v_cndmask_b32_e32 v13, v13, v15, vcc
	v_cndmask_b32_e32 v3, v11, v3, vcc
	v_mov_b32_e32 v11, 0x3b800000
	v_lshlrev_b32_e32 v3, 20, v3
	v_and_b32_e32 v7, 0x80000000, v7
	v_lshl_add_u32 v11, v13, 23, v11
	v_or3_b32 v3, v7, v11, v3
	v_cvt_f64_f32_e32 v[22:23], v3
.LBB71_2310:
	s_or_b64 exec, exec, s[20:21]
.LBB71_2311:
	s_mov_b64 s[18:19], -1
.LBB71_2312:
	s_mov_b64 s[20:21], 0
.LBB71_2313:
	s_and_b64 vcc, exec, s[20:21]
	s_cbranch_vccz .LBB71_2346
; %bb.2314:
	v_cmp_gt_i16_e64 s[16:17], s28, 22
	s_and_b64 vcc, exec, s[16:17]
	s_cbranch_vccz .LBB71_2324
; %bb.2315:
	v_cmp_lt_i16_e64 s[16:17], s28, 24
	s_and_b64 vcc, exec, s[16:17]
	s_cbranch_vccnz .LBB71_2327
; %bb.2316:
	v_cmp_gt_i16_e64 s[16:17], s28, 24
	s_and_b64 vcc, exec, s[16:17]
	s_cbranch_vccz .LBB71_2328
; %bb.2317:
	global_load_ubyte v3, v[24:25], off
	s_movk_i32 s16, 0x7f
                                        ; implicit-def: $sgpr18_sgpr19
	s_waitcnt vmcnt(0)
	v_cmp_lt_i16_e32 vcc, s16, v3
	s_mov_b64 s[16:17], 0
	s_and_saveexec_b64 s[20:21], vcc
	s_xor_b64 s[20:21], exec, s[20:21]
	s_cbranch_execz .LBB71_2340
; %bb.2318:
	s_movk_i32 s16, 0x80
	v_cmp_eq_u16_e32 vcc, s16, v3
	s_mov_b64 s[22:23], -1
                                        ; implicit-def: $sgpr18_sgpr19
	s_and_saveexec_b64 s[16:17], vcc
; %bb.2319:
	s_mov_b32 s19, 0x7ff80000
	s_brev_b32 s18, 4
	s_xor_b64 s[22:23], exec, -1
; %bb.2320:
	s_or_b64 exec, exec, s[16:17]
	s_and_b64 s[16:17], s[22:23], exec
	s_or_saveexec_b64 s[20:21], s[20:21]
	v_pk_mov_b32 v[22:23], s[18:19], s[18:19] op_sel:[0,1]
	s_xor_b64 exec, exec, s[20:21]
	s_cbranch_execnz .LBB71_2341
.LBB71_2321:
	s_or_b64 exec, exec, s[20:21]
	s_and_saveexec_b64 s[18:19], s[16:17]
	s_cbranch_execz .LBB71_2323
.LBB71_2322:
	v_lshlrev_b32_e32 v7, 24, v3
	v_and_b32_e32 v3, 0xffff, v3
	v_and_b32_e32 v11, 3, v3
	v_ffbh_u32_e32 v15, v11
	v_min_u32_e32 v15, 32, v15
	v_subrev_u32_e32 v17, 29, v15
	v_bfe_u32 v13, v3, 2, 5
	v_lshlrev_b32_e32 v3, v17, v3
	v_sub_u32_e32 v15, 30, v15
	v_and_b32_e32 v3, 3, v3
	v_cmp_eq_u32_e32 vcc, 0, v13
	v_cndmask_b32_e32 v13, v13, v15, vcc
	v_cndmask_b32_e32 v3, v11, v3, vcc
	v_mov_b32_e32 v11, 0x37800000
	v_lshlrev_b32_e32 v3, 21, v3
	v_and_b32_e32 v7, 0x80000000, v7
	v_lshl_add_u32 v11, v13, 23, v11
	v_or3_b32 v3, v7, v11, v3
	v_cvt_f64_f32_e32 v[22:23], v3
.LBB71_2323:
	s_or_b64 exec, exec, s[18:19]
	s_mov_b64 s[16:17], 0
	s_branch .LBB71_2329
.LBB71_2324:
	s_mov_b64 s[16:17], -1
                                        ; implicit-def: $vgpr22_vgpr23
	s_branch .LBB71_2335
.LBB71_2325:
	s_or_saveexec_b64 s[22:23], s[22:23]
	v_pk_mov_b32 v[22:23], s[20:21], s[20:21] op_sel:[0,1]
	s_xor_b64 exec, exec, s[22:23]
	s_cbranch_execz .LBB71_2308
.LBB71_2326:
	v_cmp_ne_u16_e32 vcc, 0, v3
	s_andn2_b64 s[18:19], s[18:19], exec
	s_and_b64 s[20:21], vcc, exec
	v_pk_mov_b32 v[22:23], 0, 0
	s_or_b64 s[18:19], s[18:19], s[20:21]
	s_or_b64 exec, exec, s[22:23]
	s_and_saveexec_b64 s[20:21], s[18:19]
	s_cbranch_execnz .LBB71_2309
	s_branch .LBB71_2310
.LBB71_2327:
	s_mov_b64 s[16:17], -1
                                        ; implicit-def: $vgpr22_vgpr23
	s_branch .LBB71_2332
.LBB71_2328:
	s_mov_b64 s[16:17], -1
                                        ; implicit-def: $vgpr22_vgpr23
.LBB71_2329:
	s_and_b64 vcc, exec, s[16:17]
	s_cbranch_vccz .LBB71_2331
; %bb.2330:
	global_load_ubyte v3, v[24:25], off
	s_mov_b32 s16, 0x7f800000
	s_waitcnt vmcnt(0)
	v_lshlrev_b32_e32 v3, 24, v3
	v_and_b32_e32 v7, 0x7f000000, v3
	v_ffbh_u32_e32 v11, v7
	v_min_u32_e32 v11, 32, v11
	v_sub_u32_e64 v11, v11, 4 clamp
	v_lshlrev_b32_e32 v15, v11, v7
	v_lshlrev_b32_e32 v11, 23, v11
	v_lshrrev_b32_e32 v15, 4, v15
	v_add_u32_e32 v13, 0x1000000, v7
	v_sub_u32_e32 v11, v15, v11
	v_ashrrev_i32_e32 v13, 8, v13
	v_add_u32_e32 v11, 0x3c000000, v11
	v_and_or_b32 v11, v13, s16, v11
	v_cmp_ne_u32_e32 vcc, 0, v7
	v_cndmask_b32_e32 v7, 0, v11, vcc
	s_brev_b32 s16, 1
	v_and_or_b32 v3, v3, s16, v7
	v_cvt_f64_f32_e32 v[22:23], v3
.LBB71_2331:
	s_mov_b64 s[16:17], 0
.LBB71_2332:
	s_andn2_b64 vcc, exec, s[16:17]
	s_cbranch_vccnz .LBB71_2334
; %bb.2333:
	global_load_ubyte v3, v[24:25], off
	s_movk_i32 s16, 0x7f00
	s_brev_b32 s17, 16
	s_waitcnt vmcnt(0)
	v_lshlrev_b16_e32 v7, 8, v3
	v_lshlrev_b32_e32 v3, 25, v3
	v_lshrrev_b32_e32 v11, 4, v3
	v_and_or_b32 v13, v7, s16, 0.5
	v_or_b32_e32 v11, 0x70000000, v11
	v_add_f32_e32 v13, -0.5, v13
	v_mul_f32_e32 v11, 0x7800000, v11
	v_cmp_gt_u32_e32 vcc, s17, v3
	v_bfe_i32 v7, v7, 0, 16
	v_cndmask_b32_e32 v3, v11, v13, vcc
	s_brev_b32 s16, 1
	v_and_or_b32 v3, v7, s16, v3
	v_cvt_f64_f32_e32 v[22:23], v3
.LBB71_2334:
	s_mov_b64 s[16:17], 0
	s_mov_b64 s[18:19], -1
.LBB71_2335:
	s_andn2_b64 vcc, exec, s[16:17]
	s_mov_b64 s[16:17], 0
	s_cbranch_vccnz .LBB71_2346
; %bb.2336:
	v_cmp_gt_i16_e64 s[16:17], s28, 14
	s_and_b64 vcc, exec, s[16:17]
	s_cbranch_vccz .LBB71_2339
; %bb.2337:
	v_cmp_eq_u16_e64 s[6:7], s28, 15
	s_and_b64 vcc, exec, s[6:7]
	s_cbranch_vccz .LBB71_2342
; %bb.2338:
	global_load_ushort v3, v[24:25], off
	s_mov_b64 s[6:7], 0
	s_mov_b64 s[18:19], -1
	s_waitcnt vmcnt(0)
	v_lshlrev_b32_e32 v3, 16, v3
	v_cvt_f64_f32_e32 v[22:23], v3
	s_branch .LBB71_2343
.LBB71_2339:
	s_mov_b64 s[20:21], -1
                                        ; implicit-def: $vgpr22_vgpr23
	s_branch .LBB71_2344
.LBB71_2340:
	s_or_saveexec_b64 s[20:21], s[20:21]
	v_pk_mov_b32 v[22:23], s[18:19], s[18:19] op_sel:[0,1]
	s_xor_b64 exec, exec, s[20:21]
	s_cbranch_execz .LBB71_2321
.LBB71_2341:
	v_cmp_ne_u16_e32 vcc, 0, v3
	s_andn2_b64 s[16:17], s[16:17], exec
	s_and_b64 s[18:19], vcc, exec
	v_pk_mov_b32 v[22:23], 0, 0
	s_or_b64 s[16:17], s[16:17], s[18:19]
	s_or_b64 exec, exec, s[20:21]
	s_and_saveexec_b64 s[18:19], s[16:17]
	s_cbranch_execnz .LBB71_2322
	s_branch .LBB71_2323
.LBB71_2342:
	s_mov_b64 s[6:7], -1
                                        ; implicit-def: $vgpr22_vgpr23
.LBB71_2343:
	s_mov_b64 s[20:21], 0
.LBB71_2344:
	s_mov_b64 s[16:17], 0
	s_and_b64 vcc, exec, s[20:21]
	s_cbranch_vccz .LBB71_2346
; %bb.2345:
	v_cmp_ne_u16_e64 s[6:7], s28, 11
	s_mov_b64 s[16:17], -1
                                        ; implicit-def: $vgpr22_vgpr23
.LBB71_2346:
	s_and_b64 vcc, exec, s[6:7]
	s_cbranch_vccnz .LBB71_2411
; %bb.2347:
	s_andn2_b64 vcc, exec, s[16:17]
	s_cbranch_vccnz .LBB71_2349
.LBB71_2348:
	global_load_ubyte v3, v[24:25], off
	v_mov_b32_e32 v7, 0x3ff00000
	s_mov_b64 s[18:19], -1
	s_waitcnt vmcnt(0)
	v_cmp_ne_u16_e32 vcc, 0, v3
	v_cndmask_b32_e32 v23, 0, v7, vcc
.LBB71_2349:
	s_mov_b64 s[6:7], 0
.LBB71_2350:
	s_and_b64 vcc, exec, s[6:7]
	s_cbranch_vccz .LBB71_2399
; %bb.2351:
	v_cmp_lt_i16_e64 s[6:7], s28, 5
	s_and_b64 vcc, exec, s[6:7]
	s_cbranch_vccnz .LBB71_2356
; %bb.2352:
	v_cmp_lt_i16_e64 s[6:7], s28, 8
	s_and_b64 vcc, exec, s[6:7]
	s_cbranch_vccnz .LBB71_2357
; %bb.2353:
	v_cmp_lt_i16_e64 s[6:7], s28, 9
	s_and_b64 vcc, exec, s[6:7]
	s_cbranch_vccnz .LBB71_2358
; %bb.2354:
	v_cmp_gt_i16_e64 s[6:7], s28, 9
	s_and_b64 vcc, exec, s[6:7]
	s_cbranch_vccz .LBB71_2359
; %bb.2355:
	global_load_dwordx2 v[22:23], v[24:25], off
	s_mov_b64 s[6:7], 0
	s_branch .LBB71_2360
.LBB71_2356:
	s_mov_b64 s[6:7], -1
                                        ; implicit-def: $vgpr22_vgpr23
	s_branch .LBB71_2378
.LBB71_2357:
	s_mov_b64 s[6:7], -1
                                        ; implicit-def: $vgpr22_vgpr23
	s_branch .LBB71_2366
.LBB71_2358:
	s_mov_b64 s[6:7], -1
                                        ; implicit-def: $vgpr22_vgpr23
	s_branch .LBB71_2363
.LBB71_2359:
	s_mov_b64 s[6:7], -1
                                        ; implicit-def: $vgpr22_vgpr23
.LBB71_2360:
	s_andn2_b64 vcc, exec, s[6:7]
	s_cbranch_vccnz .LBB71_2362
; %bb.2361:
	global_load_dword v3, v[24:25], off
	s_waitcnt vmcnt(0)
	v_cvt_f64_f32_e32 v[22:23], v3
.LBB71_2362:
	s_mov_b64 s[6:7], 0
.LBB71_2363:
	s_andn2_b64 vcc, exec, s[6:7]
	s_cbranch_vccnz .LBB71_2365
; %bb.2364:
	global_load_dword v3, v[24:25], off
	s_waitcnt vmcnt(0)
	v_cvt_f32_f16_e32 v3, v3
	v_cvt_f64_f32_e32 v[22:23], v3
.LBB71_2365:
	s_mov_b64 s[6:7], 0
.LBB71_2366:
	s_andn2_b64 vcc, exec, s[6:7]
	s_cbranch_vccnz .LBB71_2377
; %bb.2367:
	v_cmp_lt_i16_e64 s[6:7], s28, 6
	s_and_b64 vcc, exec, s[6:7]
	s_cbranch_vccnz .LBB71_2370
; %bb.2368:
	v_cmp_gt_i16_e64 s[6:7], s28, 6
	s_and_b64 vcc, exec, s[6:7]
	s_cbranch_vccz .LBB71_2371
; %bb.2369:
	global_load_dwordx2 v[22:23], v[24:25], off
	s_mov_b64 s[6:7], 0
	s_branch .LBB71_2372
.LBB71_2370:
	s_mov_b64 s[6:7], -1
                                        ; implicit-def: $vgpr22_vgpr23
	s_branch .LBB71_2375
.LBB71_2371:
	s_mov_b64 s[6:7], -1
                                        ; implicit-def: $vgpr22_vgpr23
.LBB71_2372:
	s_andn2_b64 vcc, exec, s[6:7]
	s_cbranch_vccnz .LBB71_2374
; %bb.2373:
	global_load_dword v3, v[24:25], off
	s_waitcnt vmcnt(0)
	v_cvt_f64_f32_e32 v[22:23], v3
.LBB71_2374:
	s_mov_b64 s[6:7], 0
.LBB71_2375:
	s_andn2_b64 vcc, exec, s[6:7]
	s_cbranch_vccnz .LBB71_2377
; %bb.2376:
	global_load_ushort v3, v[24:25], off
	s_waitcnt vmcnt(0)
	v_cvt_f32_f16_e32 v3, v3
	v_cvt_f64_f32_e32 v[22:23], v3
.LBB71_2377:
	s_mov_b64 s[6:7], 0
.LBB71_2378:
	s_andn2_b64 vcc, exec, s[6:7]
	s_cbranch_vccnz .LBB71_2398
; %bb.2379:
	v_cmp_lt_i16_e64 s[6:7], s28, 2
	s_and_b64 vcc, exec, s[6:7]
	s_cbranch_vccnz .LBB71_2383
; %bb.2380:
	v_cmp_lt_i16_e64 s[6:7], s28, 3
	s_and_b64 vcc, exec, s[6:7]
	s_cbranch_vccnz .LBB71_2384
; %bb.2381:
	v_cmp_gt_i16_e64 s[6:7], s28, 3
	s_and_b64 vcc, exec, s[6:7]
	s_cbranch_vccz .LBB71_2385
; %bb.2382:
	global_load_dwordx2 v[22:23], v[24:25], off
	s_mov_b64 s[6:7], 0
	s_waitcnt vmcnt(0)
	v_cvt_f64_i32_e32 v[26:27], v23
	v_cvt_f64_u32_e32 v[22:23], v22
	v_ldexp_f64 v[26:27], v[26:27], 32
	v_add_f64 v[22:23], v[26:27], v[22:23]
	s_branch .LBB71_2386
.LBB71_2383:
	s_mov_b64 s[6:7], -1
                                        ; implicit-def: $vgpr22_vgpr23
	s_branch .LBB71_2392
.LBB71_2384:
	s_mov_b64 s[6:7], -1
                                        ; implicit-def: $vgpr22_vgpr23
	s_branch .LBB71_2389
.LBB71_2385:
	s_mov_b64 s[6:7], -1
                                        ; implicit-def: $vgpr22_vgpr23
.LBB71_2386:
	s_andn2_b64 vcc, exec, s[6:7]
	s_cbranch_vccnz .LBB71_2388
; %bb.2387:
	global_load_dword v3, v[24:25], off
	s_waitcnt vmcnt(0)
	v_cvt_f64_i32_e32 v[22:23], v3
.LBB71_2388:
	s_mov_b64 s[6:7], 0
.LBB71_2389:
	s_andn2_b64 vcc, exec, s[6:7]
	s_cbranch_vccnz .LBB71_2391
; %bb.2390:
	global_load_sshort v3, v[24:25], off
	s_waitcnt vmcnt(0)
	v_cvt_f64_i32_e32 v[22:23], v3
.LBB71_2391:
	s_mov_b64 s[6:7], 0
.LBB71_2392:
	s_andn2_b64 vcc, exec, s[6:7]
	s_cbranch_vccnz .LBB71_2398
; %bb.2393:
	v_cmp_gt_i16_e64 s[6:7], s28, 0
	s_and_b64 vcc, exec, s[6:7]
	s_cbranch_vccz .LBB71_2395
; %bb.2394:
	global_load_sbyte v3, v[24:25], off
	s_mov_b64 s[6:7], 0
	s_waitcnt vmcnt(0)
	v_cvt_f64_i32_e32 v[22:23], v3
	s_branch .LBB71_2396
.LBB71_2395:
	s_mov_b64 s[6:7], -1
                                        ; implicit-def: $vgpr22_vgpr23
.LBB71_2396:
	s_andn2_b64 vcc, exec, s[6:7]
	s_cbranch_vccnz .LBB71_2398
; %bb.2397:
	global_load_ubyte v3, v[24:25], off
	s_waitcnt vmcnt(0)
	v_cvt_f64_u32_e32 v[22:23], v3
.LBB71_2398:
	s_mov_b64 s[18:19], -1
.LBB71_2399:
	s_andn2_b64 vcc, exec, s[18:19]
	s_cbranch_vccnz .LBB71_3113
; %bb.2400:
	v_mov_b32_e32 v3, s11
	v_add_co_u32_e32 v24, vcc, s10, v12
	v_addc_co_u32_e32 v25, vcc, 0, v3, vcc
	v_mov_b32_e32 v3, 11
	v_cmp_lt_i16_sdwa s[6:7], s27, v3 src0_sel:BYTE_0 src1_sel:DWORD
	s_and_b64 vcc, exec, s[6:7]
	s_cbranch_vccnz .LBB71_2407
; %bb.2401:
	v_mov_b32_e32 v3, 25
	v_cmp_gt_i16_sdwa s[6:7], s27, v3 src0_sel:BYTE_0 src1_sel:DWORD
	s_mov_b64 s[10:11], 0
	s_and_b64 vcc, exec, s[6:7]
	s_cbranch_vccz .LBB71_2408
; %bb.2402:
	v_mov_b32_e32 v3, 28
	v_cmp_gt_i16_sdwa s[6:7], s27, v3 src0_sel:BYTE_0 src1_sel:DWORD
	s_and_b64 vcc, exec, s[6:7]
	s_cbranch_vccz .LBB71_2409
; %bb.2403:
	v_mov_b32_e32 v3, 43
	v_cmp_gt_i16_sdwa s[6:7], s27, v3 src0_sel:BYTE_0 src1_sel:DWORD
	;; [unrolled: 5-line block ×3, first 2 shown]
	s_and_b64 vcc, exec, s[6:7]
	s_cbranch_vccz .LBB71_2412
; %bb.2405:
	v_mov_b32_e32 v3, 46
	v_cmp_eq_u16_sdwa s[6:7], s27, v3 src0_sel:BYTE_0 src1_sel:DWORD
	s_mov_b64 s[18:19], 0
	s_and_b64 vcc, exec, s[6:7]
	s_cbranch_vccz .LBB71_2413
; %bb.2406:
	global_load_dword v3, v[24:25], off
	s_mov_b64 s[6:7], 0
	s_mov_b64 s[16:17], -1
	s_waitcnt vmcnt(0)
	v_lshlrev_b32_e32 v3, 16, v3
	v_cvt_f64_f32_e32 v[12:13], v3
	s_branch .LBB71_2414
.LBB71_2407:
	s_mov_b64 s[6:7], -1
	s_mov_b64 s[16:17], 0
                                        ; implicit-def: $vgpr12_vgpr13
	s_branch .LBB71_2480
.LBB71_2408:
	s_mov_b64 s[18:19], -1
	s_mov_b64 s[16:17], 0
	s_mov_b64 s[6:7], 0
                                        ; implicit-def: $vgpr12_vgpr13
	s_branch .LBB71_2443
.LBB71_2409:
	s_mov_b64 s[18:19], -1
	s_mov_b64 s[16:17], 0
	s_mov_b64 s[6:7], 0
                                        ; implicit-def: $vgpr12_vgpr13
	s_branch .LBB71_2424
.LBB71_2410:
	s_mov_b64 s[18:19], -1
	s_mov_b64 s[16:17], 0
	s_mov_b64 s[6:7], 0
                                        ; implicit-def: $vgpr12_vgpr13
	s_branch .LBB71_2419
.LBB71_2411:
	s_trap 2
	s_or_b64 s[4:5], s[4:5], exec
                                        ; implicit-def: $vgpr22_vgpr23
	s_cbranch_execz .LBB71_2348
	s_branch .LBB71_2349
.LBB71_2412:
	s_mov_b64 s[18:19], -1
	s_mov_b64 s[16:17], 0
	s_mov_b64 s[6:7], 0
                                        ; implicit-def: $vgpr12_vgpr13
	s_branch .LBB71_2414
.LBB71_2413:
	s_mov_b64 s[6:7], -1
                                        ; implicit-def: $vgpr12_vgpr13
	s_mov_b64 s[16:17], 0
.LBB71_2414:
	s_and_b64 vcc, exec, s[18:19]
	s_cbranch_vccz .LBB71_2418
; %bb.2415:
	v_mov_b32_e32 v3, 44
	v_cmp_eq_u16_sdwa s[6:7], s27, v3 src0_sel:BYTE_0 src1_sel:DWORD
	s_and_b64 vcc, exec, s[6:7]
	s_cbranch_vccz .LBB71_2417
; %bb.2416:
	global_load_ubyte v3, v[24:25], off
	s_movk_i32 s16, 0xff
	v_bfrev_b32_e32 v7, 4
	v_mov_b32_e32 v11, 0x7ff80000
	v_bfrev_b32_e32 v15, 28
	s_mov_b64 s[6:7], 0
	s_waitcnt vmcnt(0)
	v_lshlrev_b32_e32 v12, 23, v3
	v_cvt_f64_f32_e32 v[12:13], v12
	v_cmp_ne_u32_e32 vcc, s16, v3
	v_cndmask_b32_e32 v7, v7, v12, vcc
	v_cndmask_b32_e32 v11, v11, v13, vcc
	v_cmp_ne_u32_e32 vcc, 0, v3
	v_cndmask_b32_e32 v13, v15, v11, vcc
	v_cndmask_b32_e32 v12, 0, v7, vcc
	s_mov_b64 s[16:17], -1
	s_branch .LBB71_2418
.LBB71_2417:
	s_mov_b64 s[6:7], -1
                                        ; implicit-def: $vgpr12_vgpr13
.LBB71_2418:
	s_mov_b64 s[18:19], 0
.LBB71_2419:
	s_and_b64 vcc, exec, s[18:19]
	s_cbranch_vccz .LBB71_2423
; %bb.2420:
	v_mov_b32_e32 v3, 29
	v_cmp_eq_u16_sdwa s[6:7], s27, v3 src0_sel:BYTE_0 src1_sel:DWORD
	s_and_b64 vcc, exec, s[6:7]
	s_cbranch_vccz .LBB71_2422
; %bb.2421:
	global_load_dwordx2 v[12:13], v[24:25], off
	s_mov_b64 s[6:7], 0
	s_mov_b64 s[16:17], -1
	s_mov_b64 s[18:19], 0
	s_waitcnt vmcnt(0)
	v_cvt_f64_u32_e32 v[26:27], v13
	v_cvt_f64_u32_e32 v[12:13], v12
	v_ldexp_f64 v[26:27], v[26:27], 32
	v_add_f64 v[12:13], v[26:27], v[12:13]
	s_branch .LBB71_2424
.LBB71_2422:
	s_mov_b64 s[6:7], -1
                                        ; implicit-def: $vgpr12_vgpr13
.LBB71_2423:
	s_mov_b64 s[18:19], 0
.LBB71_2424:
	s_and_b64 vcc, exec, s[18:19]
	s_cbranch_vccz .LBB71_2442
; %bb.2425:
	v_mov_b32_e32 v3, 27
	v_cmp_lt_i16_sdwa s[16:17], s27, v3 src0_sel:BYTE_0 src1_sel:DWORD
	s_and_b64 vcc, exec, s[16:17]
	s_cbranch_vccnz .LBB71_2428
; %bb.2426:
	v_cmp_gt_i16_sdwa s[16:17], s27, v3 src0_sel:BYTE_0 src1_sel:DWORD
	s_and_b64 vcc, exec, s[16:17]
	s_cbranch_vccz .LBB71_2429
; %bb.2427:
	global_load_dword v3, v[24:25], off
	s_mov_b64 s[16:17], 0
	s_waitcnt vmcnt(0)
	v_cvt_f64_u32_e32 v[12:13], v3
	s_branch .LBB71_2430
.LBB71_2428:
	s_mov_b64 s[16:17], -1
                                        ; implicit-def: $vgpr12_vgpr13
	s_branch .LBB71_2433
.LBB71_2429:
	s_mov_b64 s[16:17], -1
                                        ; implicit-def: $vgpr12_vgpr13
.LBB71_2430:
	s_andn2_b64 vcc, exec, s[16:17]
	s_cbranch_vccnz .LBB71_2432
; %bb.2431:
	global_load_ushort v3, v[24:25], off
	s_waitcnt vmcnt(0)
	v_cvt_f64_u32_e32 v[12:13], v3
.LBB71_2432:
	s_mov_b64 s[16:17], 0
.LBB71_2433:
	s_andn2_b64 vcc, exec, s[16:17]
	s_cbranch_vccnz .LBB71_2441
; %bb.2434:
	global_load_ubyte v3, v[24:25], off
	s_movk_i32 s16, 0x7f
                                        ; implicit-def: $sgpr18_sgpr19
	s_waitcnt vmcnt(0)
	v_cmp_lt_i16_e32 vcc, s16, v3
	s_mov_b64 s[16:17], 0
	s_and_saveexec_b64 s[20:21], vcc
	s_xor_b64 s[20:21], exec, s[20:21]
	s_cbranch_execz .LBB71_2455
; %bb.2435:
	s_movk_i32 s16, 0x80
	v_cmp_eq_u16_e32 vcc, s16, v3
	s_mov_b64 s[22:23], -1
                                        ; implicit-def: $sgpr18_sgpr19
	s_and_saveexec_b64 s[16:17], vcc
; %bb.2436:
	s_mov_b32 s19, 0x7ff80000
	s_brev_b32 s18, 4
	s_xor_b64 s[22:23], exec, -1
; %bb.2437:
	s_or_b64 exec, exec, s[16:17]
	s_and_b64 s[16:17], s[22:23], exec
	s_or_saveexec_b64 s[20:21], s[20:21]
	v_pk_mov_b32 v[12:13], s[18:19], s[18:19] op_sel:[0,1]
	s_xor_b64 exec, exec, s[20:21]
	s_cbranch_execnz .LBB71_2456
.LBB71_2438:
	s_or_b64 exec, exec, s[20:21]
	s_and_saveexec_b64 s[18:19], s[16:17]
	s_cbranch_execz .LBB71_2440
.LBB71_2439:
	v_lshlrev_b32_e32 v7, 24, v3
	v_and_b32_e32 v3, 0xffff, v3
	v_and_b32_e32 v11, 7, v3
	v_ffbh_u32_e32 v13, v11
	v_min_u32_e32 v13, 32, v13
	v_subrev_u32_e32 v15, 28, v13
	v_bfe_u32 v12, v3, 3, 4
	v_lshlrev_b32_e32 v3, v15, v3
	v_sub_u32_e32 v13, 29, v13
	v_and_b32_e32 v3, 7, v3
	v_cmp_eq_u32_e32 vcc, 0, v12
	v_cndmask_b32_e32 v12, v12, v13, vcc
	v_cndmask_b32_e32 v3, v11, v3, vcc
	v_mov_b32_e32 v11, 0x3b800000
	v_lshlrev_b32_e32 v3, 20, v3
	v_and_b32_e32 v7, 0x80000000, v7
	v_lshl_add_u32 v11, v12, 23, v11
	v_or3_b32 v3, v7, v11, v3
	v_cvt_f64_f32_e32 v[12:13], v3
.LBB71_2440:
	s_or_b64 exec, exec, s[18:19]
.LBB71_2441:
	s_mov_b64 s[16:17], -1
.LBB71_2442:
	s_mov_b64 s[18:19], 0
.LBB71_2443:
	s_and_b64 vcc, exec, s[18:19]
	s_cbranch_vccz .LBB71_2476
; %bb.2444:
	v_mov_b32_e32 v3, 22
	v_cmp_gt_i16_sdwa s[10:11], s27, v3 src0_sel:BYTE_0 src1_sel:DWORD
	s_and_b64 vcc, exec, s[10:11]
	s_cbranch_vccz .LBB71_2454
; %bb.2445:
	v_mov_b32_e32 v3, 24
	v_cmp_lt_i16_sdwa s[10:11], s27, v3 src0_sel:BYTE_0 src1_sel:DWORD
	s_and_b64 vcc, exec, s[10:11]
	s_cbranch_vccnz .LBB71_2457
; %bb.2446:
	v_cmp_gt_i16_sdwa s[10:11], s27, v3 src0_sel:BYTE_0 src1_sel:DWORD
	s_and_b64 vcc, exec, s[10:11]
	s_cbranch_vccz .LBB71_2458
; %bb.2447:
	global_load_ubyte v3, v[24:25], off
	s_movk_i32 s10, 0x7f
                                        ; implicit-def: $sgpr16_sgpr17
	s_waitcnt vmcnt(0)
	v_cmp_lt_i16_e32 vcc, s10, v3
	s_mov_b64 s[10:11], 0
	s_and_saveexec_b64 s[18:19], vcc
	s_xor_b64 s[18:19], exec, s[18:19]
	s_cbranch_execz .LBB71_2470
; %bb.2448:
	s_movk_i32 s10, 0x80
	v_cmp_eq_u16_e32 vcc, s10, v3
	s_mov_b64 s[20:21], -1
                                        ; implicit-def: $sgpr16_sgpr17
	s_and_saveexec_b64 s[10:11], vcc
; %bb.2449:
	s_mov_b32 s17, 0x7ff80000
	s_brev_b32 s16, 4
	s_xor_b64 s[20:21], exec, -1
; %bb.2450:
	s_or_b64 exec, exec, s[10:11]
	s_and_b64 s[10:11], s[20:21], exec
	s_or_saveexec_b64 s[18:19], s[18:19]
	v_pk_mov_b32 v[12:13], s[16:17], s[16:17] op_sel:[0,1]
	s_xor_b64 exec, exec, s[18:19]
	s_cbranch_execnz .LBB71_2471
.LBB71_2451:
	s_or_b64 exec, exec, s[18:19]
	s_and_saveexec_b64 s[16:17], s[10:11]
	s_cbranch_execz .LBB71_2453
.LBB71_2452:
	v_lshlrev_b32_e32 v7, 24, v3
	v_and_b32_e32 v3, 0xffff, v3
	v_and_b32_e32 v11, 3, v3
	v_ffbh_u32_e32 v13, v11
	v_min_u32_e32 v13, 32, v13
	v_subrev_u32_e32 v15, 29, v13
	v_bfe_u32 v12, v3, 2, 5
	v_lshlrev_b32_e32 v3, v15, v3
	v_sub_u32_e32 v13, 30, v13
	v_and_b32_e32 v3, 3, v3
	v_cmp_eq_u32_e32 vcc, 0, v12
	v_cndmask_b32_e32 v12, v12, v13, vcc
	v_cndmask_b32_e32 v3, v11, v3, vcc
	v_mov_b32_e32 v11, 0x37800000
	v_lshlrev_b32_e32 v3, 21, v3
	v_and_b32_e32 v7, 0x80000000, v7
	v_lshl_add_u32 v11, v12, 23, v11
	v_or3_b32 v3, v7, v11, v3
	v_cvt_f64_f32_e32 v[12:13], v3
.LBB71_2453:
	s_or_b64 exec, exec, s[16:17]
	s_mov_b64 s[10:11], 0
	s_branch .LBB71_2459
.LBB71_2454:
	s_mov_b64 s[10:11], -1
                                        ; implicit-def: $vgpr12_vgpr13
	s_branch .LBB71_2465
.LBB71_2455:
	s_or_saveexec_b64 s[20:21], s[20:21]
	v_pk_mov_b32 v[12:13], s[18:19], s[18:19] op_sel:[0,1]
	s_xor_b64 exec, exec, s[20:21]
	s_cbranch_execz .LBB71_2438
.LBB71_2456:
	v_cmp_ne_u16_e32 vcc, 0, v3
	s_andn2_b64 s[16:17], s[16:17], exec
	s_and_b64 s[18:19], vcc, exec
	v_pk_mov_b32 v[12:13], 0, 0
	s_or_b64 s[16:17], s[16:17], s[18:19]
	s_or_b64 exec, exec, s[20:21]
	s_and_saveexec_b64 s[18:19], s[16:17]
	s_cbranch_execnz .LBB71_2439
	s_branch .LBB71_2440
.LBB71_2457:
	s_mov_b64 s[10:11], -1
                                        ; implicit-def: $vgpr12_vgpr13
	s_branch .LBB71_2462
.LBB71_2458:
	s_mov_b64 s[10:11], -1
                                        ; implicit-def: $vgpr12_vgpr13
.LBB71_2459:
	s_and_b64 vcc, exec, s[10:11]
	s_cbranch_vccz .LBB71_2461
; %bb.2460:
	global_load_ubyte v3, v[24:25], off
	s_mov_b32 s10, 0x7f800000
	s_waitcnt vmcnt(0)
	v_lshlrev_b32_e32 v3, 24, v3
	v_and_b32_e32 v7, 0x7f000000, v3
	v_ffbh_u32_e32 v11, v7
	v_min_u32_e32 v11, 32, v11
	v_sub_u32_e64 v11, v11, 4 clamp
	v_lshlrev_b32_e32 v13, v11, v7
	v_lshlrev_b32_e32 v11, 23, v11
	v_lshrrev_b32_e32 v13, 4, v13
	v_add_u32_e32 v12, 0x1000000, v7
	v_sub_u32_e32 v11, v13, v11
	v_ashrrev_i32_e32 v12, 8, v12
	v_add_u32_e32 v11, 0x3c000000, v11
	v_and_or_b32 v11, v12, s10, v11
	v_cmp_ne_u32_e32 vcc, 0, v7
	v_cndmask_b32_e32 v7, 0, v11, vcc
	s_brev_b32 s10, 1
	v_and_or_b32 v3, v3, s10, v7
	v_cvt_f64_f32_e32 v[12:13], v3
.LBB71_2461:
	s_mov_b64 s[10:11], 0
.LBB71_2462:
	s_andn2_b64 vcc, exec, s[10:11]
	s_cbranch_vccnz .LBB71_2464
; %bb.2463:
	global_load_ubyte v3, v[24:25], off
	s_movk_i32 s10, 0x7f00
	s_brev_b32 s11, 16
	s_waitcnt vmcnt(0)
	v_lshlrev_b16_e32 v7, 8, v3
	v_lshlrev_b32_e32 v3, 25, v3
	v_lshrrev_b32_e32 v11, 4, v3
	v_and_or_b32 v12, v7, s10, 0.5
	v_or_b32_e32 v11, 0x70000000, v11
	v_add_f32_e32 v12, -0.5, v12
	v_mul_f32_e32 v11, 0x7800000, v11
	v_cmp_gt_u32_e32 vcc, s11, v3
	v_bfe_i32 v7, v7, 0, 16
	v_cndmask_b32_e32 v3, v11, v12, vcc
	s_brev_b32 s10, 1
	v_and_or_b32 v3, v7, s10, v3
	v_cvt_f64_f32_e32 v[12:13], v3
.LBB71_2464:
	s_mov_b64 s[10:11], 0
	s_mov_b64 s[16:17], -1
.LBB71_2465:
	s_andn2_b64 vcc, exec, s[10:11]
	s_mov_b64 s[10:11], 0
	s_cbranch_vccnz .LBB71_2476
; %bb.2466:
	v_mov_b32_e32 v3, 14
	v_cmp_gt_i16_sdwa s[10:11], s27, v3 src0_sel:BYTE_0 src1_sel:DWORD
	s_and_b64 vcc, exec, s[10:11]
	s_cbranch_vccz .LBB71_2469
; %bb.2467:
	v_mov_b32_e32 v3, 15
	v_cmp_eq_u16_sdwa s[6:7], s27, v3 src0_sel:BYTE_0 src1_sel:DWORD
	s_and_b64 vcc, exec, s[6:7]
	s_cbranch_vccz .LBB71_2472
; %bb.2468:
	global_load_ushort v3, v[24:25], off
	s_mov_b64 s[6:7], 0
	s_mov_b64 s[16:17], -1
	s_waitcnt vmcnt(0)
	v_lshlrev_b32_e32 v3, 16, v3
	v_cvt_f64_f32_e32 v[12:13], v3
	s_branch .LBB71_2473
.LBB71_2469:
	s_mov_b64 s[18:19], -1
                                        ; implicit-def: $vgpr12_vgpr13
	s_branch .LBB71_2474
.LBB71_2470:
	s_or_saveexec_b64 s[18:19], s[18:19]
	v_pk_mov_b32 v[12:13], s[16:17], s[16:17] op_sel:[0,1]
	s_xor_b64 exec, exec, s[18:19]
	s_cbranch_execz .LBB71_2451
.LBB71_2471:
	v_cmp_ne_u16_e32 vcc, 0, v3
	s_andn2_b64 s[10:11], s[10:11], exec
	s_and_b64 s[16:17], vcc, exec
	v_pk_mov_b32 v[12:13], 0, 0
	s_or_b64 s[10:11], s[10:11], s[16:17]
	s_or_b64 exec, exec, s[18:19]
	s_and_saveexec_b64 s[16:17], s[10:11]
	s_cbranch_execnz .LBB71_2452
	s_branch .LBB71_2453
.LBB71_2472:
	s_mov_b64 s[6:7], -1
                                        ; implicit-def: $vgpr12_vgpr13
.LBB71_2473:
	s_mov_b64 s[18:19], 0
.LBB71_2474:
	s_mov_b64 s[10:11], 0
	s_and_b64 vcc, exec, s[18:19]
	s_cbranch_vccz .LBB71_2476
; %bb.2475:
	v_mov_b32_e32 v3, 11
	v_cmp_ne_u16_sdwa s[6:7], s27, v3 src0_sel:BYTE_0 src1_sel:DWORD
	s_mov_b64 s[10:11], -1
                                        ; implicit-def: $vgpr12_vgpr13
.LBB71_2476:
	s_and_b64 vcc, exec, s[6:7]
	s_cbranch_vccnz .LBB71_2541
; %bb.2477:
	s_andn2_b64 vcc, exec, s[10:11]
	s_cbranch_vccnz .LBB71_2479
.LBB71_2478:
	global_load_ubyte v3, v[24:25], off
	v_mov_b32_e32 v7, 0x3ff00000
	v_mov_b32_e32 v12, 0
	s_mov_b64 s[16:17], -1
	s_waitcnt vmcnt(0)
	v_cmp_ne_u16_e32 vcc, 0, v3
	v_cndmask_b32_e32 v13, 0, v7, vcc
.LBB71_2479:
	s_mov_b64 s[6:7], 0
.LBB71_2480:
	s_and_b64 vcc, exec, s[6:7]
	s_cbranch_vccz .LBB71_2529
; %bb.2481:
	v_mov_b32_e32 v3, 5
	v_cmp_lt_i16_sdwa s[6:7], s27, v3 src0_sel:BYTE_0 src1_sel:DWORD
	s_and_b64 vcc, exec, s[6:7]
	s_cbranch_vccnz .LBB71_2486
; %bb.2482:
	v_mov_b32_e32 v3, 8
	v_cmp_lt_i16_sdwa s[6:7], s27, v3 src0_sel:BYTE_0 src1_sel:DWORD
	s_and_b64 vcc, exec, s[6:7]
	s_cbranch_vccnz .LBB71_2487
	;; [unrolled: 5-line block ×3, first 2 shown]
; %bb.2484:
	v_cmp_gt_i16_sdwa s[6:7], s27, v3 src0_sel:BYTE_0 src1_sel:DWORD
	s_and_b64 vcc, exec, s[6:7]
	s_cbranch_vccz .LBB71_2489
; %bb.2485:
	global_load_dwordx2 v[12:13], v[24:25], off
	s_mov_b64 s[6:7], 0
	s_branch .LBB71_2490
.LBB71_2486:
	s_mov_b64 s[6:7], -1
                                        ; implicit-def: $vgpr12_vgpr13
	s_branch .LBB71_2508
.LBB71_2487:
	s_mov_b64 s[6:7], -1
                                        ; implicit-def: $vgpr12_vgpr13
	s_branch .LBB71_2496
.LBB71_2488:
	s_mov_b64 s[6:7], -1
                                        ; implicit-def: $vgpr12_vgpr13
	s_branch .LBB71_2493
.LBB71_2489:
	s_mov_b64 s[6:7], -1
                                        ; implicit-def: $vgpr12_vgpr13
.LBB71_2490:
	s_andn2_b64 vcc, exec, s[6:7]
	s_cbranch_vccnz .LBB71_2492
; %bb.2491:
	global_load_dword v3, v[24:25], off
	s_waitcnt vmcnt(0)
	v_cvt_f64_f32_e32 v[12:13], v3
.LBB71_2492:
	s_mov_b64 s[6:7], 0
.LBB71_2493:
	s_andn2_b64 vcc, exec, s[6:7]
	s_cbranch_vccnz .LBB71_2495
; %bb.2494:
	global_load_dword v3, v[24:25], off
	s_waitcnt vmcnt(0)
	v_cvt_f32_f16_e32 v3, v3
	v_cvt_f64_f32_e32 v[12:13], v3
.LBB71_2495:
	s_mov_b64 s[6:7], 0
.LBB71_2496:
	s_andn2_b64 vcc, exec, s[6:7]
	s_cbranch_vccnz .LBB71_2507
; %bb.2497:
	v_mov_b32_e32 v3, 6
	v_cmp_lt_i16_sdwa s[6:7], s27, v3 src0_sel:BYTE_0 src1_sel:DWORD
	s_and_b64 vcc, exec, s[6:7]
	s_cbranch_vccnz .LBB71_2500
; %bb.2498:
	v_cmp_gt_i16_sdwa s[6:7], s27, v3 src0_sel:BYTE_0 src1_sel:DWORD
	s_and_b64 vcc, exec, s[6:7]
	s_cbranch_vccz .LBB71_2501
; %bb.2499:
	global_load_dwordx2 v[12:13], v[24:25], off
	s_mov_b64 s[6:7], 0
	s_branch .LBB71_2502
.LBB71_2500:
	s_mov_b64 s[6:7], -1
                                        ; implicit-def: $vgpr12_vgpr13
	s_branch .LBB71_2505
.LBB71_2501:
	s_mov_b64 s[6:7], -1
                                        ; implicit-def: $vgpr12_vgpr13
.LBB71_2502:
	s_andn2_b64 vcc, exec, s[6:7]
	s_cbranch_vccnz .LBB71_2504
; %bb.2503:
	global_load_dword v3, v[24:25], off
	s_waitcnt vmcnt(0)
	v_cvt_f64_f32_e32 v[12:13], v3
.LBB71_2504:
	s_mov_b64 s[6:7], 0
.LBB71_2505:
	s_andn2_b64 vcc, exec, s[6:7]
	s_cbranch_vccnz .LBB71_2507
; %bb.2506:
	global_load_ushort v3, v[24:25], off
	s_waitcnt vmcnt(0)
	v_cvt_f32_f16_e32 v3, v3
	v_cvt_f64_f32_e32 v[12:13], v3
.LBB71_2507:
	s_mov_b64 s[6:7], 0
.LBB71_2508:
	s_andn2_b64 vcc, exec, s[6:7]
	s_cbranch_vccnz .LBB71_2528
; %bb.2509:
	v_mov_b32_e32 v3, 2
	v_cmp_lt_i16_sdwa s[6:7], s27, v3 src0_sel:BYTE_0 src1_sel:DWORD
	s_and_b64 vcc, exec, s[6:7]
	s_cbranch_vccnz .LBB71_2513
; %bb.2510:
	v_mov_b32_e32 v3, 3
	v_cmp_lt_i16_sdwa s[6:7], s27, v3 src0_sel:BYTE_0 src1_sel:DWORD
	s_and_b64 vcc, exec, s[6:7]
	s_cbranch_vccnz .LBB71_2514
; %bb.2511:
	v_cmp_gt_i16_sdwa s[6:7], s27, v3 src0_sel:BYTE_0 src1_sel:DWORD
	s_and_b64 vcc, exec, s[6:7]
	s_cbranch_vccz .LBB71_2515
; %bb.2512:
	global_load_dwordx2 v[12:13], v[24:25], off
	s_mov_b64 s[6:7], 0
	s_waitcnt vmcnt(0)
	v_cvt_f64_i32_e32 v[26:27], v13
	v_cvt_f64_u32_e32 v[12:13], v12
	v_ldexp_f64 v[26:27], v[26:27], 32
	v_add_f64 v[12:13], v[26:27], v[12:13]
	s_branch .LBB71_2516
.LBB71_2513:
	s_mov_b64 s[6:7], -1
                                        ; implicit-def: $vgpr12_vgpr13
	s_branch .LBB71_2522
.LBB71_2514:
	s_mov_b64 s[6:7], -1
                                        ; implicit-def: $vgpr12_vgpr13
	s_branch .LBB71_2519
.LBB71_2515:
	s_mov_b64 s[6:7], -1
                                        ; implicit-def: $vgpr12_vgpr13
.LBB71_2516:
	s_andn2_b64 vcc, exec, s[6:7]
	s_cbranch_vccnz .LBB71_2518
; %bb.2517:
	global_load_dword v3, v[24:25], off
	s_waitcnt vmcnt(0)
	v_cvt_f64_i32_e32 v[12:13], v3
.LBB71_2518:
	s_mov_b64 s[6:7], 0
.LBB71_2519:
	s_andn2_b64 vcc, exec, s[6:7]
	s_cbranch_vccnz .LBB71_2521
; %bb.2520:
	global_load_sshort v3, v[24:25], off
	s_waitcnt vmcnt(0)
	v_cvt_f64_i32_e32 v[12:13], v3
.LBB71_2521:
	s_mov_b64 s[6:7], 0
.LBB71_2522:
	s_andn2_b64 vcc, exec, s[6:7]
	s_cbranch_vccnz .LBB71_2528
; %bb.2523:
	v_mov_b32_e32 v3, 0
	v_cmp_gt_i16_sdwa s[6:7], s27, v3 src0_sel:BYTE_0 src1_sel:DWORD
	s_and_b64 vcc, exec, s[6:7]
	s_cbranch_vccz .LBB71_2525
; %bb.2524:
	global_load_sbyte v3, v[24:25], off
	s_mov_b64 s[6:7], 0
	s_waitcnt vmcnt(0)
	v_cvt_f64_i32_e32 v[12:13], v3
	s_branch .LBB71_2526
.LBB71_2525:
	s_mov_b64 s[6:7], -1
                                        ; implicit-def: $vgpr12_vgpr13
.LBB71_2526:
	s_andn2_b64 vcc, exec, s[6:7]
	s_cbranch_vccnz .LBB71_2528
; %bb.2527:
	global_load_ubyte v3, v[24:25], off
	s_waitcnt vmcnt(0)
	v_cvt_f64_u32_e32 v[12:13], v3
.LBB71_2528:
	s_mov_b64 s[16:17], -1
.LBB71_2529:
	s_andn2_b64 vcc, exec, s[16:17]
	s_cbranch_vccnz .LBB71_3113
; %bb.2530:
	v_mov_b32_e32 v3, s1
	v_add_co_u32_e32 v24, vcc, s0, v16
	v_addc_co_u32_e32 v25, vcc, 0, v3, vcc
	s_and_b64 vcc, exec, s[2:3]
	s_cbranch_vccnz .LBB71_2537
; %bb.2531:
	v_cmp_gt_i16_e64 s[0:1], s28, 25
	s_mov_b64 s[2:3], 0
	s_and_b64 vcc, exec, s[0:1]
	s_cbranch_vccz .LBB71_2538
; %bb.2532:
	v_cmp_gt_i16_e64 s[0:1], s28, 28
	s_and_b64 vcc, exec, s[0:1]
	s_cbranch_vccz .LBB71_2539
; %bb.2533:
	v_cmp_gt_i16_e64 s[0:1], s28, 43
	;; [unrolled: 4-line block ×3, first 2 shown]
	s_and_b64 vcc, exec, s[0:1]
	s_cbranch_vccz .LBB71_2542
; %bb.2535:
	v_cmp_eq_u16_e64 s[0:1], s28, 46
	s_mov_b64 s[10:11], 0
	s_and_b64 vcc, exec, s[0:1]
	s_cbranch_vccz .LBB71_2543
; %bb.2536:
	global_load_dword v3, v[24:25], off
	s_mov_b64 s[0:1], 0
	s_mov_b64 s[6:7], -1
	s_waitcnt vmcnt(0)
	v_lshlrev_b32_e32 v3, 16, v3
	v_cvt_f64_f32_e32 v[16:17], v3
	s_branch .LBB71_2544
.LBB71_2537:
	s_mov_b64 s[0:1], -1
	s_mov_b64 s[6:7], 0
                                        ; implicit-def: $vgpr16_vgpr17
	s_branch .LBB71_2610
.LBB71_2538:
	s_mov_b64 s[10:11], -1
	s_mov_b64 s[6:7], 0
	s_mov_b64 s[0:1], 0
                                        ; implicit-def: $vgpr16_vgpr17
	s_branch .LBB71_2573
.LBB71_2539:
	s_mov_b64 s[10:11], -1
	s_mov_b64 s[6:7], 0
	s_mov_b64 s[0:1], 0
                                        ; implicit-def: $vgpr16_vgpr17
	s_branch .LBB71_2554
.LBB71_2540:
	s_mov_b64 s[10:11], -1
	s_mov_b64 s[6:7], 0
	s_mov_b64 s[0:1], 0
                                        ; implicit-def: $vgpr16_vgpr17
	s_branch .LBB71_2549
.LBB71_2541:
	s_trap 2
	s_or_b64 s[4:5], s[4:5], exec
                                        ; implicit-def: $vgpr12_vgpr13
	s_cbranch_execz .LBB71_2478
	s_branch .LBB71_2479
.LBB71_2542:
	s_mov_b64 s[10:11], -1
	s_mov_b64 s[6:7], 0
	s_mov_b64 s[0:1], 0
                                        ; implicit-def: $vgpr16_vgpr17
	s_branch .LBB71_2544
.LBB71_2543:
	s_mov_b64 s[0:1], -1
                                        ; implicit-def: $vgpr16_vgpr17
	s_mov_b64 s[6:7], 0
.LBB71_2544:
	s_and_b64 vcc, exec, s[10:11]
	s_cbranch_vccz .LBB71_2548
; %bb.2545:
	v_cmp_eq_u16_e64 s[0:1], s28, 44
	s_and_b64 vcc, exec, s[0:1]
	s_cbranch_vccz .LBB71_2547
; %bb.2546:
	global_load_ubyte v3, v[24:25], off
	s_movk_i32 s6, 0xff
	v_mov_b32_e32 v7, 0x7ff80000
	v_bfrev_b32_e32 v11, 28
	s_mov_b64 s[0:1], 0
	s_waitcnt vmcnt(0)
	v_lshlrev_b32_e32 v15, 23, v3
	v_cvt_f64_f32_e32 v[16:17], v15
	v_cmp_ne_u32_e32 vcc, s6, v3
	v_cndmask_b32_e32 v7, v7, v17, vcc
	v_cmp_ne_u32_e32 vcc, 0, v3
	v_cndmask_b32_e32 v17, v11, v7, vcc
	s_mov_b64 s[6:7], -1
	s_branch .LBB71_2548
.LBB71_2547:
	s_mov_b64 s[0:1], -1
                                        ; implicit-def: $vgpr16_vgpr17
.LBB71_2548:
	s_mov_b64 s[10:11], 0
.LBB71_2549:
	s_and_b64 vcc, exec, s[10:11]
	s_cbranch_vccz .LBB71_2553
; %bb.2550:
	v_cmp_eq_u16_e64 s[0:1], s28, 29
	s_and_b64 vcc, exec, s[0:1]
	s_cbranch_vccz .LBB71_2552
; %bb.2551:
	global_load_dwordx2 v[16:17], v[24:25], off
	s_mov_b64 s[0:1], 0
	s_mov_b64 s[6:7], -1
	s_mov_b64 s[10:11], 0
	s_waitcnt vmcnt(0)
	v_cvt_f64_u32_e32 v[26:27], v17
	v_cvt_f64_u32_e32 v[16:17], v16
	v_ldexp_f64 v[26:27], v[26:27], 32
	v_add_f64 v[16:17], v[26:27], v[16:17]
	s_branch .LBB71_2554
.LBB71_2552:
	s_mov_b64 s[0:1], -1
                                        ; implicit-def: $vgpr16_vgpr17
.LBB71_2553:
	s_mov_b64 s[10:11], 0
.LBB71_2554:
	s_and_b64 vcc, exec, s[10:11]
	s_cbranch_vccz .LBB71_2572
; %bb.2555:
	v_cmp_lt_i16_e64 s[6:7], s28, 27
	s_and_b64 vcc, exec, s[6:7]
	s_cbranch_vccnz .LBB71_2558
; %bb.2556:
	v_cmp_gt_i16_e64 s[6:7], s28, 27
	s_and_b64 vcc, exec, s[6:7]
	s_cbranch_vccz .LBB71_2559
; %bb.2557:
	global_load_dword v3, v[24:25], off
	s_mov_b64 s[6:7], 0
	s_waitcnt vmcnt(0)
	v_cvt_f64_u32_e32 v[16:17], v3
	s_branch .LBB71_2560
.LBB71_2558:
	s_mov_b64 s[6:7], -1
                                        ; implicit-def: $vgpr16_vgpr17
	s_branch .LBB71_2563
.LBB71_2559:
	s_mov_b64 s[6:7], -1
                                        ; implicit-def: $vgpr16_vgpr17
.LBB71_2560:
	s_andn2_b64 vcc, exec, s[6:7]
	s_cbranch_vccnz .LBB71_2562
; %bb.2561:
	global_load_ushort v3, v[24:25], off
	s_waitcnt vmcnt(0)
	v_cvt_f64_u32_e32 v[16:17], v3
.LBB71_2562:
	s_mov_b64 s[6:7], 0
.LBB71_2563:
	s_andn2_b64 vcc, exec, s[6:7]
	s_cbranch_vccnz .LBB71_2571
; %bb.2564:
	global_load_ubyte v3, v[24:25], off
	s_movk_i32 s6, 0x7f
                                        ; implicit-def: $sgpr10_sgpr11
	s_waitcnt vmcnt(0)
	v_cmp_lt_i16_e32 vcc, s6, v3
	s_mov_b64 s[6:7], 0
	s_and_saveexec_b64 s[16:17], vcc
	s_xor_b64 s[16:17], exec, s[16:17]
	s_cbranch_execz .LBB71_2585
; %bb.2565:
	s_movk_i32 s6, 0x80
	v_cmp_eq_u16_e32 vcc, s6, v3
	s_mov_b64 s[18:19], -1
                                        ; implicit-def: $sgpr10_sgpr11
	s_and_saveexec_b64 s[6:7], vcc
; %bb.2566:
	s_mov_b32 s11, 0x7ff80000
	s_brev_b32 s10, 4
	s_xor_b64 s[18:19], exec, -1
; %bb.2567:
	s_or_b64 exec, exec, s[6:7]
	s_and_b64 s[6:7], s[18:19], exec
	s_or_saveexec_b64 s[16:17], s[16:17]
	v_pk_mov_b32 v[16:17], s[10:11], s[10:11] op_sel:[0,1]
	s_xor_b64 exec, exec, s[16:17]
	s_cbranch_execnz .LBB71_2586
.LBB71_2568:
	s_or_b64 exec, exec, s[16:17]
	s_and_saveexec_b64 s[10:11], s[6:7]
	s_cbranch_execz .LBB71_2570
.LBB71_2569:
	v_lshlrev_b32_e32 v7, 24, v3
	v_and_b32_e32 v3, 0xffff, v3
	v_and_b32_e32 v11, 7, v3
	v_ffbh_u32_e32 v16, v11
	v_min_u32_e32 v16, 32, v16
	v_subrev_u32_e32 v17, 28, v16
	v_bfe_u32 v15, v3, 3, 4
	v_lshlrev_b32_e32 v3, v17, v3
	v_sub_u32_e32 v16, 29, v16
	v_and_b32_e32 v3, 7, v3
	v_cmp_eq_u32_e32 vcc, 0, v15
	v_cndmask_b32_e32 v15, v15, v16, vcc
	v_cndmask_b32_e32 v3, v11, v3, vcc
	v_mov_b32_e32 v11, 0x3b800000
	v_lshlrev_b32_e32 v3, 20, v3
	v_and_b32_e32 v7, 0x80000000, v7
	v_lshl_add_u32 v11, v15, 23, v11
	v_or3_b32 v3, v7, v11, v3
	v_cvt_f64_f32_e32 v[16:17], v3
.LBB71_2570:
	s_or_b64 exec, exec, s[10:11]
.LBB71_2571:
	s_mov_b64 s[6:7], -1
.LBB71_2572:
	s_mov_b64 s[10:11], 0
.LBB71_2573:
	s_and_b64 vcc, exec, s[10:11]
	s_cbranch_vccz .LBB71_2606
; %bb.2574:
	v_cmp_gt_i16_e64 s[2:3], s28, 22
	s_and_b64 vcc, exec, s[2:3]
	s_cbranch_vccz .LBB71_2584
; %bb.2575:
	v_cmp_lt_i16_e64 s[2:3], s28, 24
	s_and_b64 vcc, exec, s[2:3]
	s_cbranch_vccnz .LBB71_2587
; %bb.2576:
	v_cmp_gt_i16_e64 s[2:3], s28, 24
	s_and_b64 vcc, exec, s[2:3]
	s_cbranch_vccz .LBB71_2588
; %bb.2577:
	global_load_ubyte v3, v[24:25], off
	s_movk_i32 s2, 0x7f
                                        ; implicit-def: $sgpr6_sgpr7
	s_waitcnt vmcnt(0)
	v_cmp_lt_i16_e32 vcc, s2, v3
	s_mov_b64 s[2:3], 0
	s_and_saveexec_b64 s[10:11], vcc
	s_xor_b64 s[10:11], exec, s[10:11]
	s_cbranch_execz .LBB71_2600
; %bb.2578:
	s_movk_i32 s2, 0x80
	v_cmp_eq_u16_e32 vcc, s2, v3
	s_mov_b64 s[16:17], -1
                                        ; implicit-def: $sgpr6_sgpr7
	s_and_saveexec_b64 s[2:3], vcc
; %bb.2579:
	s_mov_b32 s7, 0x7ff80000
	s_brev_b32 s6, 4
	s_xor_b64 s[16:17], exec, -1
; %bb.2580:
	s_or_b64 exec, exec, s[2:3]
	s_and_b64 s[2:3], s[16:17], exec
	s_or_saveexec_b64 s[10:11], s[10:11]
	v_pk_mov_b32 v[16:17], s[6:7], s[6:7] op_sel:[0,1]
	s_xor_b64 exec, exec, s[10:11]
	s_cbranch_execnz .LBB71_2601
.LBB71_2581:
	s_or_b64 exec, exec, s[10:11]
	s_and_saveexec_b64 s[6:7], s[2:3]
	s_cbranch_execz .LBB71_2583
.LBB71_2582:
	v_lshlrev_b32_e32 v7, 24, v3
	v_and_b32_e32 v3, 0xffff, v3
	v_and_b32_e32 v11, 3, v3
	v_ffbh_u32_e32 v16, v11
	v_min_u32_e32 v16, 32, v16
	v_subrev_u32_e32 v17, 29, v16
	v_bfe_u32 v15, v3, 2, 5
	v_lshlrev_b32_e32 v3, v17, v3
	v_sub_u32_e32 v16, 30, v16
	v_and_b32_e32 v3, 3, v3
	v_cmp_eq_u32_e32 vcc, 0, v15
	v_cndmask_b32_e32 v15, v15, v16, vcc
	v_cndmask_b32_e32 v3, v11, v3, vcc
	v_mov_b32_e32 v11, 0x37800000
	v_lshlrev_b32_e32 v3, 21, v3
	v_and_b32_e32 v7, 0x80000000, v7
	v_lshl_add_u32 v11, v15, 23, v11
	v_or3_b32 v3, v7, v11, v3
	v_cvt_f64_f32_e32 v[16:17], v3
.LBB71_2583:
	s_or_b64 exec, exec, s[6:7]
	s_mov_b64 s[2:3], 0
	s_branch .LBB71_2589
.LBB71_2584:
	s_mov_b64 s[2:3], -1
                                        ; implicit-def: $vgpr16_vgpr17
	s_branch .LBB71_2595
.LBB71_2585:
	s_or_saveexec_b64 s[16:17], s[16:17]
	v_pk_mov_b32 v[16:17], s[10:11], s[10:11] op_sel:[0,1]
	s_xor_b64 exec, exec, s[16:17]
	s_cbranch_execz .LBB71_2568
.LBB71_2586:
	v_cmp_ne_u16_e32 vcc, 0, v3
	s_andn2_b64 s[6:7], s[6:7], exec
	s_and_b64 s[10:11], vcc, exec
	v_pk_mov_b32 v[16:17], 0, 0
	s_or_b64 s[6:7], s[6:7], s[10:11]
	s_or_b64 exec, exec, s[16:17]
	s_and_saveexec_b64 s[10:11], s[6:7]
	s_cbranch_execnz .LBB71_2569
	s_branch .LBB71_2570
.LBB71_2587:
	s_mov_b64 s[2:3], -1
                                        ; implicit-def: $vgpr16_vgpr17
	s_branch .LBB71_2592
.LBB71_2588:
	s_mov_b64 s[2:3], -1
                                        ; implicit-def: $vgpr16_vgpr17
.LBB71_2589:
	s_and_b64 vcc, exec, s[2:3]
	s_cbranch_vccz .LBB71_2591
; %bb.2590:
	global_load_ubyte v3, v[24:25], off
	s_mov_b32 s2, 0x7f800000
	s_waitcnt vmcnt(0)
	v_lshlrev_b32_e32 v3, 24, v3
	v_and_b32_e32 v7, 0x7f000000, v3
	v_ffbh_u32_e32 v11, v7
	v_min_u32_e32 v11, 32, v11
	v_sub_u32_e64 v11, v11, 4 clamp
	v_lshlrev_b32_e32 v16, v11, v7
	v_lshlrev_b32_e32 v11, 23, v11
	v_lshrrev_b32_e32 v16, 4, v16
	v_add_u32_e32 v15, 0x1000000, v7
	v_sub_u32_e32 v11, v16, v11
	v_ashrrev_i32_e32 v15, 8, v15
	v_add_u32_e32 v11, 0x3c000000, v11
	v_and_or_b32 v11, v15, s2, v11
	v_cmp_ne_u32_e32 vcc, 0, v7
	v_cndmask_b32_e32 v7, 0, v11, vcc
	s_brev_b32 s2, 1
	v_and_or_b32 v3, v3, s2, v7
	v_cvt_f64_f32_e32 v[16:17], v3
.LBB71_2591:
	s_mov_b64 s[2:3], 0
.LBB71_2592:
	s_andn2_b64 vcc, exec, s[2:3]
	s_cbranch_vccnz .LBB71_2594
; %bb.2593:
	global_load_ubyte v3, v[24:25], off
	s_movk_i32 s2, 0x7f00
	s_brev_b32 s3, 16
	s_waitcnt vmcnt(0)
	v_lshlrev_b16_e32 v7, 8, v3
	v_lshlrev_b32_e32 v3, 25, v3
	v_lshrrev_b32_e32 v11, 4, v3
	v_and_or_b32 v15, v7, s2, 0.5
	v_or_b32_e32 v11, 0x70000000, v11
	v_add_f32_e32 v15, -0.5, v15
	v_mul_f32_e32 v11, 0x7800000, v11
	v_cmp_gt_u32_e32 vcc, s3, v3
	v_bfe_i32 v7, v7, 0, 16
	v_cndmask_b32_e32 v3, v11, v15, vcc
	s_brev_b32 s2, 1
	v_and_or_b32 v3, v7, s2, v3
	v_cvt_f64_f32_e32 v[16:17], v3
.LBB71_2594:
	s_mov_b64 s[2:3], 0
	s_mov_b64 s[6:7], -1
.LBB71_2595:
	s_andn2_b64 vcc, exec, s[2:3]
	s_mov_b64 s[2:3], 0
	s_cbranch_vccnz .LBB71_2606
; %bb.2596:
	v_cmp_gt_i16_e64 s[2:3], s28, 14
	s_and_b64 vcc, exec, s[2:3]
	s_cbranch_vccz .LBB71_2599
; %bb.2597:
	v_cmp_eq_u16_e64 s[0:1], s28, 15
	s_and_b64 vcc, exec, s[0:1]
	s_cbranch_vccz .LBB71_2602
; %bb.2598:
	global_load_ushort v3, v[24:25], off
	s_mov_b64 s[0:1], 0
	s_mov_b64 s[6:7], -1
	s_waitcnt vmcnt(0)
	v_lshlrev_b32_e32 v3, 16, v3
	v_cvt_f64_f32_e32 v[16:17], v3
	s_branch .LBB71_2603
.LBB71_2599:
	s_mov_b64 s[10:11], -1
                                        ; implicit-def: $vgpr16_vgpr17
	s_branch .LBB71_2604
.LBB71_2600:
	s_or_saveexec_b64 s[10:11], s[10:11]
	v_pk_mov_b32 v[16:17], s[6:7], s[6:7] op_sel:[0,1]
	s_xor_b64 exec, exec, s[10:11]
	s_cbranch_execz .LBB71_2581
.LBB71_2601:
	v_cmp_ne_u16_e32 vcc, 0, v3
	s_andn2_b64 s[2:3], s[2:3], exec
	s_and_b64 s[6:7], vcc, exec
	v_pk_mov_b32 v[16:17], 0, 0
	s_or_b64 s[2:3], s[2:3], s[6:7]
	s_or_b64 exec, exec, s[10:11]
	s_and_saveexec_b64 s[6:7], s[2:3]
	s_cbranch_execnz .LBB71_2582
	s_branch .LBB71_2583
.LBB71_2602:
	s_mov_b64 s[0:1], -1
                                        ; implicit-def: $vgpr16_vgpr17
.LBB71_2603:
	s_mov_b64 s[10:11], 0
.LBB71_2604:
	s_mov_b64 s[2:3], 0
	s_and_b64 vcc, exec, s[10:11]
	s_cbranch_vccz .LBB71_2606
; %bb.2605:
	v_cmp_ne_u16_e64 s[0:1], s28, 11
	s_mov_b64 s[2:3], -1
                                        ; implicit-def: $vgpr16_vgpr17
.LBB71_2606:
	s_and_b64 vcc, exec, s[0:1]
	s_cbranch_vccnz .LBB71_2670
; %bb.2607:
	s_andn2_b64 vcc, exec, s[2:3]
	s_cbranch_vccnz .LBB71_2609
.LBB71_2608:
	global_load_ubyte v3, v[24:25], off
	v_mov_b32_e32 v7, 0x3ff00000
	s_mov_b64 s[6:7], -1
	s_waitcnt vmcnt(0)
	v_cmp_ne_u16_e32 vcc, 0, v3
	v_cndmask_b32_e32 v17, 0, v7, vcc
.LBB71_2609:
	s_mov_b64 s[0:1], 0
.LBB71_2610:
	s_and_b64 vcc, exec, s[0:1]
	s_cbranch_vccz .LBB71_2659
; %bb.2611:
	v_cmp_lt_i16_e64 s[0:1], s28, 5
	s_and_b64 vcc, exec, s[0:1]
	s_cbranch_vccnz .LBB71_2616
; %bb.2612:
	v_cmp_lt_i16_e64 s[0:1], s28, 8
	s_and_b64 vcc, exec, s[0:1]
	s_cbranch_vccnz .LBB71_2617
	;; [unrolled: 4-line block ×3, first 2 shown]
; %bb.2614:
	v_cmp_gt_i16_e64 s[0:1], s28, 9
	s_and_b64 vcc, exec, s[0:1]
	s_cbranch_vccz .LBB71_2619
; %bb.2615:
	global_load_dwordx2 v[16:17], v[24:25], off
	s_mov_b64 s[0:1], 0
	s_branch .LBB71_2620
.LBB71_2616:
	s_mov_b64 s[0:1], -1
                                        ; implicit-def: $vgpr16_vgpr17
	s_branch .LBB71_2638
.LBB71_2617:
	s_mov_b64 s[0:1], -1
                                        ; implicit-def: $vgpr16_vgpr17
	s_branch .LBB71_2626
.LBB71_2618:
	s_mov_b64 s[0:1], -1
                                        ; implicit-def: $vgpr16_vgpr17
	s_branch .LBB71_2623
.LBB71_2619:
	s_mov_b64 s[0:1], -1
                                        ; implicit-def: $vgpr16_vgpr17
.LBB71_2620:
	s_andn2_b64 vcc, exec, s[0:1]
	s_cbranch_vccnz .LBB71_2622
; %bb.2621:
	global_load_dword v3, v[24:25], off
	s_waitcnt vmcnt(0)
	v_cvt_f64_f32_e32 v[16:17], v3
.LBB71_2622:
	s_mov_b64 s[0:1], 0
.LBB71_2623:
	s_andn2_b64 vcc, exec, s[0:1]
	s_cbranch_vccnz .LBB71_2625
; %bb.2624:
	global_load_dword v3, v[24:25], off
	s_waitcnt vmcnt(0)
	v_cvt_f32_f16_e32 v3, v3
	v_cvt_f64_f32_e32 v[16:17], v3
.LBB71_2625:
	s_mov_b64 s[0:1], 0
.LBB71_2626:
	s_andn2_b64 vcc, exec, s[0:1]
	s_cbranch_vccnz .LBB71_2637
; %bb.2627:
	v_cmp_lt_i16_e64 s[0:1], s28, 6
	s_and_b64 vcc, exec, s[0:1]
	s_cbranch_vccnz .LBB71_2630
; %bb.2628:
	v_cmp_gt_i16_e64 s[0:1], s28, 6
	s_and_b64 vcc, exec, s[0:1]
	s_cbranch_vccz .LBB71_2631
; %bb.2629:
	global_load_dwordx2 v[16:17], v[24:25], off
	s_mov_b64 s[0:1], 0
	s_branch .LBB71_2632
.LBB71_2630:
	s_mov_b64 s[0:1], -1
                                        ; implicit-def: $vgpr16_vgpr17
	s_branch .LBB71_2635
.LBB71_2631:
	s_mov_b64 s[0:1], -1
                                        ; implicit-def: $vgpr16_vgpr17
.LBB71_2632:
	s_andn2_b64 vcc, exec, s[0:1]
	s_cbranch_vccnz .LBB71_2634
; %bb.2633:
	global_load_dword v3, v[24:25], off
	s_waitcnt vmcnt(0)
	v_cvt_f64_f32_e32 v[16:17], v3
.LBB71_2634:
	s_mov_b64 s[0:1], 0
.LBB71_2635:
	s_andn2_b64 vcc, exec, s[0:1]
	s_cbranch_vccnz .LBB71_2637
; %bb.2636:
	global_load_ushort v3, v[24:25], off
	s_waitcnt vmcnt(0)
	v_cvt_f32_f16_e32 v3, v3
	v_cvt_f64_f32_e32 v[16:17], v3
.LBB71_2637:
	s_mov_b64 s[0:1], 0
.LBB71_2638:
	s_andn2_b64 vcc, exec, s[0:1]
	s_cbranch_vccnz .LBB71_2658
; %bb.2639:
	v_cmp_lt_i16_e64 s[0:1], s28, 2
	s_and_b64 vcc, exec, s[0:1]
	s_cbranch_vccnz .LBB71_2643
; %bb.2640:
	v_cmp_lt_i16_e64 s[0:1], s28, 3
	s_and_b64 vcc, exec, s[0:1]
	s_cbranch_vccnz .LBB71_2644
; %bb.2641:
	v_cmp_gt_i16_e64 s[0:1], s28, 3
	s_and_b64 vcc, exec, s[0:1]
	s_cbranch_vccz .LBB71_2645
; %bb.2642:
	global_load_dwordx2 v[16:17], v[24:25], off
	s_mov_b64 s[0:1], 0
	s_waitcnt vmcnt(0)
	v_cvt_f64_i32_e32 v[26:27], v17
	v_cvt_f64_u32_e32 v[16:17], v16
	v_ldexp_f64 v[26:27], v[26:27], 32
	v_add_f64 v[16:17], v[26:27], v[16:17]
	s_branch .LBB71_2646
.LBB71_2643:
	s_mov_b64 s[0:1], -1
                                        ; implicit-def: $vgpr16_vgpr17
	s_branch .LBB71_2652
.LBB71_2644:
	s_mov_b64 s[0:1], -1
                                        ; implicit-def: $vgpr16_vgpr17
	s_branch .LBB71_2649
.LBB71_2645:
	s_mov_b64 s[0:1], -1
                                        ; implicit-def: $vgpr16_vgpr17
.LBB71_2646:
	s_andn2_b64 vcc, exec, s[0:1]
	s_cbranch_vccnz .LBB71_2648
; %bb.2647:
	global_load_dword v3, v[24:25], off
	s_waitcnt vmcnt(0)
	v_cvt_f64_i32_e32 v[16:17], v3
.LBB71_2648:
	s_mov_b64 s[0:1], 0
.LBB71_2649:
	s_andn2_b64 vcc, exec, s[0:1]
	s_cbranch_vccnz .LBB71_2651
; %bb.2650:
	global_load_sshort v3, v[24:25], off
	s_waitcnt vmcnt(0)
	v_cvt_f64_i32_e32 v[16:17], v3
.LBB71_2651:
	s_mov_b64 s[0:1], 0
.LBB71_2652:
	s_andn2_b64 vcc, exec, s[0:1]
	s_cbranch_vccnz .LBB71_2658
; %bb.2653:
	v_cmp_gt_i16_e64 s[0:1], s28, 0
	s_and_b64 vcc, exec, s[0:1]
	s_cbranch_vccz .LBB71_2655
; %bb.2654:
	global_load_sbyte v3, v[24:25], off
	s_mov_b64 s[0:1], 0
	s_waitcnt vmcnt(0)
	v_cvt_f64_i32_e32 v[16:17], v3
	s_branch .LBB71_2656
.LBB71_2655:
	s_mov_b64 s[0:1], -1
                                        ; implicit-def: $vgpr16_vgpr17
.LBB71_2656:
	s_andn2_b64 vcc, exec, s[0:1]
	s_cbranch_vccnz .LBB71_2658
; %bb.2657:
	global_load_ubyte v3, v[24:25], off
	s_waitcnt vmcnt(0)
	v_cvt_f64_u32_e32 v[16:17], v3
.LBB71_2658:
	s_mov_b64 s[6:7], -1
.LBB71_2659:
	s_andn2_b64 vcc, exec, s[6:7]
	s_cbranch_vccnz .LBB71_3113
; %bb.2660:
	s_lshr_b32 s18, s26, 8
	s_brev_b32 s0, -2
	v_mov_b32_e32 v3, s9
	s_waitcnt vmcnt(0)
	v_add_co_u32_e32 v18, vcc, s8, v2
	v_mov_b32_e32 v2, 11
	v_bfi_b32 v1, s0, v1, v19
	v_addc_co_u32_e32 v19, vcc, 0, v3, vcc
	v_cmp_lt_i16_sdwa s[0:1], s18, v2 src0_sel:BYTE_0 src1_sel:DWORD
	s_and_b64 vcc, exec, s[0:1]
	s_cbranch_vccnz .LBB71_2667
; %bb.2661:
	v_mov_b32_e32 v2, 25
	v_cmp_gt_i16_sdwa s[0:1], s18, v2 src0_sel:BYTE_0 src1_sel:DWORD
	s_mov_b64 s[10:11], -1
	s_mov_b64 s[2:3], 0
	s_and_b64 vcc, exec, s[0:1]
	s_mov_b64 s[6:7], 0
	s_mov_b64 s[0:1], 0
	s_cbranch_vccz .LBB71_2699
; %bb.2662:
	v_mov_b32_e32 v2, 28
	v_cmp_gt_i16_sdwa s[0:1], s18, v2 src0_sel:BYTE_0 src1_sel:DWORD
	s_and_b64 vcc, exec, s[0:1]
	s_cbranch_vccz .LBB71_2668
; %bb.2663:
	v_mov_b32_e32 v2, 43
	v_cmp_gt_i16_sdwa s[0:1], s18, v2 src0_sel:BYTE_0 src1_sel:DWORD
	s_and_b64 vcc, exec, s[0:1]
	;; [unrolled: 5-line block ×3, first 2 shown]
	s_cbranch_vccz .LBB71_2671
; %bb.2665:
	v_mov_b32_e32 v2, 46
	v_cmp_eq_u16_sdwa s[6:7], s18, v2 src0_sel:BYTE_0 src1_sel:DWORD
	s_mov_b64 s[0:1], -1
	s_mov_b64 s[10:11], 0
	s_and_b64 vcc, exec, s[6:7]
	s_mov_b64 s[6:7], 0
	s_cbranch_vccz .LBB71_2672
; %bb.2666:
	v_cvt_f32_f64_e32 v2, v[0:1]
	v_bfe_u32 v3, v2, 16, 1
	s_movk_i32 s0, 0x7fff
	v_add3_u32 v3, v2, v3, s0
	v_lshrrev_b32_e32 v3, 16, v3
	v_mov_b32_e32 v7, 0x7fc0
	v_cmp_o_f32_e32 vcc, v2, v2
	v_cndmask_b32_e32 v2, v7, v3, vcc
	global_store_dword v[18:19], v2, off
	s_mov_b64 s[0:1], 0
	s_mov_b64 s[6:7], -1
	s_branch .LBB71_2672
.LBB71_2667:
	s_mov_b64 s[0:1], -1
	s_mov_b64 s[6:7], 0
	s_branch .LBB71_2743
.LBB71_2668:
	s_mov_b64 s[0:1], 0
	s_branch .LBB71_2682
.LBB71_2669:
	s_mov_b64 s[0:1], 0
	s_branch .LBB71_2678
.LBB71_2670:
	s_trap 2
	s_or_b64 s[4:5], s[4:5], exec
                                        ; implicit-def: $vgpr16_vgpr17
	s_cbranch_execz .LBB71_2608
	s_branch .LBB71_2609
.LBB71_2671:
	s_mov_b64 s[0:1], 0
.LBB71_2672:
	s_and_b64 vcc, exec, s[10:11]
	s_cbranch_vccz .LBB71_2677
; %bb.2673:
	v_mov_b32_e32 v2, 44
	v_cmp_eq_u16_sdwa s[10:11], s18, v2 src0_sel:BYTE_0 src1_sel:DWORD
	s_mov_b64 s[0:1], -1
	s_and_b64 vcc, exec, s[10:11]
	s_cbranch_vccz .LBB71_2677
; %bb.2674:
	v_cvt_f32_f64_e32 v2, v[0:1]
	v_bfe_u32 v3, v2, 23, 8
	s_movk_i32 s0, 0xff
	v_cmp_ne_u32_e32 vcc, s0, v3
	v_mov_b32_e32 v7, 0xff
	s_and_saveexec_b64 s[6:7], vcc
; %bb.2675:
	s_mov_b32 s0, 0x3fffff
	v_lshrrev_b32_e32 v7, 23, v2
	v_and_b32_e32 v11, 0x400000, v2
	v_and_or_b32 v2, v2, s0, v3
	v_cmp_ne_u32_e32 vcc, 0, v11
	v_cmp_ne_u32_e64 s[0:1], 0, v2
	s_and_b64 s[0:1], vcc, s[0:1]
	v_cndmask_b32_e64 v2, 0, 1, s[0:1]
	v_add_u32_e32 v7, v7, v2
; %bb.2676:
	s_or_b64 exec, exec, s[6:7]
	s_mov_b64 s[0:1], 0
	s_mov_b64 s[6:7], -1
	global_store_byte v[18:19], v7, off
.LBB71_2677:
	s_mov_b64 s[10:11], 0
.LBB71_2678:
	s_and_b64 vcc, exec, s[10:11]
	s_cbranch_vccz .LBB71_2681
; %bb.2679:
	v_mov_b32_e32 v2, 29
	v_cmp_eq_u16_sdwa s[10:11], s18, v2 src0_sel:BYTE_0 src1_sel:DWORD
	s_mov_b64 s[0:1], -1
	s_and_b64 vcc, exec, s[10:11]
	s_cbranch_vccz .LBB71_2681
; %bb.2680:
	v_trunc_f64_e32 v[2:3], v[0:1]
	s_movk_i32 s0, 0xffe0
	v_ldexp_f64 v[24:25], v[2:3], s0
	v_floor_f64_e32 v[24:25], v[24:25]
	v_fmac_f64_e32 v[2:3], 0xc1f00000, v[24:25]
	v_cvt_u32_f64_e32 v27, v[24:25]
	v_cvt_u32_f64_e32 v26, v[2:3]
	global_store_dwordx2 v[18:19], v[26:27], off
	s_mov_b64 s[0:1], 0
	s_mov_b64 s[6:7], -1
.LBB71_2681:
	s_mov_b64 s[10:11], 0
.LBB71_2682:
	s_and_b64 vcc, exec, s[10:11]
	s_cbranch_vccz .LBB71_2698
; %bb.2683:
	v_mov_b32_e32 v2, 27
	v_cmp_lt_i16_sdwa s[10:11], s18, v2 src0_sel:BYTE_0 src1_sel:DWORD
	s_mov_b64 s[6:7], -1
	s_and_b64 vcc, exec, s[10:11]
	s_cbranch_vccnz .LBB71_2689
; %bb.2684:
	v_cmp_gt_i16_sdwa s[10:11], s18, v2 src0_sel:BYTE_0 src1_sel:DWORD
	s_and_b64 vcc, exec, s[10:11]
	v_cvt_u32_f64_e32 v2, v[0:1]
	s_cbranch_vccz .LBB71_2686
; %bb.2685:
	s_mov_b64 s[6:7], 0
	global_store_dword v[18:19], v2, off
.LBB71_2686:
	s_andn2_b64 vcc, exec, s[6:7]
	s_cbranch_vccnz .LBB71_2688
; %bb.2687:
	global_store_short v[18:19], v2, off
.LBB71_2688:
	s_mov_b64 s[6:7], 0
.LBB71_2689:
	s_andn2_b64 vcc, exec, s[6:7]
	s_cbranch_vccnz .LBB71_2697
; %bb.2690:
	v_cvt_f32_f64_e32 v2, v[0:1]
	v_and_b32_e32 v3, 0x7fffffff, v2
	s_mov_b32 s6, 0x43800000
	v_cmp_gt_u32_e32 vcc, s6, v3
	v_mov_b32_e32 v7, 0x80
	s_and_saveexec_b64 s[6:7], vcc
	s_cbranch_execz .LBB71_2696
; %bb.2691:
	s_mov_b32 s10, 0x3bffffff
	v_cmp_lt_u32_e32 vcc, s10, v3
	s_mov_b64 s[10:11], 0
                                        ; implicit-def: $vgpr3
	s_and_saveexec_b64 s[16:17], vcc
	s_xor_b64 s[16:17], exec, s[16:17]
	s_cbranch_execz .LBB71_2792
; %bb.2692:
	v_bfe_u32 v3, v2, 20, 1
	s_mov_b32 s19, 0x487ffff
	v_add3_u32 v3, v2, v3, s19
	s_mov_b64 s[10:11], exec
	v_lshrrev_b32_e32 v3, 20, v3
	s_or_saveexec_b64 s[16:17], s[16:17]
                                        ; implicit-def: $sgpr19
	s_xor_b64 exec, exec, s[16:17]
	s_cbranch_execnz .LBB71_2793
.LBB71_2693:
	s_or_b64 exec, exec, s[16:17]
	v_mov_b32_e32 v7, s19
	s_and_saveexec_b64 s[16:17], s[10:11]
.LBB71_2694:
	v_lshrrev_b32_e32 v2, 24, v2
	s_movk_i32 s10, 0x80
	v_and_or_b32 v7, v2, s10, v3
.LBB71_2695:
	s_or_b64 exec, exec, s[16:17]
.LBB71_2696:
	s_or_b64 exec, exec, s[6:7]
	global_store_byte v[18:19], v7, off
.LBB71_2697:
	s_mov_b64 s[6:7], -1
.LBB71_2698:
	s_mov_b64 s[10:11], 0
.LBB71_2699:
	s_and_b64 vcc, exec, s[10:11]
	s_cbranch_vccz .LBB71_2739
; %bb.2700:
	v_mov_b32_e32 v2, 22
	v_cmp_gt_i16_sdwa s[10:11], s18, v2 src0_sel:BYTE_0 src1_sel:DWORD
	s_mov_b64 s[2:3], -1
	s_and_b64 vcc, exec, s[10:11]
	s_cbranch_vccz .LBB71_2732
; %bb.2701:
	v_mov_b32_e32 v2, 24
	v_cmp_lt_i16_sdwa s[6:7], s18, v2 src0_sel:BYTE_0 src1_sel:DWORD
	s_and_b64 vcc, exec, s[6:7]
	s_cbranch_vccnz .LBB71_2721
; %bb.2702:
	v_cmp_gt_i16_sdwa s[6:7], s18, v2 src0_sel:BYTE_0 src1_sel:DWORD
	s_and_b64 vcc, exec, s[6:7]
	s_cbranch_vccz .LBB71_2710
; %bb.2703:
	v_cvt_f32_f64_e32 v2, v[0:1]
	v_and_b32_e32 v3, 0x7fffffff, v2
	s_mov_b32 s2, 0x47800000
	v_cmp_gt_u32_e32 vcc, s2, v3
	v_mov_b32_e32 v7, 0x80
	s_and_saveexec_b64 s[2:3], vcc
	s_cbranch_execz .LBB71_2709
; %bb.2704:
	s_mov_b32 s6, 0x37ffffff
	v_cmp_lt_u32_e32 vcc, s6, v3
	s_mov_b64 s[6:7], 0
                                        ; implicit-def: $vgpr3
	s_and_saveexec_b64 s[10:11], vcc
	s_xor_b64 s[10:11], exec, s[10:11]
	s_cbranch_execz .LBB71_2796
; %bb.2705:
	v_bfe_u32 v3, v2, 21, 1
	s_mov_b32 s16, 0x88fffff
	v_add3_u32 v3, v2, v3, s16
	s_mov_b64 s[6:7], exec
	v_lshrrev_b32_e32 v3, 21, v3
	s_or_saveexec_b64 s[10:11], s[10:11]
                                        ; implicit-def: $sgpr16
	s_xor_b64 exec, exec, s[10:11]
	s_cbranch_execnz .LBB71_2797
.LBB71_2706:
	s_or_b64 exec, exec, s[10:11]
	v_mov_b32_e32 v7, s16
	s_and_saveexec_b64 s[10:11], s[6:7]
.LBB71_2707:
	v_lshrrev_b32_e32 v2, 24, v2
	s_movk_i32 s6, 0x80
	v_and_or_b32 v7, v2, s6, v3
.LBB71_2708:
	s_or_b64 exec, exec, s[10:11]
.LBB71_2709:
	s_or_b64 exec, exec, s[2:3]
	s_mov_b64 s[2:3], 0
	global_store_byte v[18:19], v7, off
.LBB71_2710:
	s_and_b64 vcc, exec, s[2:3]
	s_cbranch_vccz .LBB71_2720
; %bb.2711:
	v_cvt_f32_f64_e32 v2, v[0:1]
	v_and_b32_e32 v7, 0x7fffffff, v2
	s_mov_b32 s2, 0x43f00000
	v_cmp_gt_u32_e32 vcc, s2, v7
                                        ; implicit-def: $vgpr3
	s_and_saveexec_b64 s[2:3], vcc
	s_xor_b64 s[2:3], exec, s[2:3]
	s_cbranch_execz .LBB71_2717
; %bb.2712:
	s_mov_b32 s6, 0x3c7fffff
	v_cmp_lt_u32_e32 vcc, s6, v7
                                        ; implicit-def: $vgpr3
	s_and_saveexec_b64 s[6:7], vcc
	s_xor_b64 s[6:7], exec, s[6:7]
; %bb.2713:
	v_bfe_u32 v3, v2, 20, 1
	s_mov_b32 s10, 0x407ffff
	v_add3_u32 v3, v2, v3, s10
	v_lshrrev_b32_e32 v7, 20, v3
	v_and_b32_e32 v3, 0xff00000, v3
	s_mov_b32 s10, 0x7f00000
	v_mov_b32_e32 v11, 0x7e
	v_cmp_ne_u32_e32 vcc, s10, v3
	v_cndmask_b32_e32 v3, v11, v7, vcc
; %bb.2714:
	s_andn2_saveexec_b64 s[6:7], s[6:7]
; %bb.2715:
	s_mov_b32 s10, 0x46800000
	v_add_f32_e64 v3, |v2|, s10
; %bb.2716:
	s_or_b64 exec, exec, s[6:7]
                                        ; implicit-def: $vgpr7
.LBB71_2717:
	s_andn2_saveexec_b64 s[2:3], s[2:3]
; %bb.2718:
	s_mov_b32 s6, 0x7f800000
	v_mov_b32_e32 v3, 0x7e
	v_mov_b32_e32 v11, 0x7f
	v_cmp_lt_u32_e32 vcc, s6, v7
	v_cndmask_b32_e32 v3, v3, v11, vcc
; %bb.2719:
	s_or_b64 exec, exec, s[2:3]
	v_lshrrev_b32_e32 v2, 24, v2
	s_movk_i32 s2, 0x80
	v_and_or_b32 v2, v2, s2, v3
	global_store_byte v[18:19], v2, off
.LBB71_2720:
	s_mov_b64 s[2:3], 0
.LBB71_2721:
	s_andn2_b64 vcc, exec, s[2:3]
	s_cbranch_vccnz .LBB71_2731
; %bb.2722:
	v_cvt_f32_f64_e32 v2, v[0:1]
	v_and_b32_e32 v7, 0x7fffffff, v2
	s_mov_b32 s2, 0x47800000
	v_cmp_gt_u32_e32 vcc, s2, v7
                                        ; implicit-def: $vgpr3
	s_and_saveexec_b64 s[2:3], vcc
	s_xor_b64 s[2:3], exec, s[2:3]
	s_cbranch_execz .LBB71_2728
; %bb.2723:
	s_mov_b32 s6, 0x387fffff
	v_cmp_lt_u32_e32 vcc, s6, v7
                                        ; implicit-def: $vgpr3
	s_and_saveexec_b64 s[6:7], vcc
	s_xor_b64 s[6:7], exec, s[6:7]
; %bb.2724:
	v_bfe_u32 v3, v2, 21, 1
	s_mov_b32 s10, 0x80fffff
	v_add3_u32 v3, v2, v3, s10
	v_lshrrev_b32_e32 v3, 21, v3
; %bb.2725:
	s_andn2_saveexec_b64 s[6:7], s[6:7]
; %bb.2726:
	s_mov_b32 s10, 0x43000000
	v_add_f32_e64 v3, |v2|, s10
; %bb.2727:
	s_or_b64 exec, exec, s[6:7]
                                        ; implicit-def: $vgpr7
.LBB71_2728:
	s_andn2_saveexec_b64 s[2:3], s[2:3]
; %bb.2729:
	s_mov_b32 s6, 0x7f800000
	v_mov_b32_e32 v3, 0x7c
	v_mov_b32_e32 v11, 0x7f
	v_cmp_lt_u32_e32 vcc, s6, v7
	v_cndmask_b32_e32 v3, v3, v11, vcc
; %bb.2730:
	s_or_b64 exec, exec, s[2:3]
	v_lshrrev_b32_e32 v2, 24, v2
	s_movk_i32 s2, 0x80
	v_and_or_b32 v2, v2, s2, v3
	global_store_byte v[18:19], v2, off
.LBB71_2731:
	s_mov_b64 s[2:3], 0
	s_mov_b64 s[6:7], -1
.LBB71_2732:
	s_andn2_b64 vcc, exec, s[2:3]
	s_mov_b64 s[2:3], 0
	s_cbranch_vccnz .LBB71_2739
; %bb.2733:
	v_mov_b32_e32 v2, 14
	v_cmp_gt_i16_sdwa s[2:3], s18, v2 src0_sel:BYTE_0 src1_sel:DWORD
	s_mov_b64 s[10:11], -1
	s_and_b64 vcc, exec, s[2:3]
	s_cbranch_vccz .LBB71_2737
; %bb.2734:
	v_mov_b32_e32 v2, 15
	v_cmp_eq_u16_sdwa s[2:3], s18, v2 src0_sel:BYTE_0 src1_sel:DWORD
	s_mov_b64 s[0:1], -1
	s_and_b64 vcc, exec, s[2:3]
	s_cbranch_vccz .LBB71_2736
; %bb.2735:
	v_cvt_f32_f64_e32 v2, v[0:1]
	v_bfe_u32 v3, v2, 16, 1
	s_movk_i32 s0, 0x7fff
	v_add3_u32 v3, v2, v3, s0
	v_lshrrev_b32_e32 v3, 16, v3
	v_mov_b32_e32 v7, 0x7fc0
	v_cmp_o_f32_e32 vcc, v2, v2
	v_cndmask_b32_e32 v2, v7, v3, vcc
	global_store_short v[18:19], v2, off
	s_mov_b64 s[0:1], 0
	s_mov_b64 s[6:7], -1
.LBB71_2736:
	s_mov_b64 s[10:11], 0
.LBB71_2737:
	s_mov_b64 s[2:3], 0
	s_and_b64 vcc, exec, s[10:11]
	s_cbranch_vccz .LBB71_2739
; %bb.2738:
	v_mov_b32_e32 v2, 11
	v_cmp_ne_u16_sdwa s[0:1], s18, v2 src0_sel:BYTE_0 src1_sel:DWORD
	s_mov_b64 s[2:3], -1
.LBB71_2739:
	s_and_b64 vcc, exec, s[0:1]
	s_cbranch_vccnz .LBB71_2795
; %bb.2740:
	s_andn2_b64 vcc, exec, s[2:3]
	s_cbranch_vccnz .LBB71_2742
.LBB71_2741:
	v_cmp_neq_f64_e32 vcc, 0, v[0:1]
	v_cndmask_b32_e64 v2, 0, 1, vcc
	s_mov_b64 s[6:7], -1
	global_store_byte v[18:19], v2, off
.LBB71_2742:
	s_mov_b64 s[0:1], 0
.LBB71_2743:
	s_and_b64 vcc, exec, s[0:1]
	s_cbranch_vccz .LBB71_2782
; %bb.2744:
	v_mov_b32_e32 v2, 5
	v_cmp_lt_i16_sdwa s[2:3], s18, v2 src0_sel:BYTE_0 src1_sel:DWORD
	s_mov_b64 s[0:1], -1
	s_and_b64 vcc, exec, s[2:3]
	s_cbranch_vccnz .LBB71_2765
; %bb.2745:
	v_mov_b32_e32 v2, 8
	v_cmp_lt_i16_sdwa s[2:3], s18, v2 src0_sel:BYTE_0 src1_sel:DWORD
	s_and_b64 vcc, exec, s[2:3]
	s_cbranch_vccnz .LBB71_2755
; %bb.2746:
	v_mov_b32_e32 v2, 9
	v_cmp_lt_i16_sdwa s[2:3], s18, v2 src0_sel:BYTE_0 src1_sel:DWORD
	s_and_b64 vcc, exec, s[2:3]
	s_cbranch_vccnz .LBB71_2752
; %bb.2747:
	v_cmp_gt_i16_sdwa s[2:3], s18, v2 src0_sel:BYTE_0 src1_sel:DWORD
	s_and_b64 vcc, exec, s[2:3]
	s_cbranch_vccz .LBB71_2749
; %bb.2748:
	v_mov_b32_e32 v2, 0
	v_mov_b32_e32 v3, v2
	global_store_dwordx4 v[18:19], v[0:3], off
	s_mov_b64 s[0:1], 0
.LBB71_2749:
	s_andn2_b64 vcc, exec, s[0:1]
	s_cbranch_vccnz .LBB71_2751
; %bb.2750:
	v_cvt_f32_f64_e32 v2, v[0:1]
	v_mov_b32_e32 v3, 0
	global_store_dwordx2 v[18:19], v[2:3], off
.LBB71_2751:
	s_mov_b64 s[0:1], 0
.LBB71_2752:
	s_andn2_b64 vcc, exec, s[0:1]
	s_cbranch_vccnz .LBB71_2754
; %bb.2753:
	v_cvt_f32_f64_e32 v2, v[0:1]
	v_cvt_f16_f32_e32 v2, v2
	global_store_dword v[18:19], v2, off
.LBB71_2754:
	s_mov_b64 s[0:1], 0
.LBB71_2755:
	s_andn2_b64 vcc, exec, s[0:1]
	s_cbranch_vccnz .LBB71_2764
; %bb.2756:
	v_mov_b32_e32 v2, 6
	v_cmp_lt_i16_sdwa s[2:3], s18, v2 src0_sel:BYTE_0 src1_sel:DWORD
	s_mov_b64 s[0:1], -1
	s_and_b64 vcc, exec, s[2:3]
	s_cbranch_vccnz .LBB71_2762
; %bb.2757:
	v_cmp_gt_i16_sdwa s[2:3], s18, v2 src0_sel:BYTE_0 src1_sel:DWORD
	s_and_b64 vcc, exec, s[2:3]
	s_cbranch_vccz .LBB71_2759
; %bb.2758:
	global_store_dwordx2 v[18:19], v[0:1], off
	s_mov_b64 s[0:1], 0
.LBB71_2759:
	s_andn2_b64 vcc, exec, s[0:1]
	s_cbranch_vccnz .LBB71_2761
; %bb.2760:
	v_cvt_f32_f64_e32 v2, v[0:1]
	global_store_dword v[18:19], v2, off
.LBB71_2761:
	s_mov_b64 s[0:1], 0
.LBB71_2762:
	s_andn2_b64 vcc, exec, s[0:1]
	s_cbranch_vccnz .LBB71_2764
; %bb.2763:
	v_cvt_f32_f64_e32 v2, v[0:1]
	v_cvt_f16_f32_e32 v2, v2
	global_store_short v[18:19], v2, off
.LBB71_2764:
	s_mov_b64 s[0:1], 0
.LBB71_2765:
	s_andn2_b64 vcc, exec, s[0:1]
	s_cbranch_vccnz .LBB71_2781
; %bb.2766:
	v_mov_b32_e32 v2, 2
	v_cmp_lt_i16_sdwa s[2:3], s18, v2 src0_sel:BYTE_0 src1_sel:DWORD
	s_mov_b64 s[0:1], -1
	s_and_b64 vcc, exec, s[2:3]
	s_cbranch_vccnz .LBB71_2776
; %bb.2767:
	v_mov_b32_e32 v2, 3
	v_cmp_lt_i16_sdwa s[2:3], s18, v2 src0_sel:BYTE_0 src1_sel:DWORD
	s_and_b64 vcc, exec, s[2:3]
	s_cbranch_vccnz .LBB71_2773
; %bb.2768:
	v_cmp_gt_i16_sdwa s[2:3], s18, v2 src0_sel:BYTE_0 src1_sel:DWORD
	s_and_b64 vcc, exec, s[2:3]
	s_cbranch_vccz .LBB71_2770
; %bb.2769:
	v_trunc_f64_e32 v[2:3], v[0:1]
	s_movk_i32 s0, 0xffe0
	v_ldexp_f64 v[24:25], v[2:3], s0
	v_floor_f64_e32 v[24:25], v[24:25]
	v_fmac_f64_e32 v[2:3], 0xc1f00000, v[24:25]
	v_cvt_i32_f64_e32 v27, v[24:25]
	v_cvt_u32_f64_e32 v26, v[2:3]
	global_store_dwordx2 v[18:19], v[26:27], off
	s_mov_b64 s[0:1], 0
.LBB71_2770:
	s_andn2_b64 vcc, exec, s[0:1]
	s_cbranch_vccnz .LBB71_2772
; %bb.2771:
	v_cvt_i32_f64_e32 v2, v[0:1]
	global_store_dword v[18:19], v2, off
.LBB71_2772:
	s_mov_b64 s[0:1], 0
.LBB71_2773:
	s_andn2_b64 vcc, exec, s[0:1]
	s_cbranch_vccnz .LBB71_2775
; %bb.2774:
	v_cvt_i32_f64_e32 v2, v[0:1]
	global_store_short v[18:19], v2, off
.LBB71_2775:
	s_mov_b64 s[0:1], 0
.LBB71_2776:
	s_andn2_b64 vcc, exec, s[0:1]
	s_cbranch_vccnz .LBB71_2781
; %bb.2777:
	v_mov_b32_e32 v2, 0
	v_cmp_gt_i16_sdwa s[2:3], s18, v2 src0_sel:BYTE_0 src1_sel:DWORD
	s_mov_b64 s[0:1], -1
	s_and_b64 vcc, exec, s[2:3]
	s_cbranch_vccz .LBB71_2779
; %bb.2778:
	v_cvt_i32_f64_e32 v2, v[0:1]
	global_store_byte v[18:19], v2, off
	s_mov_b64 s[0:1], 0
.LBB71_2779:
	s_andn2_b64 vcc, exec, s[0:1]
	s_cbranch_vccnz .LBB71_2781
; %bb.2780:
	v_trunc_f64_e32 v[0:1], v[0:1]
	s_movk_i32 s0, 0xffe0
	v_ldexp_f64 v[2:3], v[0:1], s0
	v_floor_f64_e32 v[2:3], v[2:3]
	v_fmac_f64_e32 v[0:1], 0xc1f00000, v[2:3]
	v_cvt_u32_f64_e32 v0, v[0:1]
	global_store_byte v[18:19], v0, off
.LBB71_2781:
	s_mov_b64 s[6:7], -1
.LBB71_2782:
	s_andn2_b64 vcc, exec, s[6:7]
	s_cbranch_vccnz .LBB71_3113
; %bb.2783:
	s_brev_b32 s0, -2
	v_mov_b32_e32 v1, s9
	v_add_co_u32_e32 v0, vcc, s8, v6
	v_mov_b32_e32 v2, 11
	v_bfi_b32 v5, s0, v5, v21
	v_addc_co_u32_e32 v1, vcc, 0, v1, vcc
	v_cmp_lt_i16_sdwa s[0:1], s18, v2 src0_sel:BYTE_0 src1_sel:DWORD
	s_and_b64 vcc, exec, s[0:1]
	s_cbranch_vccnz .LBB71_2790
; %bb.2784:
	v_mov_b32_e32 v2, 25
	v_cmp_gt_i16_sdwa s[0:1], s18, v2 src0_sel:BYTE_0 src1_sel:DWORD
	s_mov_b64 s[10:11], -1
	s_mov_b64 s[2:3], 0
	s_and_b64 vcc, exec, s[0:1]
	s_mov_b64 s[6:7], 0
	s_mov_b64 s[0:1], 0
	s_cbranch_vccz .LBB71_2826
; %bb.2785:
	v_mov_b32_e32 v2, 28
	v_cmp_gt_i16_sdwa s[0:1], s18, v2 src0_sel:BYTE_0 src1_sel:DWORD
	s_and_b64 vcc, exec, s[0:1]
	s_cbranch_vccz .LBB71_2791
; %bb.2786:
	v_mov_b32_e32 v2, 43
	v_cmp_gt_i16_sdwa s[0:1], s18, v2 src0_sel:BYTE_0 src1_sel:DWORD
	s_and_b64 vcc, exec, s[0:1]
	;; [unrolled: 5-line block ×3, first 2 shown]
	s_cbranch_vccz .LBB71_2798
; %bb.2788:
	v_mov_b32_e32 v2, 46
	v_cmp_eq_u16_sdwa s[6:7], s18, v2 src0_sel:BYTE_0 src1_sel:DWORD
	s_mov_b64 s[0:1], -1
	s_mov_b64 s[10:11], 0
	s_and_b64 vcc, exec, s[6:7]
	s_mov_b64 s[6:7], 0
	s_cbranch_vccz .LBB71_2799
; %bb.2789:
	v_cvt_f32_f64_e32 v2, v[4:5]
	v_bfe_u32 v3, v2, 16, 1
	s_movk_i32 s0, 0x7fff
	v_add3_u32 v3, v2, v3, s0
	v_lshrrev_b32_e32 v3, 16, v3
	v_mov_b32_e32 v6, 0x7fc0
	v_cmp_o_f32_e32 vcc, v2, v2
	v_cndmask_b32_e32 v2, v6, v3, vcc
	global_store_dword v[0:1], v2, off
	s_mov_b64 s[0:1], 0
	s_mov_b64 s[6:7], -1
	s_branch .LBB71_2799
.LBB71_2790:
	s_mov_b64 s[0:1], -1
	s_mov_b64 s[6:7], 0
	s_branch .LBB71_2870
.LBB71_2791:
	s_mov_b64 s[0:1], 0
	s_branch .LBB71_2809
.LBB71_2792:
	s_or_saveexec_b64 s[16:17], s[16:17]
                                        ; implicit-def: $sgpr19
	s_xor_b64 exec, exec, s[16:17]
	s_cbranch_execz .LBB71_2693
.LBB71_2793:
	s_mov_b32 s19, 0x46000000
	v_add_f32_e64 v3, |v2|, s19
	v_and_b32_e32 v3, 0xff, v3
	v_cmp_ne_u32_e32 vcc, 0, v3
	s_andn2_b64 s[10:11], s[10:11], exec
	s_and_b64 s[20:21], vcc, exec
	s_mov_b32 s19, 0
	s_or_b64 s[10:11], s[10:11], s[20:21]
	s_or_b64 exec, exec, s[16:17]
	v_mov_b32_e32 v7, s19
	s_and_saveexec_b64 s[16:17], s[10:11]
	s_cbranch_execnz .LBB71_2694
	s_branch .LBB71_2695
.LBB71_2794:
	s_mov_b64 s[0:1], 0
	s_branch .LBB71_2805
.LBB71_2795:
	s_trap 2
	s_or_b64 s[4:5], s[4:5], exec
	s_cbranch_execz .LBB71_2741
	s_branch .LBB71_2742
.LBB71_2796:
	s_or_saveexec_b64 s[10:11], s[10:11]
                                        ; implicit-def: $sgpr16
	s_xor_b64 exec, exec, s[10:11]
	s_cbranch_execz .LBB71_2706
.LBB71_2797:
	s_mov_b32 s16, 0x42800000
	v_add_f32_e64 v3, |v2|, s16
	v_and_b32_e32 v3, 0xff, v3
	v_cmp_ne_u32_e32 vcc, 0, v3
	s_andn2_b64 s[6:7], s[6:7], exec
	s_and_b64 s[20:21], vcc, exec
	s_mov_b32 s16, 0
	s_or_b64 s[6:7], s[6:7], s[20:21]
	s_or_b64 exec, exec, s[10:11]
	v_mov_b32_e32 v7, s16
	s_and_saveexec_b64 s[10:11], s[6:7]
	s_cbranch_execnz .LBB71_2707
	s_branch .LBB71_2708
.LBB71_2798:
	s_mov_b64 s[0:1], 0
.LBB71_2799:
	s_and_b64 vcc, exec, s[10:11]
	s_cbranch_vccz .LBB71_2804
; %bb.2800:
	v_mov_b32_e32 v2, 44
	v_cmp_eq_u16_sdwa s[10:11], s18, v2 src0_sel:BYTE_0 src1_sel:DWORD
	s_mov_b64 s[0:1], -1
	s_and_b64 vcc, exec, s[10:11]
	s_cbranch_vccz .LBB71_2804
; %bb.2801:
	v_cvt_f32_f64_e32 v2, v[4:5]
	v_bfe_u32 v3, v2, 23, 8
	s_movk_i32 s0, 0xff
	v_cmp_ne_u32_e32 vcc, s0, v3
	v_mov_b32_e32 v6, 0xff
	s_and_saveexec_b64 s[6:7], vcc
; %bb.2802:
	s_mov_b32 s0, 0x3fffff
	v_lshrrev_b32_e32 v6, 23, v2
	v_and_b32_e32 v7, 0x400000, v2
	v_and_or_b32 v2, v2, s0, v3
	v_cmp_ne_u32_e32 vcc, 0, v7
	v_cmp_ne_u32_e64 s[0:1], 0, v2
	s_and_b64 s[0:1], vcc, s[0:1]
	v_cndmask_b32_e64 v2, 0, 1, s[0:1]
	v_add_u32_e32 v6, v6, v2
; %bb.2803:
	s_or_b64 exec, exec, s[6:7]
	s_mov_b64 s[0:1], 0
	s_mov_b64 s[6:7], -1
	global_store_byte v[0:1], v6, off
.LBB71_2804:
	s_mov_b64 s[10:11], 0
.LBB71_2805:
	s_and_b64 vcc, exec, s[10:11]
	s_cbranch_vccz .LBB71_2808
; %bb.2806:
	v_mov_b32_e32 v2, 29
	v_cmp_eq_u16_sdwa s[10:11], s18, v2 src0_sel:BYTE_0 src1_sel:DWORD
	s_mov_b64 s[0:1], -1
	s_and_b64 vcc, exec, s[10:11]
	s_cbranch_vccz .LBB71_2808
; %bb.2807:
	v_trunc_f64_e32 v[2:3], v[4:5]
	s_movk_i32 s0, 0xffe0
	v_ldexp_f64 v[6:7], v[2:3], s0
	v_floor_f64_e32 v[6:7], v[6:7]
	v_fmac_f64_e32 v[2:3], 0xc1f00000, v[6:7]
	v_cvt_u32_f64_e32 v19, v[6:7]
	v_cvt_u32_f64_e32 v18, v[2:3]
	global_store_dwordx2 v[0:1], v[18:19], off
	s_mov_b64 s[0:1], 0
	s_mov_b64 s[6:7], -1
.LBB71_2808:
	s_mov_b64 s[10:11], 0
.LBB71_2809:
	s_and_b64 vcc, exec, s[10:11]
	s_cbranch_vccz .LBB71_2825
; %bb.2810:
	v_mov_b32_e32 v2, 27
	v_cmp_lt_i16_sdwa s[10:11], s18, v2 src0_sel:BYTE_0 src1_sel:DWORD
	s_mov_b64 s[6:7], -1
	s_and_b64 vcc, exec, s[10:11]
	s_cbranch_vccnz .LBB71_2816
; %bb.2811:
	v_cmp_gt_i16_sdwa s[10:11], s18, v2 src0_sel:BYTE_0 src1_sel:DWORD
	s_and_b64 vcc, exec, s[10:11]
	s_cbranch_vccz .LBB71_2813
; %bb.2812:
	v_cvt_u32_f64_e32 v2, v[4:5]
	s_mov_b64 s[6:7], 0
	global_store_dword v[0:1], v2, off
.LBB71_2813:
	s_andn2_b64 vcc, exec, s[6:7]
	s_cbranch_vccnz .LBB71_2815
; %bb.2814:
	v_cvt_u32_f64_e32 v2, v[4:5]
	global_store_short v[0:1], v2, off
.LBB71_2815:
	s_mov_b64 s[6:7], 0
.LBB71_2816:
	s_andn2_b64 vcc, exec, s[6:7]
	s_cbranch_vccnz .LBB71_2824
; %bb.2817:
	v_cvt_f32_f64_e32 v2, v[4:5]
	v_and_b32_e32 v3, 0x7fffffff, v2
	s_mov_b32 s6, 0x43800000
	v_cmp_gt_u32_e32 vcc, s6, v3
	v_mov_b32_e32 v6, 0x80
	s_and_saveexec_b64 s[6:7], vcc
	s_cbranch_execz .LBB71_2823
; %bb.2818:
	s_mov_b32 s10, 0x3bffffff
	v_cmp_lt_u32_e32 vcc, s10, v3
	s_mov_b64 s[10:11], 0
                                        ; implicit-def: $vgpr3
	s_and_saveexec_b64 s[16:17], vcc
	s_xor_b64 s[16:17], exec, s[16:17]
	s_cbranch_execz .LBB71_2919
; %bb.2819:
	v_bfe_u32 v3, v2, 20, 1
	s_mov_b32 s19, 0x487ffff
	v_add3_u32 v3, v2, v3, s19
	s_mov_b64 s[10:11], exec
	v_lshrrev_b32_e32 v3, 20, v3
	s_or_saveexec_b64 s[16:17], s[16:17]
                                        ; implicit-def: $sgpr19
	s_xor_b64 exec, exec, s[16:17]
	s_cbranch_execnz .LBB71_2920
.LBB71_2820:
	s_or_b64 exec, exec, s[16:17]
	v_mov_b32_e32 v6, s19
	s_and_saveexec_b64 s[16:17], s[10:11]
.LBB71_2821:
	v_lshrrev_b32_e32 v2, 24, v2
	s_movk_i32 s10, 0x80
	v_and_or_b32 v6, v2, s10, v3
.LBB71_2822:
	s_or_b64 exec, exec, s[16:17]
.LBB71_2823:
	s_or_b64 exec, exec, s[6:7]
	global_store_byte v[0:1], v6, off
.LBB71_2824:
	s_mov_b64 s[6:7], -1
.LBB71_2825:
	s_mov_b64 s[10:11], 0
.LBB71_2826:
	s_and_b64 vcc, exec, s[10:11]
	s_cbranch_vccz .LBB71_2866
; %bb.2827:
	v_mov_b32_e32 v2, 22
	v_cmp_gt_i16_sdwa s[10:11], s18, v2 src0_sel:BYTE_0 src1_sel:DWORD
	s_mov_b64 s[2:3], -1
	s_and_b64 vcc, exec, s[10:11]
	s_cbranch_vccz .LBB71_2859
; %bb.2828:
	v_mov_b32_e32 v2, 24
	v_cmp_lt_i16_sdwa s[6:7], s18, v2 src0_sel:BYTE_0 src1_sel:DWORD
	s_and_b64 vcc, exec, s[6:7]
	s_cbranch_vccnz .LBB71_2848
; %bb.2829:
	v_cmp_gt_i16_sdwa s[6:7], s18, v2 src0_sel:BYTE_0 src1_sel:DWORD
	s_and_b64 vcc, exec, s[6:7]
	s_cbranch_vccz .LBB71_2837
; %bb.2830:
	v_cvt_f32_f64_e32 v2, v[4:5]
	v_and_b32_e32 v3, 0x7fffffff, v2
	s_mov_b32 s2, 0x47800000
	v_cmp_gt_u32_e32 vcc, s2, v3
	v_mov_b32_e32 v6, 0x80
	s_and_saveexec_b64 s[2:3], vcc
	s_cbranch_execz .LBB71_2836
; %bb.2831:
	s_mov_b32 s6, 0x37ffffff
	v_cmp_lt_u32_e32 vcc, s6, v3
	s_mov_b64 s[6:7], 0
                                        ; implicit-def: $vgpr3
	s_and_saveexec_b64 s[10:11], vcc
	s_xor_b64 s[10:11], exec, s[10:11]
	s_cbranch_execz .LBB71_2923
; %bb.2832:
	v_bfe_u32 v3, v2, 21, 1
	s_mov_b32 s16, 0x88fffff
	v_add3_u32 v3, v2, v3, s16
	s_mov_b64 s[6:7], exec
	v_lshrrev_b32_e32 v3, 21, v3
	s_or_saveexec_b64 s[10:11], s[10:11]
                                        ; implicit-def: $sgpr16
	s_xor_b64 exec, exec, s[10:11]
	s_cbranch_execnz .LBB71_2924
.LBB71_2833:
	s_or_b64 exec, exec, s[10:11]
	v_mov_b32_e32 v6, s16
	s_and_saveexec_b64 s[10:11], s[6:7]
.LBB71_2834:
	v_lshrrev_b32_e32 v2, 24, v2
	s_movk_i32 s6, 0x80
	v_and_or_b32 v6, v2, s6, v3
.LBB71_2835:
	s_or_b64 exec, exec, s[10:11]
.LBB71_2836:
	s_or_b64 exec, exec, s[2:3]
	s_mov_b64 s[2:3], 0
	global_store_byte v[0:1], v6, off
.LBB71_2837:
	s_and_b64 vcc, exec, s[2:3]
	s_cbranch_vccz .LBB71_2847
; %bb.2838:
	v_cvt_f32_f64_e32 v2, v[4:5]
	v_and_b32_e32 v6, 0x7fffffff, v2
	s_mov_b32 s2, 0x43f00000
	v_cmp_gt_u32_e32 vcc, s2, v6
                                        ; implicit-def: $vgpr3
	s_and_saveexec_b64 s[2:3], vcc
	s_xor_b64 s[2:3], exec, s[2:3]
	s_cbranch_execz .LBB71_2844
; %bb.2839:
	s_mov_b32 s6, 0x3c7fffff
	v_cmp_lt_u32_e32 vcc, s6, v6
                                        ; implicit-def: $vgpr3
	s_and_saveexec_b64 s[6:7], vcc
	s_xor_b64 s[6:7], exec, s[6:7]
; %bb.2840:
	v_bfe_u32 v3, v2, 20, 1
	s_mov_b32 s10, 0x407ffff
	v_add3_u32 v3, v2, v3, s10
	v_lshrrev_b32_e32 v6, 20, v3
	v_and_b32_e32 v3, 0xff00000, v3
	s_mov_b32 s10, 0x7f00000
	v_mov_b32_e32 v7, 0x7e
	v_cmp_ne_u32_e32 vcc, s10, v3
	v_cndmask_b32_e32 v3, v7, v6, vcc
; %bb.2841:
	s_andn2_saveexec_b64 s[6:7], s[6:7]
; %bb.2842:
	s_mov_b32 s10, 0x46800000
	v_add_f32_e64 v3, |v2|, s10
; %bb.2843:
	s_or_b64 exec, exec, s[6:7]
                                        ; implicit-def: $vgpr6
.LBB71_2844:
	s_andn2_saveexec_b64 s[2:3], s[2:3]
; %bb.2845:
	s_mov_b32 s6, 0x7f800000
	v_mov_b32_e32 v3, 0x7e
	v_mov_b32_e32 v7, 0x7f
	v_cmp_lt_u32_e32 vcc, s6, v6
	v_cndmask_b32_e32 v3, v3, v7, vcc
; %bb.2846:
	s_or_b64 exec, exec, s[2:3]
	v_lshrrev_b32_e32 v2, 24, v2
	s_movk_i32 s2, 0x80
	v_and_or_b32 v2, v2, s2, v3
	global_store_byte v[0:1], v2, off
.LBB71_2847:
	s_mov_b64 s[2:3], 0
.LBB71_2848:
	s_andn2_b64 vcc, exec, s[2:3]
	s_cbranch_vccnz .LBB71_2858
; %bb.2849:
	v_cvt_f32_f64_e32 v2, v[4:5]
	v_and_b32_e32 v6, 0x7fffffff, v2
	s_mov_b32 s2, 0x47800000
	v_cmp_gt_u32_e32 vcc, s2, v6
                                        ; implicit-def: $vgpr3
	s_and_saveexec_b64 s[2:3], vcc
	s_xor_b64 s[2:3], exec, s[2:3]
	s_cbranch_execz .LBB71_2855
; %bb.2850:
	s_mov_b32 s6, 0x387fffff
	v_cmp_lt_u32_e32 vcc, s6, v6
                                        ; implicit-def: $vgpr3
	s_and_saveexec_b64 s[6:7], vcc
	s_xor_b64 s[6:7], exec, s[6:7]
; %bb.2851:
	v_bfe_u32 v3, v2, 21, 1
	s_mov_b32 s10, 0x80fffff
	v_add3_u32 v3, v2, v3, s10
	v_lshrrev_b32_e32 v3, 21, v3
; %bb.2852:
	s_andn2_saveexec_b64 s[6:7], s[6:7]
; %bb.2853:
	s_mov_b32 s10, 0x43000000
	v_add_f32_e64 v3, |v2|, s10
; %bb.2854:
	s_or_b64 exec, exec, s[6:7]
                                        ; implicit-def: $vgpr6
.LBB71_2855:
	s_andn2_saveexec_b64 s[2:3], s[2:3]
; %bb.2856:
	s_mov_b32 s6, 0x7f800000
	v_mov_b32_e32 v3, 0x7c
	v_mov_b32_e32 v7, 0x7f
	v_cmp_lt_u32_e32 vcc, s6, v6
	v_cndmask_b32_e32 v3, v3, v7, vcc
; %bb.2857:
	s_or_b64 exec, exec, s[2:3]
	v_lshrrev_b32_e32 v2, 24, v2
	s_movk_i32 s2, 0x80
	v_and_or_b32 v2, v2, s2, v3
	global_store_byte v[0:1], v2, off
.LBB71_2858:
	s_mov_b64 s[2:3], 0
	s_mov_b64 s[6:7], -1
.LBB71_2859:
	s_andn2_b64 vcc, exec, s[2:3]
	s_mov_b64 s[2:3], 0
	s_cbranch_vccnz .LBB71_2866
; %bb.2860:
	v_mov_b32_e32 v2, 14
	v_cmp_gt_i16_sdwa s[2:3], s18, v2 src0_sel:BYTE_0 src1_sel:DWORD
	s_mov_b64 s[10:11], -1
	s_and_b64 vcc, exec, s[2:3]
	s_cbranch_vccz .LBB71_2864
; %bb.2861:
	v_mov_b32_e32 v2, 15
	v_cmp_eq_u16_sdwa s[2:3], s18, v2 src0_sel:BYTE_0 src1_sel:DWORD
	s_mov_b64 s[0:1], -1
	s_and_b64 vcc, exec, s[2:3]
	s_cbranch_vccz .LBB71_2863
; %bb.2862:
	v_cvt_f32_f64_e32 v2, v[4:5]
	v_bfe_u32 v3, v2, 16, 1
	s_movk_i32 s0, 0x7fff
	v_add3_u32 v3, v2, v3, s0
	v_lshrrev_b32_e32 v3, 16, v3
	v_mov_b32_e32 v6, 0x7fc0
	v_cmp_o_f32_e32 vcc, v2, v2
	v_cndmask_b32_e32 v2, v6, v3, vcc
	global_store_short v[0:1], v2, off
	s_mov_b64 s[0:1], 0
	s_mov_b64 s[6:7], -1
.LBB71_2863:
	s_mov_b64 s[10:11], 0
.LBB71_2864:
	s_mov_b64 s[2:3], 0
	s_and_b64 vcc, exec, s[10:11]
	s_cbranch_vccz .LBB71_2866
; %bb.2865:
	v_mov_b32_e32 v2, 11
	v_cmp_ne_u16_sdwa s[0:1], s18, v2 src0_sel:BYTE_0 src1_sel:DWORD
	s_mov_b64 s[2:3], -1
.LBB71_2866:
	s_and_b64 vcc, exec, s[0:1]
	s_cbranch_vccnz .LBB71_2922
; %bb.2867:
	s_andn2_b64 vcc, exec, s[2:3]
	s_cbranch_vccnz .LBB71_2869
.LBB71_2868:
	v_cmp_neq_f64_e32 vcc, 0, v[4:5]
	v_cndmask_b32_e64 v2, 0, 1, vcc
	s_mov_b64 s[6:7], -1
	global_store_byte v[0:1], v2, off
.LBB71_2869:
	s_mov_b64 s[0:1], 0
.LBB71_2870:
	s_and_b64 vcc, exec, s[0:1]
	s_cbranch_vccz .LBB71_2909
; %bb.2871:
	v_mov_b32_e32 v2, 5
	v_cmp_lt_i16_sdwa s[2:3], s18, v2 src0_sel:BYTE_0 src1_sel:DWORD
	s_mov_b64 s[0:1], -1
	s_and_b64 vcc, exec, s[2:3]
	s_cbranch_vccnz .LBB71_2892
; %bb.2872:
	v_mov_b32_e32 v2, 8
	v_cmp_lt_i16_sdwa s[2:3], s18, v2 src0_sel:BYTE_0 src1_sel:DWORD
	s_and_b64 vcc, exec, s[2:3]
	s_cbranch_vccnz .LBB71_2882
; %bb.2873:
	v_mov_b32_e32 v2, 9
	v_cmp_lt_i16_sdwa s[2:3], s18, v2 src0_sel:BYTE_0 src1_sel:DWORD
	s_and_b64 vcc, exec, s[2:3]
	s_cbranch_vccnz .LBB71_2879
; %bb.2874:
	v_cmp_gt_i16_sdwa s[2:3], s18, v2 src0_sel:BYTE_0 src1_sel:DWORD
	s_and_b64 vcc, exec, s[2:3]
	s_cbranch_vccz .LBB71_2876
; %bb.2875:
	v_mov_b32_e32 v6, 0
	v_mov_b32_e32 v7, v6
	global_store_dwordx4 v[0:1], v[4:7], off
	s_mov_b64 s[0:1], 0
.LBB71_2876:
	s_andn2_b64 vcc, exec, s[0:1]
	s_cbranch_vccnz .LBB71_2878
; %bb.2877:
	v_cvt_f32_f64_e32 v2, v[4:5]
	v_mov_b32_e32 v3, 0
	global_store_dwordx2 v[0:1], v[2:3], off
.LBB71_2878:
	s_mov_b64 s[0:1], 0
.LBB71_2879:
	s_andn2_b64 vcc, exec, s[0:1]
	s_cbranch_vccnz .LBB71_2881
; %bb.2880:
	v_cvt_f32_f64_e32 v2, v[4:5]
	v_cvt_f16_f32_e32 v2, v2
	global_store_dword v[0:1], v2, off
.LBB71_2881:
	s_mov_b64 s[0:1], 0
.LBB71_2882:
	s_andn2_b64 vcc, exec, s[0:1]
	s_cbranch_vccnz .LBB71_2891
; %bb.2883:
	v_mov_b32_e32 v2, 6
	v_cmp_lt_i16_sdwa s[2:3], s18, v2 src0_sel:BYTE_0 src1_sel:DWORD
	s_mov_b64 s[0:1], -1
	s_and_b64 vcc, exec, s[2:3]
	s_cbranch_vccnz .LBB71_2889
; %bb.2884:
	v_cmp_gt_i16_sdwa s[2:3], s18, v2 src0_sel:BYTE_0 src1_sel:DWORD
	s_and_b64 vcc, exec, s[2:3]
	s_cbranch_vccz .LBB71_2886
; %bb.2885:
	global_store_dwordx2 v[0:1], v[4:5], off
	s_mov_b64 s[0:1], 0
.LBB71_2886:
	s_andn2_b64 vcc, exec, s[0:1]
	s_cbranch_vccnz .LBB71_2888
; %bb.2887:
	v_cvt_f32_f64_e32 v2, v[4:5]
	global_store_dword v[0:1], v2, off
.LBB71_2888:
	s_mov_b64 s[0:1], 0
.LBB71_2889:
	s_andn2_b64 vcc, exec, s[0:1]
	s_cbranch_vccnz .LBB71_2891
; %bb.2890:
	v_cvt_f32_f64_e32 v2, v[4:5]
	v_cvt_f16_f32_e32 v2, v2
	global_store_short v[0:1], v2, off
.LBB71_2891:
	s_mov_b64 s[0:1], 0
.LBB71_2892:
	s_andn2_b64 vcc, exec, s[0:1]
	s_cbranch_vccnz .LBB71_2908
; %bb.2893:
	v_mov_b32_e32 v2, 2
	v_cmp_lt_i16_sdwa s[2:3], s18, v2 src0_sel:BYTE_0 src1_sel:DWORD
	s_mov_b64 s[0:1], -1
	s_and_b64 vcc, exec, s[2:3]
	s_cbranch_vccnz .LBB71_2903
; %bb.2894:
	v_mov_b32_e32 v2, 3
	v_cmp_lt_i16_sdwa s[2:3], s18, v2 src0_sel:BYTE_0 src1_sel:DWORD
	s_and_b64 vcc, exec, s[2:3]
	s_cbranch_vccnz .LBB71_2900
; %bb.2895:
	v_cmp_gt_i16_sdwa s[2:3], s18, v2 src0_sel:BYTE_0 src1_sel:DWORD
	s_and_b64 vcc, exec, s[2:3]
	s_cbranch_vccz .LBB71_2897
; %bb.2896:
	v_trunc_f64_e32 v[2:3], v[4:5]
	s_movk_i32 s0, 0xffe0
	v_ldexp_f64 v[6:7], v[2:3], s0
	v_floor_f64_e32 v[6:7], v[6:7]
	v_fmac_f64_e32 v[2:3], 0xc1f00000, v[6:7]
	v_cvt_i32_f64_e32 v19, v[6:7]
	v_cvt_u32_f64_e32 v18, v[2:3]
	global_store_dwordx2 v[0:1], v[18:19], off
	s_mov_b64 s[0:1], 0
.LBB71_2897:
	s_andn2_b64 vcc, exec, s[0:1]
	s_cbranch_vccnz .LBB71_2899
; %bb.2898:
	v_cvt_i32_f64_e32 v2, v[4:5]
	global_store_dword v[0:1], v2, off
.LBB71_2899:
	s_mov_b64 s[0:1], 0
.LBB71_2900:
	s_andn2_b64 vcc, exec, s[0:1]
	s_cbranch_vccnz .LBB71_2902
; %bb.2901:
	v_cvt_i32_f64_e32 v2, v[4:5]
	global_store_short v[0:1], v2, off
.LBB71_2902:
	s_mov_b64 s[0:1], 0
.LBB71_2903:
	s_andn2_b64 vcc, exec, s[0:1]
	s_cbranch_vccnz .LBB71_2908
; %bb.2904:
	v_mov_b32_e32 v2, 0
	v_cmp_gt_i16_sdwa s[2:3], s18, v2 src0_sel:BYTE_0 src1_sel:DWORD
	s_mov_b64 s[0:1], -1
	s_and_b64 vcc, exec, s[2:3]
	s_cbranch_vccz .LBB71_2906
; %bb.2905:
	v_cvt_i32_f64_e32 v2, v[4:5]
	global_store_byte v[0:1], v2, off
	s_mov_b64 s[0:1], 0
.LBB71_2906:
	s_andn2_b64 vcc, exec, s[0:1]
	s_cbranch_vccnz .LBB71_2908
; %bb.2907:
	v_trunc_f64_e32 v[2:3], v[4:5]
	s_movk_i32 s0, 0xffe0
	v_ldexp_f64 v[4:5], v[2:3], s0
	v_floor_f64_e32 v[4:5], v[4:5]
	v_fmac_f64_e32 v[2:3], 0xc1f00000, v[4:5]
	v_cvt_u32_f64_e32 v2, v[2:3]
	global_store_byte v[0:1], v2, off
.LBB71_2908:
	s_mov_b64 s[6:7], -1
.LBB71_2909:
	s_andn2_b64 vcc, exec, s[6:7]
	s_cbranch_vccnz .LBB71_3113
; %bb.2910:
	s_brev_b32 s0, -2
	v_mov_b32_e32 v1, s9
	v_add_co_u32_e32 v0, vcc, s8, v10
	v_mov_b32_e32 v2, 11
	v_bfi_b32 v9, s0, v9, v23
	v_addc_co_u32_e32 v1, vcc, 0, v1, vcc
	v_cmp_lt_i16_sdwa s[0:1], s18, v2 src0_sel:BYTE_0 src1_sel:DWORD
	s_and_b64 vcc, exec, s[0:1]
	s_cbranch_vccnz .LBB71_2917
; %bb.2911:
	v_mov_b32_e32 v2, 25
	v_cmp_gt_i16_sdwa s[0:1], s18, v2 src0_sel:BYTE_0 src1_sel:DWORD
	s_mov_b64 s[10:11], -1
	s_mov_b64 s[2:3], 0
	s_and_b64 vcc, exec, s[0:1]
	s_mov_b64 s[6:7], 0
	s_mov_b64 s[0:1], 0
	s_cbranch_vccz .LBB71_2953
; %bb.2912:
	v_mov_b32_e32 v2, 28
	v_cmp_gt_i16_sdwa s[0:1], s18, v2 src0_sel:BYTE_0 src1_sel:DWORD
	s_and_b64 vcc, exec, s[0:1]
	s_cbranch_vccz .LBB71_2918
; %bb.2913:
	v_mov_b32_e32 v2, 43
	v_cmp_gt_i16_sdwa s[0:1], s18, v2 src0_sel:BYTE_0 src1_sel:DWORD
	s_and_b64 vcc, exec, s[0:1]
	;; [unrolled: 5-line block ×3, first 2 shown]
	s_cbranch_vccz .LBB71_2925
; %bb.2915:
	v_mov_b32_e32 v2, 46
	v_cmp_eq_u16_sdwa s[6:7], s18, v2 src0_sel:BYTE_0 src1_sel:DWORD
	s_mov_b64 s[0:1], -1
	s_mov_b64 s[10:11], 0
	s_and_b64 vcc, exec, s[6:7]
	s_mov_b64 s[6:7], 0
	s_cbranch_vccz .LBB71_2926
; %bb.2916:
	v_cvt_f32_f64_e32 v2, v[8:9]
	v_bfe_u32 v3, v2, 16, 1
	s_movk_i32 s0, 0x7fff
	v_add3_u32 v3, v2, v3, s0
	v_lshrrev_b32_e32 v3, 16, v3
	v_mov_b32_e32 v4, 0x7fc0
	v_cmp_o_f32_e32 vcc, v2, v2
	v_cndmask_b32_e32 v2, v4, v3, vcc
	global_store_dword v[0:1], v2, off
	s_mov_b64 s[0:1], 0
	s_mov_b64 s[6:7], -1
	s_branch .LBB71_2926
.LBB71_2917:
	s_mov_b64 s[0:1], -1
	s_mov_b64 s[6:7], 0
	s_branch .LBB71_2997
.LBB71_2918:
	s_mov_b64 s[0:1], 0
	s_branch .LBB71_2936
.LBB71_2919:
	s_or_saveexec_b64 s[16:17], s[16:17]
                                        ; implicit-def: $sgpr19
	s_xor_b64 exec, exec, s[16:17]
	s_cbranch_execz .LBB71_2820
.LBB71_2920:
	s_mov_b32 s19, 0x46000000
	v_add_f32_e64 v3, |v2|, s19
	v_and_b32_e32 v3, 0xff, v3
	v_cmp_ne_u32_e32 vcc, 0, v3
	s_andn2_b64 s[10:11], s[10:11], exec
	s_and_b64 s[20:21], vcc, exec
	s_mov_b32 s19, 0
	s_or_b64 s[10:11], s[10:11], s[20:21]
	s_or_b64 exec, exec, s[16:17]
	v_mov_b32_e32 v6, s19
	s_and_saveexec_b64 s[16:17], s[10:11]
	s_cbranch_execnz .LBB71_2821
	s_branch .LBB71_2822
.LBB71_2921:
	s_mov_b64 s[0:1], 0
	s_branch .LBB71_2932
.LBB71_2922:
	s_trap 2
	s_or_b64 s[4:5], s[4:5], exec
	s_cbranch_execz .LBB71_2868
	s_branch .LBB71_2869
.LBB71_2923:
	s_or_saveexec_b64 s[10:11], s[10:11]
                                        ; implicit-def: $sgpr16
	s_xor_b64 exec, exec, s[10:11]
	s_cbranch_execz .LBB71_2833
.LBB71_2924:
	s_mov_b32 s16, 0x42800000
	v_add_f32_e64 v3, |v2|, s16
	v_and_b32_e32 v3, 0xff, v3
	v_cmp_ne_u32_e32 vcc, 0, v3
	s_andn2_b64 s[6:7], s[6:7], exec
	s_and_b64 s[20:21], vcc, exec
	s_mov_b32 s16, 0
	s_or_b64 s[6:7], s[6:7], s[20:21]
	s_or_b64 exec, exec, s[10:11]
	v_mov_b32_e32 v6, s16
	s_and_saveexec_b64 s[10:11], s[6:7]
	s_cbranch_execnz .LBB71_2834
	s_branch .LBB71_2835
.LBB71_2925:
	s_mov_b64 s[0:1], 0
.LBB71_2926:
	s_and_b64 vcc, exec, s[10:11]
	s_cbranch_vccz .LBB71_2931
; %bb.2927:
	v_mov_b32_e32 v2, 44
	v_cmp_eq_u16_sdwa s[10:11], s18, v2 src0_sel:BYTE_0 src1_sel:DWORD
	s_mov_b64 s[0:1], -1
	s_and_b64 vcc, exec, s[10:11]
	s_cbranch_vccz .LBB71_2931
; %bb.2928:
	v_cvt_f32_f64_e32 v2, v[8:9]
	v_bfe_u32 v3, v2, 23, 8
	s_movk_i32 s0, 0xff
	v_cmp_ne_u32_e32 vcc, s0, v3
	v_mov_b32_e32 v4, 0xff
	s_and_saveexec_b64 s[6:7], vcc
; %bb.2929:
	s_mov_b32 s0, 0x3fffff
	v_lshrrev_b32_e32 v4, 23, v2
	v_and_b32_e32 v5, 0x400000, v2
	v_and_or_b32 v2, v2, s0, v3
	v_cmp_ne_u32_e32 vcc, 0, v5
	v_cmp_ne_u32_e64 s[0:1], 0, v2
	s_and_b64 s[0:1], vcc, s[0:1]
	v_cndmask_b32_e64 v2, 0, 1, s[0:1]
	v_add_u32_e32 v4, v4, v2
; %bb.2930:
	s_or_b64 exec, exec, s[6:7]
	s_mov_b64 s[0:1], 0
	s_mov_b64 s[6:7], -1
	global_store_byte v[0:1], v4, off
.LBB71_2931:
	s_mov_b64 s[10:11], 0
.LBB71_2932:
	s_and_b64 vcc, exec, s[10:11]
	s_cbranch_vccz .LBB71_2935
; %bb.2933:
	v_mov_b32_e32 v2, 29
	v_cmp_eq_u16_sdwa s[10:11], s18, v2 src0_sel:BYTE_0 src1_sel:DWORD
	s_mov_b64 s[0:1], -1
	s_and_b64 vcc, exec, s[10:11]
	s_cbranch_vccz .LBB71_2935
; %bb.2934:
	v_trunc_f64_e32 v[2:3], v[8:9]
	s_movk_i32 s0, 0xffe0
	v_ldexp_f64 v[4:5], v[2:3], s0
	v_floor_f64_e32 v[4:5], v[4:5]
	v_fmac_f64_e32 v[2:3], 0xc1f00000, v[4:5]
	v_cvt_u32_f64_e32 v7, v[4:5]
	v_cvt_u32_f64_e32 v6, v[2:3]
	global_store_dwordx2 v[0:1], v[6:7], off
	s_mov_b64 s[0:1], 0
	s_mov_b64 s[6:7], -1
.LBB71_2935:
	s_mov_b64 s[10:11], 0
.LBB71_2936:
	s_and_b64 vcc, exec, s[10:11]
	s_cbranch_vccz .LBB71_2952
; %bb.2937:
	v_mov_b32_e32 v2, 27
	v_cmp_lt_i16_sdwa s[10:11], s18, v2 src0_sel:BYTE_0 src1_sel:DWORD
	s_mov_b64 s[6:7], -1
	s_and_b64 vcc, exec, s[10:11]
	s_cbranch_vccnz .LBB71_2943
; %bb.2938:
	v_cmp_gt_i16_sdwa s[10:11], s18, v2 src0_sel:BYTE_0 src1_sel:DWORD
	s_and_b64 vcc, exec, s[10:11]
	s_cbranch_vccz .LBB71_2940
; %bb.2939:
	v_cvt_u32_f64_e32 v2, v[8:9]
	s_mov_b64 s[6:7], 0
	global_store_dword v[0:1], v2, off
.LBB71_2940:
	s_andn2_b64 vcc, exec, s[6:7]
	s_cbranch_vccnz .LBB71_2942
; %bb.2941:
	v_cvt_u32_f64_e32 v2, v[8:9]
	global_store_short v[0:1], v2, off
.LBB71_2942:
	s_mov_b64 s[6:7], 0
.LBB71_2943:
	s_andn2_b64 vcc, exec, s[6:7]
	s_cbranch_vccnz .LBB71_2951
; %bb.2944:
	v_cvt_f32_f64_e32 v2, v[8:9]
	v_and_b32_e32 v3, 0x7fffffff, v2
	s_mov_b32 s6, 0x43800000
	v_cmp_gt_u32_e32 vcc, s6, v3
	v_mov_b32_e32 v4, 0x80
	s_and_saveexec_b64 s[6:7], vcc
	s_cbranch_execz .LBB71_2950
; %bb.2945:
	s_mov_b32 s10, 0x3bffffff
	v_cmp_lt_u32_e32 vcc, s10, v3
	s_mov_b64 s[10:11], 0
                                        ; implicit-def: $vgpr3
	s_and_saveexec_b64 s[16:17], vcc
	s_xor_b64 s[16:17], exec, s[16:17]
	s_cbranch_execz .LBB71_3159
; %bb.2946:
	v_bfe_u32 v3, v2, 20, 1
	s_mov_b32 s19, 0x487ffff
	v_add3_u32 v3, v2, v3, s19
	s_mov_b64 s[10:11], exec
	v_lshrrev_b32_e32 v3, 20, v3
	s_or_saveexec_b64 s[16:17], s[16:17]
                                        ; implicit-def: $sgpr19
	s_xor_b64 exec, exec, s[16:17]
	s_cbranch_execnz .LBB71_3160
.LBB71_2947:
	s_or_b64 exec, exec, s[16:17]
	v_mov_b32_e32 v4, s19
	s_and_saveexec_b64 s[16:17], s[10:11]
.LBB71_2948:
	v_lshrrev_b32_e32 v2, 24, v2
	s_movk_i32 s10, 0x80
	v_and_or_b32 v4, v2, s10, v3
.LBB71_2949:
	s_or_b64 exec, exec, s[16:17]
.LBB71_2950:
	s_or_b64 exec, exec, s[6:7]
	global_store_byte v[0:1], v4, off
.LBB71_2951:
	s_mov_b64 s[6:7], -1
.LBB71_2952:
	s_mov_b64 s[10:11], 0
.LBB71_2953:
	s_and_b64 vcc, exec, s[10:11]
	s_cbranch_vccz .LBB71_2993
; %bb.2954:
	v_mov_b32_e32 v2, 22
	v_cmp_gt_i16_sdwa s[10:11], s18, v2 src0_sel:BYTE_0 src1_sel:DWORD
	s_mov_b64 s[2:3], -1
	s_and_b64 vcc, exec, s[10:11]
	s_cbranch_vccz .LBB71_2986
; %bb.2955:
	v_mov_b32_e32 v2, 24
	v_cmp_lt_i16_sdwa s[6:7], s18, v2 src0_sel:BYTE_0 src1_sel:DWORD
	s_and_b64 vcc, exec, s[6:7]
	s_cbranch_vccnz .LBB71_2975
; %bb.2956:
	v_cmp_gt_i16_sdwa s[6:7], s18, v2 src0_sel:BYTE_0 src1_sel:DWORD
	s_and_b64 vcc, exec, s[6:7]
	s_cbranch_vccz .LBB71_2964
; %bb.2957:
	v_cvt_f32_f64_e32 v2, v[8:9]
	v_and_b32_e32 v3, 0x7fffffff, v2
	s_mov_b32 s2, 0x47800000
	v_cmp_gt_u32_e32 vcc, s2, v3
	v_mov_b32_e32 v4, 0x80
	s_and_saveexec_b64 s[2:3], vcc
	s_cbranch_execz .LBB71_2963
; %bb.2958:
	s_mov_b32 s6, 0x37ffffff
	v_cmp_lt_u32_e32 vcc, s6, v3
	s_mov_b64 s[6:7], 0
                                        ; implicit-def: $vgpr3
	s_and_saveexec_b64 s[10:11], vcc
	s_xor_b64 s[10:11], exec, s[10:11]
	s_cbranch_execz .LBB71_3162
; %bb.2959:
	v_bfe_u32 v3, v2, 21, 1
	s_mov_b32 s16, 0x88fffff
	v_add3_u32 v3, v2, v3, s16
	s_mov_b64 s[6:7], exec
	v_lshrrev_b32_e32 v3, 21, v3
	s_or_saveexec_b64 s[10:11], s[10:11]
                                        ; implicit-def: $sgpr16
	s_xor_b64 exec, exec, s[10:11]
	s_cbranch_execnz .LBB71_3163
.LBB71_2960:
	s_or_b64 exec, exec, s[10:11]
	v_mov_b32_e32 v4, s16
	s_and_saveexec_b64 s[10:11], s[6:7]
.LBB71_2961:
	v_lshrrev_b32_e32 v2, 24, v2
	s_movk_i32 s6, 0x80
	v_and_or_b32 v4, v2, s6, v3
.LBB71_2962:
	s_or_b64 exec, exec, s[10:11]
.LBB71_2963:
	s_or_b64 exec, exec, s[2:3]
	s_mov_b64 s[2:3], 0
	global_store_byte v[0:1], v4, off
.LBB71_2964:
	s_and_b64 vcc, exec, s[2:3]
	s_cbranch_vccz .LBB71_2974
; %bb.2965:
	v_cvt_f32_f64_e32 v2, v[8:9]
	v_and_b32_e32 v4, 0x7fffffff, v2
	s_mov_b32 s2, 0x43f00000
	v_cmp_gt_u32_e32 vcc, s2, v4
                                        ; implicit-def: $vgpr3
	s_and_saveexec_b64 s[2:3], vcc
	s_xor_b64 s[2:3], exec, s[2:3]
	s_cbranch_execz .LBB71_2971
; %bb.2966:
	s_mov_b32 s6, 0x3c7fffff
	v_cmp_lt_u32_e32 vcc, s6, v4
                                        ; implicit-def: $vgpr3
	s_and_saveexec_b64 s[6:7], vcc
	s_xor_b64 s[6:7], exec, s[6:7]
; %bb.2967:
	v_bfe_u32 v3, v2, 20, 1
	s_mov_b32 s10, 0x407ffff
	v_add3_u32 v3, v2, v3, s10
	v_lshrrev_b32_e32 v4, 20, v3
	v_and_b32_e32 v3, 0xff00000, v3
	s_mov_b32 s10, 0x7f00000
	v_mov_b32_e32 v5, 0x7e
	v_cmp_ne_u32_e32 vcc, s10, v3
	v_cndmask_b32_e32 v3, v5, v4, vcc
; %bb.2968:
	s_andn2_saveexec_b64 s[6:7], s[6:7]
; %bb.2969:
	s_mov_b32 s10, 0x46800000
	v_add_f32_e64 v3, |v2|, s10
; %bb.2970:
	s_or_b64 exec, exec, s[6:7]
                                        ; implicit-def: $vgpr4
.LBB71_2971:
	s_andn2_saveexec_b64 s[2:3], s[2:3]
; %bb.2972:
	s_mov_b32 s6, 0x7f800000
	v_mov_b32_e32 v3, 0x7e
	v_mov_b32_e32 v5, 0x7f
	v_cmp_lt_u32_e32 vcc, s6, v4
	v_cndmask_b32_e32 v3, v3, v5, vcc
; %bb.2973:
	s_or_b64 exec, exec, s[2:3]
	v_lshrrev_b32_e32 v2, 24, v2
	s_movk_i32 s2, 0x80
	v_and_or_b32 v2, v2, s2, v3
	global_store_byte v[0:1], v2, off
.LBB71_2974:
	s_mov_b64 s[2:3], 0
.LBB71_2975:
	s_andn2_b64 vcc, exec, s[2:3]
	s_cbranch_vccnz .LBB71_2985
; %bb.2976:
	v_cvt_f32_f64_e32 v2, v[8:9]
	v_and_b32_e32 v4, 0x7fffffff, v2
	s_mov_b32 s2, 0x47800000
	v_cmp_gt_u32_e32 vcc, s2, v4
                                        ; implicit-def: $vgpr3
	s_and_saveexec_b64 s[2:3], vcc
	s_xor_b64 s[2:3], exec, s[2:3]
	s_cbranch_execz .LBB71_2982
; %bb.2977:
	s_mov_b32 s6, 0x387fffff
	v_cmp_lt_u32_e32 vcc, s6, v4
                                        ; implicit-def: $vgpr3
	s_and_saveexec_b64 s[6:7], vcc
	s_xor_b64 s[6:7], exec, s[6:7]
; %bb.2978:
	v_bfe_u32 v3, v2, 21, 1
	s_mov_b32 s10, 0x80fffff
	v_add3_u32 v3, v2, v3, s10
	v_lshrrev_b32_e32 v3, 21, v3
; %bb.2979:
	s_andn2_saveexec_b64 s[6:7], s[6:7]
; %bb.2980:
	s_mov_b32 s10, 0x43000000
	v_add_f32_e64 v3, |v2|, s10
; %bb.2981:
	s_or_b64 exec, exec, s[6:7]
                                        ; implicit-def: $vgpr4
.LBB71_2982:
	s_andn2_saveexec_b64 s[2:3], s[2:3]
; %bb.2983:
	s_mov_b32 s6, 0x7f800000
	v_mov_b32_e32 v3, 0x7c
	v_mov_b32_e32 v5, 0x7f
	v_cmp_lt_u32_e32 vcc, s6, v4
	v_cndmask_b32_e32 v3, v3, v5, vcc
; %bb.2984:
	s_or_b64 exec, exec, s[2:3]
	v_lshrrev_b32_e32 v2, 24, v2
	s_movk_i32 s2, 0x80
	v_and_or_b32 v2, v2, s2, v3
	global_store_byte v[0:1], v2, off
.LBB71_2985:
	s_mov_b64 s[2:3], 0
	s_mov_b64 s[6:7], -1
.LBB71_2986:
	s_andn2_b64 vcc, exec, s[2:3]
	s_mov_b64 s[2:3], 0
	s_cbranch_vccnz .LBB71_2993
; %bb.2987:
	v_mov_b32_e32 v2, 14
	v_cmp_gt_i16_sdwa s[2:3], s18, v2 src0_sel:BYTE_0 src1_sel:DWORD
	s_mov_b64 s[10:11], -1
	s_and_b64 vcc, exec, s[2:3]
	s_cbranch_vccz .LBB71_2991
; %bb.2988:
	v_mov_b32_e32 v2, 15
	v_cmp_eq_u16_sdwa s[2:3], s18, v2 src0_sel:BYTE_0 src1_sel:DWORD
	s_mov_b64 s[0:1], -1
	s_and_b64 vcc, exec, s[2:3]
	s_cbranch_vccz .LBB71_2990
; %bb.2989:
	v_cvt_f32_f64_e32 v2, v[8:9]
	v_bfe_u32 v3, v2, 16, 1
	s_movk_i32 s0, 0x7fff
	v_add3_u32 v3, v2, v3, s0
	v_lshrrev_b32_e32 v3, 16, v3
	v_mov_b32_e32 v4, 0x7fc0
	v_cmp_o_f32_e32 vcc, v2, v2
	v_cndmask_b32_e32 v2, v4, v3, vcc
	global_store_short v[0:1], v2, off
	s_mov_b64 s[0:1], 0
	s_mov_b64 s[6:7], -1
.LBB71_2990:
	s_mov_b64 s[10:11], 0
.LBB71_2991:
	s_mov_b64 s[2:3], 0
	s_and_b64 vcc, exec, s[10:11]
	s_cbranch_vccz .LBB71_2993
; %bb.2992:
	v_mov_b32_e32 v2, 11
	v_cmp_ne_u16_sdwa s[0:1], s18, v2 src0_sel:BYTE_0 src1_sel:DWORD
	s_mov_b64 s[2:3], -1
.LBB71_2993:
	s_and_b64 vcc, exec, s[0:1]
	s_cbranch_vccnz .LBB71_3161
; %bb.2994:
	s_andn2_b64 vcc, exec, s[2:3]
	s_cbranch_vccnz .LBB71_2996
.LBB71_2995:
	v_cmp_neq_f64_e32 vcc, 0, v[8:9]
	v_cndmask_b32_e64 v2, 0, 1, vcc
	s_mov_b64 s[6:7], -1
	global_store_byte v[0:1], v2, off
.LBB71_2996:
	s_mov_b64 s[0:1], 0
.LBB71_2997:
	s_and_b64 vcc, exec, s[0:1]
	s_cbranch_vccz .LBB71_3036
; %bb.2998:
	v_mov_b32_e32 v2, 5
	v_cmp_lt_i16_sdwa s[2:3], s18, v2 src0_sel:BYTE_0 src1_sel:DWORD
	s_mov_b64 s[0:1], -1
	s_and_b64 vcc, exec, s[2:3]
	s_cbranch_vccnz .LBB71_3019
; %bb.2999:
	v_mov_b32_e32 v2, 8
	v_cmp_lt_i16_sdwa s[2:3], s18, v2 src0_sel:BYTE_0 src1_sel:DWORD
	s_and_b64 vcc, exec, s[2:3]
	s_cbranch_vccnz .LBB71_3009
; %bb.3000:
	v_mov_b32_e32 v2, 9
	v_cmp_lt_i16_sdwa s[2:3], s18, v2 src0_sel:BYTE_0 src1_sel:DWORD
	s_and_b64 vcc, exec, s[2:3]
	s_cbranch_vccnz .LBB71_3006
; %bb.3001:
	v_cmp_gt_i16_sdwa s[2:3], s18, v2 src0_sel:BYTE_0 src1_sel:DWORD
	s_and_b64 vcc, exec, s[2:3]
	s_cbranch_vccz .LBB71_3003
; %bb.3002:
	v_mov_b32_e32 v10, 0
	v_mov_b32_e32 v11, v10
	global_store_dwordx4 v[0:1], v[8:11], off
	s_mov_b64 s[0:1], 0
.LBB71_3003:
	s_andn2_b64 vcc, exec, s[0:1]
	s_cbranch_vccnz .LBB71_3005
; %bb.3004:
	v_cvt_f32_f64_e32 v2, v[8:9]
	v_mov_b32_e32 v3, 0
	global_store_dwordx2 v[0:1], v[2:3], off
.LBB71_3005:
	s_mov_b64 s[0:1], 0
.LBB71_3006:
	s_andn2_b64 vcc, exec, s[0:1]
	s_cbranch_vccnz .LBB71_3008
; %bb.3007:
	v_cvt_f32_f64_e32 v2, v[8:9]
	v_cvt_f16_f32_e32 v2, v2
	global_store_dword v[0:1], v2, off
.LBB71_3008:
	s_mov_b64 s[0:1], 0
.LBB71_3009:
	s_andn2_b64 vcc, exec, s[0:1]
	s_cbranch_vccnz .LBB71_3018
; %bb.3010:
	v_mov_b32_e32 v2, 6
	v_cmp_lt_i16_sdwa s[2:3], s18, v2 src0_sel:BYTE_0 src1_sel:DWORD
	s_mov_b64 s[0:1], -1
	s_and_b64 vcc, exec, s[2:3]
	s_cbranch_vccnz .LBB71_3016
; %bb.3011:
	v_cmp_gt_i16_sdwa s[2:3], s18, v2 src0_sel:BYTE_0 src1_sel:DWORD
	s_and_b64 vcc, exec, s[2:3]
	s_cbranch_vccz .LBB71_3013
; %bb.3012:
	global_store_dwordx2 v[0:1], v[8:9], off
	s_mov_b64 s[0:1], 0
.LBB71_3013:
	s_andn2_b64 vcc, exec, s[0:1]
	s_cbranch_vccnz .LBB71_3015
; %bb.3014:
	v_cvt_f32_f64_e32 v2, v[8:9]
	global_store_dword v[0:1], v2, off
.LBB71_3015:
	s_mov_b64 s[0:1], 0
.LBB71_3016:
	s_andn2_b64 vcc, exec, s[0:1]
	s_cbranch_vccnz .LBB71_3018
; %bb.3017:
	v_cvt_f32_f64_e32 v2, v[8:9]
	v_cvt_f16_f32_e32 v2, v2
	global_store_short v[0:1], v2, off
.LBB71_3018:
	s_mov_b64 s[0:1], 0
.LBB71_3019:
	s_andn2_b64 vcc, exec, s[0:1]
	s_cbranch_vccnz .LBB71_3035
; %bb.3020:
	v_mov_b32_e32 v2, 2
	v_cmp_lt_i16_sdwa s[2:3], s18, v2 src0_sel:BYTE_0 src1_sel:DWORD
	s_mov_b64 s[0:1], -1
	s_and_b64 vcc, exec, s[2:3]
	s_cbranch_vccnz .LBB71_3030
; %bb.3021:
	v_mov_b32_e32 v2, 3
	v_cmp_lt_i16_sdwa s[2:3], s18, v2 src0_sel:BYTE_0 src1_sel:DWORD
	s_and_b64 vcc, exec, s[2:3]
	s_cbranch_vccnz .LBB71_3027
; %bb.3022:
	v_cmp_gt_i16_sdwa s[2:3], s18, v2 src0_sel:BYTE_0 src1_sel:DWORD
	s_and_b64 vcc, exec, s[2:3]
	s_cbranch_vccz .LBB71_3024
; %bb.3023:
	v_trunc_f64_e32 v[2:3], v[8:9]
	s_movk_i32 s0, 0xffe0
	v_ldexp_f64 v[4:5], v[2:3], s0
	v_floor_f64_e32 v[4:5], v[4:5]
	v_fmac_f64_e32 v[2:3], 0xc1f00000, v[4:5]
	v_cvt_i32_f64_e32 v7, v[4:5]
	v_cvt_u32_f64_e32 v6, v[2:3]
	global_store_dwordx2 v[0:1], v[6:7], off
	s_mov_b64 s[0:1], 0
.LBB71_3024:
	s_andn2_b64 vcc, exec, s[0:1]
	s_cbranch_vccnz .LBB71_3026
; %bb.3025:
	v_cvt_i32_f64_e32 v2, v[8:9]
	global_store_dword v[0:1], v2, off
.LBB71_3026:
	s_mov_b64 s[0:1], 0
.LBB71_3027:
	s_andn2_b64 vcc, exec, s[0:1]
	s_cbranch_vccnz .LBB71_3029
; %bb.3028:
	v_cvt_i32_f64_e32 v2, v[8:9]
	global_store_short v[0:1], v2, off
.LBB71_3029:
	s_mov_b64 s[0:1], 0
.LBB71_3030:
	s_andn2_b64 vcc, exec, s[0:1]
	s_cbranch_vccnz .LBB71_3035
; %bb.3031:
	v_mov_b32_e32 v2, 0
	v_cmp_gt_i16_sdwa s[2:3], s18, v2 src0_sel:BYTE_0 src1_sel:DWORD
	s_mov_b64 s[0:1], -1
	s_and_b64 vcc, exec, s[2:3]
	s_cbranch_vccz .LBB71_3033
; %bb.3032:
	v_cvt_i32_f64_e32 v2, v[8:9]
	global_store_byte v[0:1], v2, off
	s_mov_b64 s[0:1], 0
.LBB71_3033:
	s_andn2_b64 vcc, exec, s[0:1]
	s_cbranch_vccnz .LBB71_3035
; %bb.3034:
	v_trunc_f64_e32 v[2:3], v[8:9]
	s_movk_i32 s0, 0xffe0
	v_ldexp_f64 v[4:5], v[2:3], s0
	v_floor_f64_e32 v[4:5], v[4:5]
	v_fmac_f64_e32 v[2:3], 0xc1f00000, v[4:5]
	v_cvt_u32_f64_e32 v2, v[2:3]
	global_store_byte v[0:1], v2, off
.LBB71_3035:
	s_mov_b64 s[6:7], -1
.LBB71_3036:
	s_andn2_b64 vcc, exec, s[6:7]
	s_cbranch_vccnz .LBB71_3113
; %bb.3037:
	v_mov_b32_e32 v0, 0xff
	v_and_b32_e32 v2, s18, v0
	v_mov_b32_e32 v1, s9
	v_add_co_u32_e32 v0, vcc, s8, v14
	v_addc_co_u32_e32 v1, vcc, 0, v1, vcc
	s_brev_b32 s0, -2
	v_cmp_gt_i16_e32 vcc, 11, v2
	v_bfi_b32 v13, s0, v13, v17
	s_cbranch_vccnz .LBB71_3158
; %bb.3038:
	v_cmp_lt_i16_e32 vcc, 25, v2
	s_mov_b64 s[6:7], -1
	s_mov_b64 s[2:3], 0
	s_mov_b64 s[0:1], 0
	s_cbranch_vccz .LBB71_3071
; %bb.3039:
	v_cmp_lt_i16_e32 vcc, 28, v2
	s_cbranch_vccz .LBB71_3055
; %bb.3040:
	v_cmp_lt_i16_e32 vcc, 43, v2
	;; [unrolled: 3-line block ×3, first 2 shown]
	s_cbranch_vccz .LBB71_3045
; %bb.3042:
	v_cmp_eq_u16_e32 vcc, 46, v2
	s_mov_b64 s[0:1], -1
	s_cbranch_vccz .LBB71_3044
; %bb.3043:
	v_cvt_f32_f64_e32 v3, v[12:13]
	v_bfe_u32 v4, v3, 16, 1
	s_movk_i32 s0, 0x7fff
	v_add3_u32 v4, v3, v4, s0
	v_lshrrev_b32_e32 v4, 16, v4
	v_mov_b32_e32 v5, 0x7fc0
	v_cmp_o_f32_e32 vcc, v3, v3
	v_cndmask_b32_e32 v3, v5, v4, vcc
	global_store_dword v[0:1], v3, off
	s_mov_b64 s[0:1], 0
.LBB71_3044:
	s_mov_b64 s[6:7], 0
.LBB71_3045:
	s_and_b64 vcc, exec, s[6:7]
	s_cbranch_vccz .LBB71_3050
; %bb.3046:
	v_cmp_eq_u16_e32 vcc, 44, v2
	s_mov_b64 s[0:1], -1
	s_cbranch_vccz .LBB71_3050
; %bb.3047:
	v_cvt_f32_f64_e32 v3, v[12:13]
	v_bfe_u32 v4, v3, 23, 8
	s_movk_i32 s0, 0xff
	v_cmp_ne_u32_e32 vcc, s0, v4
	v_mov_b32_e32 v5, 0xff
	s_and_saveexec_b64 s[6:7], vcc
; %bb.3048:
	s_mov_b32 s0, 0x3fffff
	v_lshrrev_b32_e32 v5, 23, v3
	v_and_b32_e32 v6, 0x400000, v3
	v_and_or_b32 v3, v3, s0, v4
	v_cmp_ne_u32_e32 vcc, 0, v6
	v_cmp_ne_u32_e64 s[0:1], 0, v3
	s_and_b64 s[0:1], vcc, s[0:1]
	v_cndmask_b32_e64 v3, 0, 1, s[0:1]
	v_add_u32_e32 v5, v5, v3
; %bb.3049:
	s_or_b64 exec, exec, s[6:7]
	s_mov_b64 s[0:1], 0
	global_store_byte v[0:1], v5, off
.LBB71_3050:
	s_mov_b64 s[6:7], 0
.LBB71_3051:
	s_and_b64 vcc, exec, s[6:7]
	s_cbranch_vccz .LBB71_3054
; %bb.3052:
	v_cmp_eq_u16_e32 vcc, 29, v2
	s_mov_b64 s[0:1], -1
	s_cbranch_vccz .LBB71_3054
; %bb.3053:
	v_trunc_f64_e32 v[4:5], v[12:13]
	s_movk_i32 s0, 0xffe0
	v_ldexp_f64 v[6:7], v[4:5], s0
	v_floor_f64_e32 v[6:7], v[6:7]
	v_fmac_f64_e32 v[4:5], 0xc1f00000, v[6:7]
	v_cvt_u32_f64_e32 v9, v[6:7]
	v_cvt_u32_f64_e32 v8, v[4:5]
	global_store_dwordx2 v[0:1], v[8:9], off
	s_mov_b64 s[0:1], 0
.LBB71_3054:
	s_mov_b64 s[6:7], 0
.LBB71_3055:
	s_and_b64 vcc, exec, s[6:7]
	s_cbranch_vccz .LBB71_3070
; %bb.3056:
	v_cmp_gt_i16_e32 vcc, 27, v2
	s_mov_b64 s[6:7], -1
	s_cbranch_vccnz .LBB71_3062
; %bb.3057:
	v_cmp_lt_i16_e32 vcc, 27, v2
	v_cvt_u32_f64_e32 v3, v[12:13]
	s_cbranch_vccz .LBB71_3059
; %bb.3058:
	global_store_dword v[0:1], v3, off
	s_mov_b64 s[6:7], 0
.LBB71_3059:
	s_andn2_b64 vcc, exec, s[6:7]
	s_cbranch_vccnz .LBB71_3061
; %bb.3060:
	global_store_short v[0:1], v3, off
.LBB71_3061:
	s_mov_b64 s[6:7], 0
.LBB71_3062:
	s_andn2_b64 vcc, exec, s[6:7]
	s_cbranch_vccnz .LBB71_3070
; %bb.3063:
	v_cvt_f32_f64_e32 v3, v[12:13]
	v_and_b32_e32 v4, 0x7fffffff, v3
	s_mov_b32 s6, 0x43800000
	v_cmp_gt_u32_e32 vcc, s6, v4
	v_mov_b32_e32 v5, 0x80
	s_and_saveexec_b64 s[6:7], vcc
	s_cbranch_execz .LBB71_3069
; %bb.3064:
	s_mov_b32 s8, 0x3bffffff
	v_cmp_lt_u32_e32 vcc, s8, v4
	s_mov_b64 s[8:9], 0
                                        ; implicit-def: $vgpr4
	s_and_saveexec_b64 s[10:11], vcc
	s_xor_b64 s[10:11], exec, s[10:11]
	s_cbranch_execz .LBB71_3164
; %bb.3065:
	v_bfe_u32 v4, v3, 20, 1
	s_mov_b32 s16, 0x487ffff
	v_add3_u32 v4, v3, v4, s16
	s_mov_b64 s[8:9], exec
	v_lshrrev_b32_e32 v4, 20, v4
	s_or_saveexec_b64 s[10:11], s[10:11]
                                        ; implicit-def: $sgpr16
	s_xor_b64 exec, exec, s[10:11]
	s_cbranch_execnz .LBB71_3165
.LBB71_3066:
	s_or_b64 exec, exec, s[10:11]
	v_mov_b32_e32 v5, s16
	s_and_saveexec_b64 s[10:11], s[8:9]
.LBB71_3067:
	v_lshrrev_b32_e32 v3, 24, v3
	s_movk_i32 s8, 0x80
	v_and_or_b32 v5, v3, s8, v4
.LBB71_3068:
	s_or_b64 exec, exec, s[10:11]
.LBB71_3069:
	s_or_b64 exec, exec, s[6:7]
	global_store_byte v[0:1], v5, off
.LBB71_3070:
	s_mov_b64 s[6:7], 0
.LBB71_3071:
	s_and_b64 vcc, exec, s[6:7]
	s_cbranch_vccz .LBB71_3111
; %bb.3072:
	v_cmp_lt_i16_e32 vcc, 22, v2
	s_mov_b64 s[2:3], -1
	s_cbranch_vccz .LBB71_3104
; %bb.3073:
	v_cmp_gt_i16_e32 vcc, 24, v2
	s_cbranch_vccnz .LBB71_3093
; %bb.3074:
	v_cmp_lt_i16_e32 vcc, 24, v2
	s_cbranch_vccz .LBB71_3082
; %bb.3075:
	v_cvt_f32_f64_e32 v3, v[12:13]
	v_and_b32_e32 v4, 0x7fffffff, v3
	s_mov_b32 s2, 0x47800000
	v_cmp_gt_u32_e32 vcc, s2, v4
	v_mov_b32_e32 v5, 0x80
	s_and_saveexec_b64 s[2:3], vcc
	s_cbranch_execz .LBB71_3081
; %bb.3076:
	s_mov_b32 s6, 0x37ffffff
	v_cmp_lt_u32_e32 vcc, s6, v4
	s_mov_b64 s[6:7], 0
                                        ; implicit-def: $vgpr4
	s_and_saveexec_b64 s[8:9], vcc
	s_xor_b64 s[8:9], exec, s[8:9]
	s_cbranch_execz .LBB71_3167
; %bb.3077:
	v_bfe_u32 v4, v3, 21, 1
	s_mov_b32 s10, 0x88fffff
	v_add3_u32 v4, v3, v4, s10
	s_mov_b64 s[6:7], exec
	v_lshrrev_b32_e32 v4, 21, v4
	s_or_saveexec_b64 s[8:9], s[8:9]
                                        ; implicit-def: $sgpr10
	s_xor_b64 exec, exec, s[8:9]
	s_cbranch_execnz .LBB71_3168
.LBB71_3078:
	s_or_b64 exec, exec, s[8:9]
	v_mov_b32_e32 v5, s10
	s_and_saveexec_b64 s[8:9], s[6:7]
.LBB71_3079:
	v_lshrrev_b32_e32 v3, 24, v3
	s_movk_i32 s6, 0x80
	v_and_or_b32 v5, v3, s6, v4
.LBB71_3080:
	s_or_b64 exec, exec, s[8:9]
.LBB71_3081:
	s_or_b64 exec, exec, s[2:3]
	s_mov_b64 s[2:3], 0
	global_store_byte v[0:1], v5, off
.LBB71_3082:
	s_and_b64 vcc, exec, s[2:3]
	s_cbranch_vccz .LBB71_3092
; %bb.3083:
	v_cvt_f32_f64_e32 v3, v[12:13]
	v_and_b32_e32 v5, 0x7fffffff, v3
	s_mov_b32 s2, 0x43f00000
	v_cmp_gt_u32_e32 vcc, s2, v5
                                        ; implicit-def: $vgpr4
	s_and_saveexec_b64 s[2:3], vcc
	s_xor_b64 s[2:3], exec, s[2:3]
	s_cbranch_execz .LBB71_3089
; %bb.3084:
	s_mov_b32 s6, 0x3c7fffff
	v_cmp_lt_u32_e32 vcc, s6, v5
                                        ; implicit-def: $vgpr4
	s_and_saveexec_b64 s[6:7], vcc
	s_xor_b64 s[6:7], exec, s[6:7]
; %bb.3085:
	v_bfe_u32 v4, v3, 20, 1
	s_mov_b32 s8, 0x407ffff
	v_add3_u32 v4, v3, v4, s8
	v_lshrrev_b32_e32 v5, 20, v4
	v_and_b32_e32 v4, 0xff00000, v4
	s_mov_b32 s8, 0x7f00000
	v_mov_b32_e32 v6, 0x7e
	v_cmp_ne_u32_e32 vcc, s8, v4
	v_cndmask_b32_e32 v4, v6, v5, vcc
; %bb.3086:
	s_andn2_saveexec_b64 s[6:7], s[6:7]
; %bb.3087:
	s_mov_b32 s8, 0x46800000
	v_add_f32_e64 v4, |v3|, s8
; %bb.3088:
	s_or_b64 exec, exec, s[6:7]
                                        ; implicit-def: $vgpr5
.LBB71_3089:
	s_andn2_saveexec_b64 s[2:3], s[2:3]
; %bb.3090:
	s_mov_b32 s6, 0x7f800000
	v_mov_b32_e32 v4, 0x7e
	v_mov_b32_e32 v6, 0x7f
	v_cmp_lt_u32_e32 vcc, s6, v5
	v_cndmask_b32_e32 v4, v4, v6, vcc
; %bb.3091:
	s_or_b64 exec, exec, s[2:3]
	v_lshrrev_b32_e32 v3, 24, v3
	s_movk_i32 s2, 0x80
	v_and_or_b32 v3, v3, s2, v4
	global_store_byte v[0:1], v3, off
.LBB71_3092:
	s_mov_b64 s[2:3], 0
.LBB71_3093:
	s_andn2_b64 vcc, exec, s[2:3]
	s_cbranch_vccnz .LBB71_3103
; %bb.3094:
	v_cvt_f32_f64_e32 v3, v[12:13]
	v_and_b32_e32 v5, 0x7fffffff, v3
	s_mov_b32 s2, 0x47800000
	v_cmp_gt_u32_e32 vcc, s2, v5
                                        ; implicit-def: $vgpr4
	s_and_saveexec_b64 s[2:3], vcc
	s_xor_b64 s[2:3], exec, s[2:3]
	s_cbranch_execz .LBB71_3100
; %bb.3095:
	s_mov_b32 s6, 0x387fffff
	v_cmp_lt_u32_e32 vcc, s6, v5
                                        ; implicit-def: $vgpr4
	s_and_saveexec_b64 s[6:7], vcc
	s_xor_b64 s[6:7], exec, s[6:7]
; %bb.3096:
	v_bfe_u32 v4, v3, 21, 1
	s_mov_b32 s8, 0x80fffff
	v_add3_u32 v4, v3, v4, s8
	v_lshrrev_b32_e32 v4, 21, v4
; %bb.3097:
	s_andn2_saveexec_b64 s[6:7], s[6:7]
; %bb.3098:
	s_mov_b32 s8, 0x43000000
	v_add_f32_e64 v4, |v3|, s8
; %bb.3099:
	s_or_b64 exec, exec, s[6:7]
                                        ; implicit-def: $vgpr5
.LBB71_3100:
	s_andn2_saveexec_b64 s[2:3], s[2:3]
; %bb.3101:
	s_mov_b32 s6, 0x7f800000
	v_mov_b32_e32 v4, 0x7c
	v_mov_b32_e32 v6, 0x7f
	v_cmp_lt_u32_e32 vcc, s6, v5
	v_cndmask_b32_e32 v4, v4, v6, vcc
; %bb.3102:
	s_or_b64 exec, exec, s[2:3]
	v_lshrrev_b32_e32 v3, 24, v3
	s_movk_i32 s2, 0x80
	v_and_or_b32 v3, v3, s2, v4
	global_store_byte v[0:1], v3, off
.LBB71_3103:
	s_mov_b64 s[2:3], 0
.LBB71_3104:
	s_andn2_b64 vcc, exec, s[2:3]
	s_mov_b64 s[2:3], 0
	s_cbranch_vccnz .LBB71_3111
; %bb.3105:
	v_cmp_lt_i16_e32 vcc, 14, v2
	s_mov_b64 s[6:7], -1
	s_cbranch_vccz .LBB71_3109
; %bb.3106:
	v_cmp_eq_u16_e32 vcc, 15, v2
	s_mov_b64 s[0:1], -1
	s_cbranch_vccz .LBB71_3108
; %bb.3107:
	v_cvt_f32_f64_e32 v3, v[12:13]
	v_bfe_u32 v4, v3, 16, 1
	s_movk_i32 s0, 0x7fff
	v_add3_u32 v4, v3, v4, s0
	v_lshrrev_b32_e32 v4, 16, v4
	v_mov_b32_e32 v5, 0x7fc0
	v_cmp_o_f32_e32 vcc, v3, v3
	v_cndmask_b32_e32 v3, v5, v4, vcc
	global_store_short v[0:1], v3, off
	s_mov_b64 s[0:1], 0
.LBB71_3108:
	s_mov_b64 s[6:7], 0
.LBB71_3109:
	s_and_b64 vcc, exec, s[6:7]
	s_cbranch_vccz .LBB71_3111
; %bb.3110:
	v_cmp_ne_u16_e64 s[0:1], 11, v2
	s_mov_b64 s[2:3], -1
.LBB71_3111:
	s_and_b64 vcc, exec, s[0:1]
	s_cbranch_vccnz .LBB71_3166
.LBB71_3112:
	s_mov_b64 s[0:1], 0
	s_branch .LBB71_3114
.LBB71_3113:
	s_mov_b64 s[0:1], 0
	s_mov_b64 s[2:3], 0
                                        ; implicit-def: $vgpr0_vgpr1
                                        ; implicit-def: $vgpr2
                                        ; implicit-def: $vgpr12_vgpr13
.LBB71_3114:
	s_and_b64 s[6:7], s[2:3], exec
	s_andn2_b64 s[2:3], s[12:13], exec
	s_and_b64 s[4:5], s[4:5], exec
	s_and_b64 s[0:1], s[0:1], exec
	s_or_b64 s[12:13], s[2:3], s[4:5]
.LBB71_3115:
	s_or_b64 exec, exec, s[14:15]
	s_and_saveexec_b64 s[2:3], s[12:13]
	s_cbranch_execz .LBB71_3118
; %bb.3116:
	; divergent unreachable
	s_or_b64 exec, exec, s[2:3]
	s_and_saveexec_b64 s[2:3], s[6:7]
	s_xor_b64 s[2:3], exec, s[2:3]
	s_cbranch_execnz .LBB71_3119
.LBB71_3117:
	s_or_b64 exec, exec, s[2:3]
	s_and_saveexec_b64 s[2:3], s[0:1]
	s_cbranch_execnz .LBB71_3120
	s_branch .LBB71_3157
.LBB71_3118:
	s_or_b64 exec, exec, s[2:3]
	s_and_saveexec_b64 s[2:3], s[6:7]
	s_xor_b64 s[2:3], exec, s[2:3]
	s_cbranch_execz .LBB71_3117
.LBB71_3119:
	s_waitcnt vmcnt(0)
	v_cmp_neq_f64_e32 vcc, 0, v[12:13]
	v_cndmask_b32_e64 v3, 0, 1, vcc
	global_store_byte v[0:1], v3, off
	s_or_b64 exec, exec, s[2:3]
	s_and_saveexec_b64 s[2:3], s[0:1]
	s_cbranch_execz .LBB71_3157
.LBB71_3120:
	v_cmp_gt_i16_e32 vcc, 5, v2
	s_mov_b64 s[0:1], -1
	s_cbranch_vccnz .LBB71_3141
; %bb.3121:
	v_cmp_gt_i16_e32 vcc, 8, v2
	s_cbranch_vccnz .LBB71_3131
; %bb.3122:
	v_cmp_gt_i16_e32 vcc, 9, v2
	s_cbranch_vccnz .LBB71_3128
; %bb.3123:
	v_cmp_lt_i16_e32 vcc, 9, v2
	s_cbranch_vccz .LBB71_3125
; %bb.3124:
	v_mov_b32_e32 v14, 0
	v_mov_b32_e32 v15, v14
	s_waitcnt vmcnt(0)
	global_store_dwordx4 v[0:1], v[12:15], off
	s_mov_b64 s[0:1], 0
.LBB71_3125:
	s_andn2_b64 vcc, exec, s[0:1]
	s_cbranch_vccnz .LBB71_3127
; %bb.3126:
	s_waitcnt vmcnt(0)
	v_cvt_f32_f64_e32 v4, v[12:13]
	v_mov_b32_e32 v5, 0
	global_store_dwordx2 v[0:1], v[4:5], off
.LBB71_3127:
	s_mov_b64 s[0:1], 0
.LBB71_3128:
	s_andn2_b64 vcc, exec, s[0:1]
	s_cbranch_vccnz .LBB71_3130
; %bb.3129:
	s_waitcnt vmcnt(0)
	v_cvt_f32_f64_e32 v3, v[12:13]
	v_cvt_f16_f32_e32 v3, v3
	global_store_dword v[0:1], v3, off
.LBB71_3130:
	s_mov_b64 s[0:1], 0
.LBB71_3131:
	s_andn2_b64 vcc, exec, s[0:1]
	s_cbranch_vccnz .LBB71_3140
; %bb.3132:
	v_cmp_gt_i16_e32 vcc, 6, v2
	s_mov_b64 s[0:1], -1
	s_cbranch_vccnz .LBB71_3138
; %bb.3133:
	v_cmp_lt_i16_e32 vcc, 6, v2
	s_cbranch_vccz .LBB71_3135
; %bb.3134:
	s_waitcnt vmcnt(0)
	global_store_dwordx2 v[0:1], v[12:13], off
	s_mov_b64 s[0:1], 0
.LBB71_3135:
	s_andn2_b64 vcc, exec, s[0:1]
	s_cbranch_vccnz .LBB71_3137
; %bb.3136:
	s_waitcnt vmcnt(0)
	v_cvt_f32_f64_e32 v3, v[12:13]
	global_store_dword v[0:1], v3, off
.LBB71_3137:
	s_mov_b64 s[0:1], 0
.LBB71_3138:
	s_andn2_b64 vcc, exec, s[0:1]
	s_cbranch_vccnz .LBB71_3140
; %bb.3139:
	s_waitcnt vmcnt(0)
	v_cvt_f32_f64_e32 v3, v[12:13]
	v_cvt_f16_f32_e32 v3, v3
	global_store_short v[0:1], v3, off
.LBB71_3140:
	s_mov_b64 s[0:1], 0
.LBB71_3141:
	s_andn2_b64 vcc, exec, s[0:1]
	s_cbranch_vccnz .LBB71_3157
; %bb.3142:
	v_cmp_gt_i16_e32 vcc, 2, v2
	s_mov_b64 s[0:1], -1
	s_cbranch_vccnz .LBB71_3152
; %bb.3143:
	v_cmp_gt_i16_e32 vcc, 3, v2
	s_cbranch_vccnz .LBB71_3149
; %bb.3144:
	v_cmp_lt_i16_e32 vcc, 3, v2
	s_cbranch_vccz .LBB71_3146
; %bb.3145:
	s_waitcnt vmcnt(0)
	v_trunc_f64_e32 v[4:5], v[12:13]
	s_movk_i32 s0, 0xffe0
	v_ldexp_f64 v[6:7], v[4:5], s0
	v_floor_f64_e32 v[6:7], v[6:7]
	v_fmac_f64_e32 v[4:5], 0xc1f00000, v[6:7]
	v_cvt_i32_f64_e32 v9, v[6:7]
	v_cvt_u32_f64_e32 v8, v[4:5]
	global_store_dwordx2 v[0:1], v[8:9], off
	s_mov_b64 s[0:1], 0
.LBB71_3146:
	s_andn2_b64 vcc, exec, s[0:1]
	s_cbranch_vccnz .LBB71_3148
; %bb.3147:
	s_waitcnt vmcnt(0)
	v_cvt_i32_f64_e32 v3, v[12:13]
	global_store_dword v[0:1], v3, off
.LBB71_3148:
	s_mov_b64 s[0:1], 0
.LBB71_3149:
	s_andn2_b64 vcc, exec, s[0:1]
	s_cbranch_vccnz .LBB71_3151
; %bb.3150:
	s_waitcnt vmcnt(0)
	v_cvt_i32_f64_e32 v3, v[12:13]
	global_store_short v[0:1], v3, off
.LBB71_3151:
	s_mov_b64 s[0:1], 0
.LBB71_3152:
	s_andn2_b64 vcc, exec, s[0:1]
	s_cbranch_vccnz .LBB71_3157
; %bb.3153:
	v_cmp_lt_i16_e32 vcc, 0, v2
	s_mov_b64 s[0:1], -1
	s_cbranch_vccz .LBB71_3155
; %bb.3154:
	s_waitcnt vmcnt(0)
	v_cvt_i32_f64_e32 v2, v[12:13]
	global_store_byte v[0:1], v2, off
	s_mov_b64 s[0:1], 0
.LBB71_3155:
	s_andn2_b64 vcc, exec, s[0:1]
	s_cbranch_vccnz .LBB71_3157
; %bb.3156:
	s_waitcnt vmcnt(0)
	v_trunc_f64_e32 v[2:3], v[12:13]
	s_movk_i32 s0, 0xffe0
	v_ldexp_f64 v[4:5], v[2:3], s0
	v_floor_f64_e32 v[4:5], v[4:5]
	v_fmac_f64_e32 v[2:3], 0xc1f00000, v[4:5]
	v_cvt_u32_f64_e32 v2, v[2:3]
	global_store_byte v[0:1], v2, off
	s_endpgm
.LBB71_3157:
	s_endpgm
.LBB71_3158:
	s_mov_b64 s[2:3], 0
	s_mov_b64 s[0:1], -1
	s_branch .LBB71_3114
.LBB71_3159:
	s_or_saveexec_b64 s[16:17], s[16:17]
                                        ; implicit-def: $sgpr19
	s_xor_b64 exec, exec, s[16:17]
	s_cbranch_execz .LBB71_2947
.LBB71_3160:
	s_mov_b32 s19, 0x46000000
	v_add_f32_e64 v3, |v2|, s19
	v_and_b32_e32 v3, 0xff, v3
	v_cmp_ne_u32_e32 vcc, 0, v3
	s_andn2_b64 s[10:11], s[10:11], exec
	s_and_b64 s[20:21], vcc, exec
	s_mov_b32 s19, 0
	s_or_b64 s[10:11], s[10:11], s[20:21]
	s_or_b64 exec, exec, s[16:17]
	v_mov_b32_e32 v4, s19
	s_and_saveexec_b64 s[16:17], s[10:11]
	s_cbranch_execnz .LBB71_2948
	s_branch .LBB71_2949
.LBB71_3161:
	s_trap 2
	s_or_b64 s[4:5], s[4:5], exec
	s_cbranch_execz .LBB71_2995
	s_branch .LBB71_2996
.LBB71_3162:
	s_or_saveexec_b64 s[10:11], s[10:11]
                                        ; implicit-def: $sgpr16
	s_xor_b64 exec, exec, s[10:11]
	s_cbranch_execz .LBB71_2960
.LBB71_3163:
	s_mov_b32 s16, 0x42800000
	v_add_f32_e64 v3, |v2|, s16
	v_and_b32_e32 v3, 0xff, v3
	v_cmp_ne_u32_e32 vcc, 0, v3
	s_andn2_b64 s[6:7], s[6:7], exec
	s_and_b64 s[20:21], vcc, exec
	s_mov_b32 s16, 0
	s_or_b64 s[6:7], s[6:7], s[20:21]
	s_or_b64 exec, exec, s[10:11]
	v_mov_b32_e32 v4, s16
	s_and_saveexec_b64 s[10:11], s[6:7]
	s_cbranch_execnz .LBB71_2961
	s_branch .LBB71_2962
.LBB71_3164:
	s_or_saveexec_b64 s[10:11], s[10:11]
                                        ; implicit-def: $sgpr16
	s_xor_b64 exec, exec, s[10:11]
	s_cbranch_execz .LBB71_3066
.LBB71_3165:
	s_mov_b32 s16, 0x46000000
	v_add_f32_e64 v4, |v3|, s16
	v_and_b32_e32 v4, 0xff, v4
	v_cmp_ne_u32_e32 vcc, 0, v4
	s_andn2_b64 s[8:9], s[8:9], exec
	s_and_b64 s[18:19], vcc, exec
	s_mov_b32 s16, 0
	s_or_b64 s[8:9], s[8:9], s[18:19]
	s_or_b64 exec, exec, s[10:11]
	v_mov_b32_e32 v5, s16
	s_and_saveexec_b64 s[10:11], s[8:9]
	s_cbranch_execnz .LBB71_3067
	s_branch .LBB71_3068
.LBB71_3166:
	s_mov_b64 s[2:3], 0
	s_or_b64 s[4:5], s[4:5], exec
	s_trap 2
	s_branch .LBB71_3112
.LBB71_3167:
	s_or_saveexec_b64 s[8:9], s[8:9]
                                        ; implicit-def: $sgpr10
	s_xor_b64 exec, exec, s[8:9]
	s_cbranch_execz .LBB71_3078
.LBB71_3168:
	s_mov_b32 s10, 0x42800000
	v_add_f32_e64 v4, |v3|, s10
	v_and_b32_e32 v4, 0xff, v4
	v_cmp_ne_u32_e32 vcc, 0, v4
	s_andn2_b64 s[6:7], s[6:7], exec
	s_and_b64 s[16:17], vcc, exec
	s_mov_b32 s10, 0
	s_or_b64 s[6:7], s[6:7], s[16:17]
	s_or_b64 exec, exec, s[8:9]
	v_mov_b32_e32 v5, s10
	s_and_saveexec_b64 s[8:9], s[6:7]
	s_cbranch_execnz .LBB71_3079
	s_branch .LBB71_3080
	.section	.rodata,"a",@progbits
	.p2align	6, 0x0
	.amdhsa_kernel _ZN2at6native32elementwise_kernel_manual_unrollILi128ELi4EZNS0_15gpu_kernel_implINS0_13BinaryFunctorIdddZZZNS0_20copysign_kernel_cudaERNS_18TensorIteratorBaseEENKUlvE_clEvENKUlvE_clEvEUlddE_EEEEvS5_RKT_EUlibE0_EEviT1_
		.amdhsa_group_segment_fixed_size 0
		.amdhsa_private_segment_fixed_size 0
		.amdhsa_kernarg_size 432
		.amdhsa_user_sgpr_count 6
		.amdhsa_user_sgpr_private_segment_buffer 1
		.amdhsa_user_sgpr_dispatch_ptr 0
		.amdhsa_user_sgpr_queue_ptr 0
		.amdhsa_user_sgpr_kernarg_segment_ptr 1
		.amdhsa_user_sgpr_dispatch_id 0
		.amdhsa_user_sgpr_flat_scratch_init 0
		.amdhsa_user_sgpr_kernarg_preload_length 0
		.amdhsa_user_sgpr_kernarg_preload_offset 0
		.amdhsa_user_sgpr_private_segment_size 0
		.amdhsa_uses_dynamic_stack 0
		.amdhsa_system_sgpr_private_segment_wavefront_offset 0
		.amdhsa_system_sgpr_workgroup_id_x 1
		.amdhsa_system_sgpr_workgroup_id_y 0
		.amdhsa_system_sgpr_workgroup_id_z 0
		.amdhsa_system_sgpr_workgroup_info 0
		.amdhsa_system_vgpr_workitem_id 0
		.amdhsa_next_free_vgpr 28
		.amdhsa_next_free_sgpr 78
		.amdhsa_accum_offset 28
		.amdhsa_reserve_vcc 1
		.amdhsa_reserve_flat_scratch 0
		.amdhsa_float_round_mode_32 0
		.amdhsa_float_round_mode_16_64 0
		.amdhsa_float_denorm_mode_32 3
		.amdhsa_float_denorm_mode_16_64 3
		.amdhsa_dx10_clamp 1
		.amdhsa_ieee_mode 1
		.amdhsa_fp16_overflow 0
		.amdhsa_tg_split 0
		.amdhsa_exception_fp_ieee_invalid_op 0
		.amdhsa_exception_fp_denorm_src 0
		.amdhsa_exception_fp_ieee_div_zero 0
		.amdhsa_exception_fp_ieee_overflow 0
		.amdhsa_exception_fp_ieee_underflow 0
		.amdhsa_exception_fp_ieee_inexact 0
		.amdhsa_exception_int_div_zero 0
	.end_amdhsa_kernel
	.section	.text._ZN2at6native32elementwise_kernel_manual_unrollILi128ELi4EZNS0_15gpu_kernel_implINS0_13BinaryFunctorIdddZZZNS0_20copysign_kernel_cudaERNS_18TensorIteratorBaseEENKUlvE_clEvENKUlvE_clEvEUlddE_EEEEvS5_RKT_EUlibE0_EEviT1_,"axG",@progbits,_ZN2at6native32elementwise_kernel_manual_unrollILi128ELi4EZNS0_15gpu_kernel_implINS0_13BinaryFunctorIdddZZZNS0_20copysign_kernel_cudaERNS_18TensorIteratorBaseEENKUlvE_clEvENKUlvE_clEvEUlddE_EEEEvS5_RKT_EUlibE0_EEviT1_,comdat
.Lfunc_end71:
	.size	_ZN2at6native32elementwise_kernel_manual_unrollILi128ELi4EZNS0_15gpu_kernel_implINS0_13BinaryFunctorIdddZZZNS0_20copysign_kernel_cudaERNS_18TensorIteratorBaseEENKUlvE_clEvENKUlvE_clEvEUlddE_EEEEvS5_RKT_EUlibE0_EEviT1_, .Lfunc_end71-_ZN2at6native32elementwise_kernel_manual_unrollILi128ELi4EZNS0_15gpu_kernel_implINS0_13BinaryFunctorIdddZZZNS0_20copysign_kernel_cudaERNS_18TensorIteratorBaseEENKUlvE_clEvENKUlvE_clEvEUlddE_EEEEvS5_RKT_EUlibE0_EEviT1_
                                        ; -- End function
	.section	.AMDGPU.csdata,"",@progbits
; Kernel info:
; codeLenInByte = 57820
; NumSgprs: 82
; NumVgprs: 28
; NumAgprs: 0
; TotalNumVgprs: 28
; ScratchSize: 0
; MemoryBound: 1
; FloatMode: 240
; IeeeMode: 1
; LDSByteSize: 0 bytes/workgroup (compile time only)
; SGPRBlocks: 10
; VGPRBlocks: 3
; NumSGPRsForWavesPerEU: 82
; NumVGPRsForWavesPerEU: 28
; AccumOffset: 28
; Occupancy: 8
; WaveLimiterHint : 1
; COMPUTE_PGM_RSRC2:SCRATCH_EN: 0
; COMPUTE_PGM_RSRC2:USER_SGPR: 6
; COMPUTE_PGM_RSRC2:TRAP_HANDLER: 0
; COMPUTE_PGM_RSRC2:TGID_X_EN: 1
; COMPUTE_PGM_RSRC2:TGID_Y_EN: 0
; COMPUTE_PGM_RSRC2:TGID_Z_EN: 0
; COMPUTE_PGM_RSRC2:TIDIG_COMP_CNT: 0
; COMPUTE_PGM_RSRC3_GFX90A:ACCUM_OFFSET: 6
; COMPUTE_PGM_RSRC3_GFX90A:TG_SPLIT: 0
	.section	.text._ZN2at6native29vectorized_elementwise_kernelILi16ENS0_13AUnaryFunctorIfffZZZNS0_20copysign_kernel_cudaERNS_18TensorIteratorBaseEENKUlvE_clEvENKUlvE0_clEvEUlffE_EESt5arrayIPcLm2EEEEviT0_T1_,"axG",@progbits,_ZN2at6native29vectorized_elementwise_kernelILi16ENS0_13AUnaryFunctorIfffZZZNS0_20copysign_kernel_cudaERNS_18TensorIteratorBaseEENKUlvE_clEvENKUlvE0_clEvEUlffE_EESt5arrayIPcLm2EEEEviT0_T1_,comdat
	.globl	_ZN2at6native29vectorized_elementwise_kernelILi16ENS0_13AUnaryFunctorIfffZZZNS0_20copysign_kernel_cudaERNS_18TensorIteratorBaseEENKUlvE_clEvENKUlvE0_clEvEUlffE_EESt5arrayIPcLm2EEEEviT0_T1_ ; -- Begin function _ZN2at6native29vectorized_elementwise_kernelILi16ENS0_13AUnaryFunctorIfffZZZNS0_20copysign_kernel_cudaERNS_18TensorIteratorBaseEENKUlvE_clEvENKUlvE0_clEvEUlffE_EESt5arrayIPcLm2EEEEviT0_T1_
	.p2align	8
	.type	_ZN2at6native29vectorized_elementwise_kernelILi16ENS0_13AUnaryFunctorIfffZZZNS0_20copysign_kernel_cudaERNS_18TensorIteratorBaseEENKUlvE_clEvENKUlvE0_clEvEUlffE_EESt5arrayIPcLm2EEEEviT0_T1_,@function
_ZN2at6native29vectorized_elementwise_kernelILi16ENS0_13AUnaryFunctorIfffZZZNS0_20copysign_kernel_cudaERNS_18TensorIteratorBaseEENKUlvE_clEvENKUlvE0_clEvEUlffE_EESt5arrayIPcLm2EEEEviT0_T1_: ; @_ZN2at6native29vectorized_elementwise_kernelILi16ENS0_13AUnaryFunctorIfffZZZNS0_20copysign_kernel_cudaERNS_18TensorIteratorBaseEENKUlvE_clEvENKUlvE0_clEvEUlffE_EESt5arrayIPcLm2EEEEviT0_T1_
; %bb.0:
	s_load_dword s0, s[4:5], 0x0
	s_load_dword s7, s[4:5], 0x8
	s_load_dwordx4 s[8:11], s[4:5], 0x10
	s_lshl_b32 s2, s6, 10
	s_waitcnt lgkmcnt(0)
	s_sub_i32 s6, s0, s2
	s_cmpk_gt_i32 s6, 0x3ff
	s_mov_b64 s[0:1], -1
	s_cbranch_scc0 .LBB72_2
; %bb.1:
	s_ashr_i32 s3, s2, 31
	s_lshl_b64 s[0:1], s[2:3], 2
	s_add_u32 s4, s10, s0
	s_addc_u32 s5, s11, s1
	v_lshlrev_b32_e32 v1, 4, v0
	global_load_dwordx4 v[2:5], v1, s[4:5]
	s_brev_b32 s3, -2
	v_mov_b32_e32 v6, s7
	s_add_u32 s0, s8, s0
	s_addc_u32 s1, s9, s1
	s_waitcnt vmcnt(0)
	v_bfi_b32 v3, s3, v6, v3
	v_bfi_b32 v2, s3, v6, v2
	;; [unrolled: 1-line block ×4, first 2 shown]
	global_store_dwordx4 v1, v[2:5], s[0:1]
	s_mov_b64 s[0:1], 0
.LBB72_2:
	s_andn2_b64 vcc, exec, s[0:1]
	s_cbranch_vccnz .LBB72_16
; %bb.3:
	v_cmp_gt_i32_e32 vcc, s6, v0
	v_mov_b32_e32 v1, 0
	v_or_b32_e32 v2, s2, v0
	v_mov_b32_e32 v3, 0
	v_mov_b32_e32 v4, v0
	s_and_saveexec_b64 s[4:5], vcc
	s_cbranch_execz .LBB72_5
; %bb.4:
	v_mov_b32_e32 v3, 0
	v_lshlrev_b64 v[4:5], 2, v[2:3]
	v_mov_b32_e32 v3, s11
	v_add_co_u32_e64 v4, s[0:1], s10, v4
	v_addc_co_u32_e64 v5, s[0:1], v3, v5, s[0:1]
	global_load_dword v3, v[4:5], off
	v_or_b32_e32 v4, 0x100, v0
.LBB72_5:
	s_or_b64 exec, exec, s[4:5]
	v_cmp_gt_i32_e64 s[0:1], s6, v4
	s_and_saveexec_b64 s[4:5], s[0:1]
	s_cbranch_execz .LBB72_7
; %bb.6:
	v_add_u32_e32 v6, s2, v4
	v_mov_b32_e32 v7, 0
	v_lshlrev_b64 v[6:7], 2, v[6:7]
	v_mov_b32_e32 v1, s11
	v_add_co_u32_e64 v6, s[0:1], s10, v6
	v_addc_co_u32_e64 v7, s[0:1], v1, v7, s[0:1]
	global_load_dword v1, v[6:7], off
	v_add_u32_e32 v4, 0x100, v4
.LBB72_7:
	s_or_b64 exec, exec, s[4:5]
	v_cmp_gt_i32_e64 s[0:1], s6, v4
	v_mov_b32_e32 v6, 0
	v_mov_b32_e32 v7, 0
	s_and_saveexec_b64 s[4:5], s[0:1]
	s_cbranch_execz .LBB72_9
; %bb.8:
	v_add_u32_e32 v8, s2, v4
	v_mov_b32_e32 v9, 0
	v_lshlrev_b64 v[8:9], 2, v[8:9]
	v_mov_b32_e32 v5, s11
	v_add_co_u32_e64 v8, s[0:1], s10, v8
	v_addc_co_u32_e64 v9, s[0:1], v5, v9, s[0:1]
	global_load_dword v7, v[8:9], off
	v_add_u32_e32 v4, 0x100, v4
.LBB72_9:
	s_or_b64 exec, exec, s[4:5]
	v_cmp_gt_i32_e64 s[0:1], s6, v4
	s_and_saveexec_b64 s[4:5], s[0:1]
	s_cbranch_execz .LBB72_11
; %bb.10:
	v_add_u32_e32 v4, s2, v4
	v_mov_b32_e32 v5, 0
	v_lshlrev_b64 v[4:5], 2, v[4:5]
	v_mov_b32_e32 v6, s11
	v_add_co_u32_e64 v4, s[0:1], s10, v4
	v_addc_co_u32_e64 v5, s[0:1], v6, v5, s[0:1]
	global_load_dword v6, v[4:5], off
.LBB72_11:
	s_or_b64 exec, exec, s[4:5]
	s_brev_b32 s0, -2
	v_mov_b32_e32 v9, s7
	s_waitcnt vmcnt(0)
	v_bfi_b32 v8, s0, v9, v3
	v_bfi_b32 v5, s0, v9, v1
	;; [unrolled: 1-line block ×4, first 2 shown]
	s_and_saveexec_b64 s[0:1], vcc
	s_cbranch_execnz .LBB72_17
; %bb.12:
	s_or_b64 exec, exec, s[0:1]
	v_cmp_gt_i32_e32 vcc, s6, v0
	s_and_saveexec_b64 s[0:1], vcc
	s_cbranch_execnz .LBB72_18
.LBB72_13:
	s_or_b64 exec, exec, s[0:1]
	v_cmp_gt_i32_e32 vcc, s6, v0
	s_and_saveexec_b64 s[0:1], vcc
	s_cbranch_execnz .LBB72_19
.LBB72_14:
	s_or_b64 exec, exec, s[0:1]
	v_cmp_gt_i32_e32 vcc, s6, v0
	s_and_saveexec_b64 s[0:1], vcc
	s_cbranch_execz .LBB72_16
.LBB72_15:
	v_add_u32_e32 v2, s2, v0
	v_mov_b32_e32 v3, 0
	v_lshlrev_b64 v[2:3], 2, v[2:3]
	v_mov_b32_e32 v0, s9
	v_add_co_u32_e32 v2, vcc, s8, v2
	v_addc_co_u32_e32 v3, vcc, v0, v3, vcc
	global_store_dword v[2:3], v1, off
.LBB72_16:
	s_endpgm
.LBB72_17:
	v_mov_b32_e32 v3, 0
	v_lshlrev_b64 v[2:3], 2, v[2:3]
	v_mov_b32_e32 v6, s9
	v_add_co_u32_e32 v2, vcc, s8, v2
	v_or_b32_e32 v0, 0x100, v0
	v_addc_co_u32_e32 v3, vcc, v6, v3, vcc
	global_store_dword v[2:3], v8, off
	s_or_b64 exec, exec, s[0:1]
	v_cmp_gt_i32_e32 vcc, s6, v0
	s_and_saveexec_b64 s[0:1], vcc
	s_cbranch_execz .LBB72_13
.LBB72_18:
	v_add_u32_e32 v2, s2, v0
	v_mov_b32_e32 v3, 0
	v_lshlrev_b64 v[2:3], 2, v[2:3]
	v_mov_b32_e32 v6, s9
	v_add_co_u32_e32 v2, vcc, s8, v2
	v_addc_co_u32_e32 v3, vcc, v6, v3, vcc
	v_add_u32_e32 v0, 0x100, v0
	global_store_dword v[2:3], v5, off
	s_or_b64 exec, exec, s[0:1]
	v_cmp_gt_i32_e32 vcc, s6, v0
	s_and_saveexec_b64 s[0:1], vcc
	s_cbranch_execz .LBB72_14
.LBB72_19:
	v_add_u32_e32 v2, s2, v0
	v_mov_b32_e32 v3, 0
	v_lshlrev_b64 v[2:3], 2, v[2:3]
	v_mov_b32_e32 v5, s9
	v_add_co_u32_e32 v2, vcc, s8, v2
	v_addc_co_u32_e32 v3, vcc, v5, v3, vcc
	v_add_u32_e32 v0, 0x100, v0
	global_store_dword v[2:3], v4, off
	s_or_b64 exec, exec, s[0:1]
	v_cmp_gt_i32_e32 vcc, s6, v0
	s_and_saveexec_b64 s[0:1], vcc
	s_cbranch_execnz .LBB72_15
	s_branch .LBB72_16
	.section	.rodata,"a",@progbits
	.p2align	6, 0x0
	.amdhsa_kernel _ZN2at6native29vectorized_elementwise_kernelILi16ENS0_13AUnaryFunctorIfffZZZNS0_20copysign_kernel_cudaERNS_18TensorIteratorBaseEENKUlvE_clEvENKUlvE0_clEvEUlffE_EESt5arrayIPcLm2EEEEviT0_T1_
		.amdhsa_group_segment_fixed_size 0
		.amdhsa_private_segment_fixed_size 0
		.amdhsa_kernarg_size 32
		.amdhsa_user_sgpr_count 6
		.amdhsa_user_sgpr_private_segment_buffer 1
		.amdhsa_user_sgpr_dispatch_ptr 0
		.amdhsa_user_sgpr_queue_ptr 0
		.amdhsa_user_sgpr_kernarg_segment_ptr 1
		.amdhsa_user_sgpr_dispatch_id 0
		.amdhsa_user_sgpr_flat_scratch_init 0
		.amdhsa_user_sgpr_kernarg_preload_length 0
		.amdhsa_user_sgpr_kernarg_preload_offset 0
		.amdhsa_user_sgpr_private_segment_size 0
		.amdhsa_uses_dynamic_stack 0
		.amdhsa_system_sgpr_private_segment_wavefront_offset 0
		.amdhsa_system_sgpr_workgroup_id_x 1
		.amdhsa_system_sgpr_workgroup_id_y 0
		.amdhsa_system_sgpr_workgroup_id_z 0
		.amdhsa_system_sgpr_workgroup_info 0
		.amdhsa_system_vgpr_workitem_id 0
		.amdhsa_next_free_vgpr 10
		.amdhsa_next_free_sgpr 12
		.amdhsa_accum_offset 12
		.amdhsa_reserve_vcc 1
		.amdhsa_reserve_flat_scratch 0
		.amdhsa_float_round_mode_32 0
		.amdhsa_float_round_mode_16_64 0
		.amdhsa_float_denorm_mode_32 3
		.amdhsa_float_denorm_mode_16_64 3
		.amdhsa_dx10_clamp 1
		.amdhsa_ieee_mode 1
		.amdhsa_fp16_overflow 0
		.amdhsa_tg_split 0
		.amdhsa_exception_fp_ieee_invalid_op 0
		.amdhsa_exception_fp_denorm_src 0
		.amdhsa_exception_fp_ieee_div_zero 0
		.amdhsa_exception_fp_ieee_overflow 0
		.amdhsa_exception_fp_ieee_underflow 0
		.amdhsa_exception_fp_ieee_inexact 0
		.amdhsa_exception_int_div_zero 0
	.end_amdhsa_kernel
	.section	.text._ZN2at6native29vectorized_elementwise_kernelILi16ENS0_13AUnaryFunctorIfffZZZNS0_20copysign_kernel_cudaERNS_18TensorIteratorBaseEENKUlvE_clEvENKUlvE0_clEvEUlffE_EESt5arrayIPcLm2EEEEviT0_T1_,"axG",@progbits,_ZN2at6native29vectorized_elementwise_kernelILi16ENS0_13AUnaryFunctorIfffZZZNS0_20copysign_kernel_cudaERNS_18TensorIteratorBaseEENKUlvE_clEvENKUlvE0_clEvEUlffE_EESt5arrayIPcLm2EEEEviT0_T1_,comdat
.Lfunc_end72:
	.size	_ZN2at6native29vectorized_elementwise_kernelILi16ENS0_13AUnaryFunctorIfffZZZNS0_20copysign_kernel_cudaERNS_18TensorIteratorBaseEENKUlvE_clEvENKUlvE0_clEvEUlffE_EESt5arrayIPcLm2EEEEviT0_T1_, .Lfunc_end72-_ZN2at6native29vectorized_elementwise_kernelILi16ENS0_13AUnaryFunctorIfffZZZNS0_20copysign_kernel_cudaERNS_18TensorIteratorBaseEENKUlvE_clEvENKUlvE0_clEvEUlffE_EESt5arrayIPcLm2EEEEviT0_T1_
                                        ; -- End function
	.section	.AMDGPU.csdata,"",@progbits
; Kernel info:
; codeLenInByte = 764
; NumSgprs: 16
; NumVgprs: 10
; NumAgprs: 0
; TotalNumVgprs: 10
; ScratchSize: 0
; MemoryBound: 0
; FloatMode: 240
; IeeeMode: 1
; LDSByteSize: 0 bytes/workgroup (compile time only)
; SGPRBlocks: 1
; VGPRBlocks: 1
; NumSGPRsForWavesPerEU: 16
; NumVGPRsForWavesPerEU: 10
; AccumOffset: 12
; Occupancy: 8
; WaveLimiterHint : 0
; COMPUTE_PGM_RSRC2:SCRATCH_EN: 0
; COMPUTE_PGM_RSRC2:USER_SGPR: 6
; COMPUTE_PGM_RSRC2:TRAP_HANDLER: 0
; COMPUTE_PGM_RSRC2:TGID_X_EN: 1
; COMPUTE_PGM_RSRC2:TGID_Y_EN: 0
; COMPUTE_PGM_RSRC2:TGID_Z_EN: 0
; COMPUTE_PGM_RSRC2:TIDIG_COMP_CNT: 0
; COMPUTE_PGM_RSRC3_GFX90A:ACCUM_OFFSET: 2
; COMPUTE_PGM_RSRC3_GFX90A:TG_SPLIT: 0
	.section	.text._ZN2at6native29vectorized_elementwise_kernelILi8ENS0_13AUnaryFunctorIfffZZZNS0_20copysign_kernel_cudaERNS_18TensorIteratorBaseEENKUlvE_clEvENKUlvE0_clEvEUlffE_EESt5arrayIPcLm2EEEEviT0_T1_,"axG",@progbits,_ZN2at6native29vectorized_elementwise_kernelILi8ENS0_13AUnaryFunctorIfffZZZNS0_20copysign_kernel_cudaERNS_18TensorIteratorBaseEENKUlvE_clEvENKUlvE0_clEvEUlffE_EESt5arrayIPcLm2EEEEviT0_T1_,comdat
	.globl	_ZN2at6native29vectorized_elementwise_kernelILi8ENS0_13AUnaryFunctorIfffZZZNS0_20copysign_kernel_cudaERNS_18TensorIteratorBaseEENKUlvE_clEvENKUlvE0_clEvEUlffE_EESt5arrayIPcLm2EEEEviT0_T1_ ; -- Begin function _ZN2at6native29vectorized_elementwise_kernelILi8ENS0_13AUnaryFunctorIfffZZZNS0_20copysign_kernel_cudaERNS_18TensorIteratorBaseEENKUlvE_clEvENKUlvE0_clEvEUlffE_EESt5arrayIPcLm2EEEEviT0_T1_
	.p2align	8
	.type	_ZN2at6native29vectorized_elementwise_kernelILi8ENS0_13AUnaryFunctorIfffZZZNS0_20copysign_kernel_cudaERNS_18TensorIteratorBaseEENKUlvE_clEvENKUlvE0_clEvEUlffE_EESt5arrayIPcLm2EEEEviT0_T1_,@function
_ZN2at6native29vectorized_elementwise_kernelILi8ENS0_13AUnaryFunctorIfffZZZNS0_20copysign_kernel_cudaERNS_18TensorIteratorBaseEENKUlvE_clEvENKUlvE0_clEvEUlffE_EESt5arrayIPcLm2EEEEviT0_T1_: ; @_ZN2at6native29vectorized_elementwise_kernelILi8ENS0_13AUnaryFunctorIfffZZZNS0_20copysign_kernel_cudaERNS_18TensorIteratorBaseEENKUlvE_clEvENKUlvE0_clEvEUlffE_EESt5arrayIPcLm2EEEEviT0_T1_
; %bb.0:
	s_load_dword s0, s[4:5], 0x0
	s_load_dword s7, s[4:5], 0x8
	s_load_dwordx4 s[8:11], s[4:5], 0x10
	s_lshl_b32 s2, s6, 10
	s_waitcnt lgkmcnt(0)
	s_sub_i32 s6, s0, s2
	s_cmpk_gt_i32 s6, 0x3ff
	s_mov_b64 s[0:1], -1
	s_cbranch_scc0 .LBB73_2
; %bb.1:
	s_ashr_i32 s3, s2, 31
	s_lshl_b64 s[0:1], s[2:3], 2
	s_add_u32 s4, s10, s0
	s_addc_u32 s5, s11, s1
	v_lshlrev_b32_e32 v1, 4, v0
	global_load_dwordx4 v[2:5], v1, s[4:5]
	s_brev_b32 s3, -2
	v_mov_b32_e32 v6, s7
	s_add_u32 s0, s8, s0
	s_addc_u32 s1, s9, s1
	s_waitcnt vmcnt(0)
	v_bfi_b32 v3, s3, v6, v3
	v_bfi_b32 v2, s3, v6, v2
	;; [unrolled: 1-line block ×4, first 2 shown]
	global_store_dwordx4 v1, v[2:5], s[0:1]
	s_mov_b64 s[0:1], 0
.LBB73_2:
	s_andn2_b64 vcc, exec, s[0:1]
	s_cbranch_vccnz .LBB73_16
; %bb.3:
	v_cmp_gt_i32_e32 vcc, s6, v0
	v_mov_b32_e32 v1, 0
	v_or_b32_e32 v2, s2, v0
	v_mov_b32_e32 v3, 0
	v_mov_b32_e32 v4, v0
	s_and_saveexec_b64 s[4:5], vcc
	s_cbranch_execz .LBB73_5
; %bb.4:
	v_mov_b32_e32 v3, 0
	v_lshlrev_b64 v[4:5], 2, v[2:3]
	v_mov_b32_e32 v3, s11
	v_add_co_u32_e64 v4, s[0:1], s10, v4
	v_addc_co_u32_e64 v5, s[0:1], v3, v5, s[0:1]
	global_load_dword v3, v[4:5], off
	v_or_b32_e32 v4, 0x100, v0
.LBB73_5:
	s_or_b64 exec, exec, s[4:5]
	v_cmp_gt_i32_e64 s[0:1], s6, v4
	s_and_saveexec_b64 s[4:5], s[0:1]
	s_cbranch_execz .LBB73_7
; %bb.6:
	v_add_u32_e32 v6, s2, v4
	v_mov_b32_e32 v7, 0
	v_lshlrev_b64 v[6:7], 2, v[6:7]
	v_mov_b32_e32 v1, s11
	v_add_co_u32_e64 v6, s[0:1], s10, v6
	v_addc_co_u32_e64 v7, s[0:1], v1, v7, s[0:1]
	global_load_dword v1, v[6:7], off
	v_add_u32_e32 v4, 0x100, v4
.LBB73_7:
	s_or_b64 exec, exec, s[4:5]
	v_cmp_gt_i32_e64 s[0:1], s6, v4
	v_mov_b32_e32 v6, 0
	v_mov_b32_e32 v7, 0
	s_and_saveexec_b64 s[4:5], s[0:1]
	s_cbranch_execz .LBB73_9
; %bb.8:
	v_add_u32_e32 v8, s2, v4
	v_mov_b32_e32 v9, 0
	v_lshlrev_b64 v[8:9], 2, v[8:9]
	v_mov_b32_e32 v5, s11
	v_add_co_u32_e64 v8, s[0:1], s10, v8
	v_addc_co_u32_e64 v9, s[0:1], v5, v9, s[0:1]
	global_load_dword v7, v[8:9], off
	v_add_u32_e32 v4, 0x100, v4
.LBB73_9:
	s_or_b64 exec, exec, s[4:5]
	v_cmp_gt_i32_e64 s[0:1], s6, v4
	s_and_saveexec_b64 s[4:5], s[0:1]
	s_cbranch_execz .LBB73_11
; %bb.10:
	v_add_u32_e32 v4, s2, v4
	v_mov_b32_e32 v5, 0
	v_lshlrev_b64 v[4:5], 2, v[4:5]
	v_mov_b32_e32 v6, s11
	v_add_co_u32_e64 v4, s[0:1], s10, v4
	v_addc_co_u32_e64 v5, s[0:1], v6, v5, s[0:1]
	global_load_dword v6, v[4:5], off
.LBB73_11:
	s_or_b64 exec, exec, s[4:5]
	s_brev_b32 s0, -2
	v_mov_b32_e32 v9, s7
	s_waitcnt vmcnt(0)
	v_bfi_b32 v8, s0, v9, v3
	v_bfi_b32 v5, s0, v9, v1
	;; [unrolled: 1-line block ×4, first 2 shown]
	s_and_saveexec_b64 s[0:1], vcc
	s_cbranch_execnz .LBB73_17
; %bb.12:
	s_or_b64 exec, exec, s[0:1]
	v_cmp_gt_i32_e32 vcc, s6, v0
	s_and_saveexec_b64 s[0:1], vcc
	s_cbranch_execnz .LBB73_18
.LBB73_13:
	s_or_b64 exec, exec, s[0:1]
	v_cmp_gt_i32_e32 vcc, s6, v0
	s_and_saveexec_b64 s[0:1], vcc
	s_cbranch_execnz .LBB73_19
.LBB73_14:
	s_or_b64 exec, exec, s[0:1]
	v_cmp_gt_i32_e32 vcc, s6, v0
	s_and_saveexec_b64 s[0:1], vcc
	s_cbranch_execz .LBB73_16
.LBB73_15:
	v_add_u32_e32 v2, s2, v0
	v_mov_b32_e32 v3, 0
	v_lshlrev_b64 v[2:3], 2, v[2:3]
	v_mov_b32_e32 v0, s9
	v_add_co_u32_e32 v2, vcc, s8, v2
	v_addc_co_u32_e32 v3, vcc, v0, v3, vcc
	global_store_dword v[2:3], v1, off
.LBB73_16:
	s_endpgm
.LBB73_17:
	v_mov_b32_e32 v3, 0
	v_lshlrev_b64 v[2:3], 2, v[2:3]
	v_mov_b32_e32 v6, s9
	v_add_co_u32_e32 v2, vcc, s8, v2
	v_or_b32_e32 v0, 0x100, v0
	v_addc_co_u32_e32 v3, vcc, v6, v3, vcc
	global_store_dword v[2:3], v8, off
	s_or_b64 exec, exec, s[0:1]
	v_cmp_gt_i32_e32 vcc, s6, v0
	s_and_saveexec_b64 s[0:1], vcc
	s_cbranch_execz .LBB73_13
.LBB73_18:
	v_add_u32_e32 v2, s2, v0
	v_mov_b32_e32 v3, 0
	v_lshlrev_b64 v[2:3], 2, v[2:3]
	v_mov_b32_e32 v6, s9
	v_add_co_u32_e32 v2, vcc, s8, v2
	v_addc_co_u32_e32 v3, vcc, v6, v3, vcc
	v_add_u32_e32 v0, 0x100, v0
	global_store_dword v[2:3], v5, off
	s_or_b64 exec, exec, s[0:1]
	v_cmp_gt_i32_e32 vcc, s6, v0
	s_and_saveexec_b64 s[0:1], vcc
	s_cbranch_execz .LBB73_14
.LBB73_19:
	v_add_u32_e32 v2, s2, v0
	v_mov_b32_e32 v3, 0
	v_lshlrev_b64 v[2:3], 2, v[2:3]
	v_mov_b32_e32 v5, s9
	v_add_co_u32_e32 v2, vcc, s8, v2
	v_addc_co_u32_e32 v3, vcc, v5, v3, vcc
	v_add_u32_e32 v0, 0x100, v0
	global_store_dword v[2:3], v4, off
	s_or_b64 exec, exec, s[0:1]
	v_cmp_gt_i32_e32 vcc, s6, v0
	s_and_saveexec_b64 s[0:1], vcc
	s_cbranch_execnz .LBB73_15
	s_branch .LBB73_16
	.section	.rodata,"a",@progbits
	.p2align	6, 0x0
	.amdhsa_kernel _ZN2at6native29vectorized_elementwise_kernelILi8ENS0_13AUnaryFunctorIfffZZZNS0_20copysign_kernel_cudaERNS_18TensorIteratorBaseEENKUlvE_clEvENKUlvE0_clEvEUlffE_EESt5arrayIPcLm2EEEEviT0_T1_
		.amdhsa_group_segment_fixed_size 0
		.amdhsa_private_segment_fixed_size 0
		.amdhsa_kernarg_size 32
		.amdhsa_user_sgpr_count 6
		.amdhsa_user_sgpr_private_segment_buffer 1
		.amdhsa_user_sgpr_dispatch_ptr 0
		.amdhsa_user_sgpr_queue_ptr 0
		.amdhsa_user_sgpr_kernarg_segment_ptr 1
		.amdhsa_user_sgpr_dispatch_id 0
		.amdhsa_user_sgpr_flat_scratch_init 0
		.amdhsa_user_sgpr_kernarg_preload_length 0
		.amdhsa_user_sgpr_kernarg_preload_offset 0
		.amdhsa_user_sgpr_private_segment_size 0
		.amdhsa_uses_dynamic_stack 0
		.amdhsa_system_sgpr_private_segment_wavefront_offset 0
		.amdhsa_system_sgpr_workgroup_id_x 1
		.amdhsa_system_sgpr_workgroup_id_y 0
		.amdhsa_system_sgpr_workgroup_id_z 0
		.amdhsa_system_sgpr_workgroup_info 0
		.amdhsa_system_vgpr_workitem_id 0
		.amdhsa_next_free_vgpr 10
		.amdhsa_next_free_sgpr 12
		.amdhsa_accum_offset 12
		.amdhsa_reserve_vcc 1
		.amdhsa_reserve_flat_scratch 0
		.amdhsa_float_round_mode_32 0
		.amdhsa_float_round_mode_16_64 0
		.amdhsa_float_denorm_mode_32 3
		.amdhsa_float_denorm_mode_16_64 3
		.amdhsa_dx10_clamp 1
		.amdhsa_ieee_mode 1
		.amdhsa_fp16_overflow 0
		.amdhsa_tg_split 0
		.amdhsa_exception_fp_ieee_invalid_op 0
		.amdhsa_exception_fp_denorm_src 0
		.amdhsa_exception_fp_ieee_div_zero 0
		.amdhsa_exception_fp_ieee_overflow 0
		.amdhsa_exception_fp_ieee_underflow 0
		.amdhsa_exception_fp_ieee_inexact 0
		.amdhsa_exception_int_div_zero 0
	.end_amdhsa_kernel
	.section	.text._ZN2at6native29vectorized_elementwise_kernelILi8ENS0_13AUnaryFunctorIfffZZZNS0_20copysign_kernel_cudaERNS_18TensorIteratorBaseEENKUlvE_clEvENKUlvE0_clEvEUlffE_EESt5arrayIPcLm2EEEEviT0_T1_,"axG",@progbits,_ZN2at6native29vectorized_elementwise_kernelILi8ENS0_13AUnaryFunctorIfffZZZNS0_20copysign_kernel_cudaERNS_18TensorIteratorBaseEENKUlvE_clEvENKUlvE0_clEvEUlffE_EESt5arrayIPcLm2EEEEviT0_T1_,comdat
.Lfunc_end73:
	.size	_ZN2at6native29vectorized_elementwise_kernelILi8ENS0_13AUnaryFunctorIfffZZZNS0_20copysign_kernel_cudaERNS_18TensorIteratorBaseEENKUlvE_clEvENKUlvE0_clEvEUlffE_EESt5arrayIPcLm2EEEEviT0_T1_, .Lfunc_end73-_ZN2at6native29vectorized_elementwise_kernelILi8ENS0_13AUnaryFunctorIfffZZZNS0_20copysign_kernel_cudaERNS_18TensorIteratorBaseEENKUlvE_clEvENKUlvE0_clEvEUlffE_EESt5arrayIPcLm2EEEEviT0_T1_
                                        ; -- End function
	.section	.AMDGPU.csdata,"",@progbits
; Kernel info:
; codeLenInByte = 764
; NumSgprs: 16
; NumVgprs: 10
; NumAgprs: 0
; TotalNumVgprs: 10
; ScratchSize: 0
; MemoryBound: 0
; FloatMode: 240
; IeeeMode: 1
; LDSByteSize: 0 bytes/workgroup (compile time only)
; SGPRBlocks: 1
; VGPRBlocks: 1
; NumSGPRsForWavesPerEU: 16
; NumVGPRsForWavesPerEU: 10
; AccumOffset: 12
; Occupancy: 8
; WaveLimiterHint : 0
; COMPUTE_PGM_RSRC2:SCRATCH_EN: 0
; COMPUTE_PGM_RSRC2:USER_SGPR: 6
; COMPUTE_PGM_RSRC2:TRAP_HANDLER: 0
; COMPUTE_PGM_RSRC2:TGID_X_EN: 1
; COMPUTE_PGM_RSRC2:TGID_Y_EN: 0
; COMPUTE_PGM_RSRC2:TGID_Z_EN: 0
; COMPUTE_PGM_RSRC2:TIDIG_COMP_CNT: 0
; COMPUTE_PGM_RSRC3_GFX90A:ACCUM_OFFSET: 2
; COMPUTE_PGM_RSRC3_GFX90A:TG_SPLIT: 0
	.section	.text._ZN2at6native29vectorized_elementwise_kernelILi4ENS0_13AUnaryFunctorIfffZZZNS0_20copysign_kernel_cudaERNS_18TensorIteratorBaseEENKUlvE_clEvENKUlvE0_clEvEUlffE_EESt5arrayIPcLm2EEEEviT0_T1_,"axG",@progbits,_ZN2at6native29vectorized_elementwise_kernelILi4ENS0_13AUnaryFunctorIfffZZZNS0_20copysign_kernel_cudaERNS_18TensorIteratorBaseEENKUlvE_clEvENKUlvE0_clEvEUlffE_EESt5arrayIPcLm2EEEEviT0_T1_,comdat
	.globl	_ZN2at6native29vectorized_elementwise_kernelILi4ENS0_13AUnaryFunctorIfffZZZNS0_20copysign_kernel_cudaERNS_18TensorIteratorBaseEENKUlvE_clEvENKUlvE0_clEvEUlffE_EESt5arrayIPcLm2EEEEviT0_T1_ ; -- Begin function _ZN2at6native29vectorized_elementwise_kernelILi4ENS0_13AUnaryFunctorIfffZZZNS0_20copysign_kernel_cudaERNS_18TensorIteratorBaseEENKUlvE_clEvENKUlvE0_clEvEUlffE_EESt5arrayIPcLm2EEEEviT0_T1_
	.p2align	8
	.type	_ZN2at6native29vectorized_elementwise_kernelILi4ENS0_13AUnaryFunctorIfffZZZNS0_20copysign_kernel_cudaERNS_18TensorIteratorBaseEENKUlvE_clEvENKUlvE0_clEvEUlffE_EESt5arrayIPcLm2EEEEviT0_T1_,@function
_ZN2at6native29vectorized_elementwise_kernelILi4ENS0_13AUnaryFunctorIfffZZZNS0_20copysign_kernel_cudaERNS_18TensorIteratorBaseEENKUlvE_clEvENKUlvE0_clEvEUlffE_EESt5arrayIPcLm2EEEEviT0_T1_: ; @_ZN2at6native29vectorized_elementwise_kernelILi4ENS0_13AUnaryFunctorIfffZZZNS0_20copysign_kernel_cudaERNS_18TensorIteratorBaseEENKUlvE_clEvENKUlvE0_clEvEUlffE_EESt5arrayIPcLm2EEEEviT0_T1_
; %bb.0:
	s_load_dword s0, s[4:5], 0x0
	s_load_dword s7, s[4:5], 0x8
	s_load_dwordx4 s[8:11], s[4:5], 0x10
	s_lshl_b32 s2, s6, 10
	s_waitcnt lgkmcnt(0)
	s_sub_i32 s6, s0, s2
	s_cmpk_gt_i32 s6, 0x3ff
	s_mov_b64 s[0:1], -1
	s_cbranch_scc0 .LBB74_2
; %bb.1:
	s_ashr_i32 s3, s2, 31
	s_lshl_b64 s[0:1], s[2:3], 2
	s_add_u32 s4, s10, s0
	s_addc_u32 s5, s11, s1
	v_lshlrev_b32_e32 v1, 4, v0
	global_load_dwordx4 v[2:5], v1, s[4:5]
	s_brev_b32 s3, -2
	v_mov_b32_e32 v6, s7
	s_add_u32 s0, s8, s0
	s_addc_u32 s1, s9, s1
	s_waitcnt vmcnt(0)
	v_bfi_b32 v3, s3, v6, v3
	v_bfi_b32 v2, s3, v6, v2
	;; [unrolled: 1-line block ×4, first 2 shown]
	global_store_dwordx4 v1, v[2:5], s[0:1]
	s_mov_b64 s[0:1], 0
.LBB74_2:
	s_andn2_b64 vcc, exec, s[0:1]
	s_cbranch_vccnz .LBB74_16
; %bb.3:
	v_cmp_gt_i32_e32 vcc, s6, v0
	v_mov_b32_e32 v1, 0
	v_or_b32_e32 v2, s2, v0
	v_mov_b32_e32 v3, 0
	v_mov_b32_e32 v4, v0
	s_and_saveexec_b64 s[4:5], vcc
	s_cbranch_execz .LBB74_5
; %bb.4:
	v_mov_b32_e32 v3, 0
	v_lshlrev_b64 v[4:5], 2, v[2:3]
	v_mov_b32_e32 v3, s11
	v_add_co_u32_e64 v4, s[0:1], s10, v4
	v_addc_co_u32_e64 v5, s[0:1], v3, v5, s[0:1]
	global_load_dword v3, v[4:5], off
	v_or_b32_e32 v4, 0x100, v0
.LBB74_5:
	s_or_b64 exec, exec, s[4:5]
	v_cmp_gt_i32_e64 s[0:1], s6, v4
	s_and_saveexec_b64 s[4:5], s[0:1]
	s_cbranch_execz .LBB74_7
; %bb.6:
	v_add_u32_e32 v6, s2, v4
	v_mov_b32_e32 v7, 0
	v_lshlrev_b64 v[6:7], 2, v[6:7]
	v_mov_b32_e32 v1, s11
	v_add_co_u32_e64 v6, s[0:1], s10, v6
	v_addc_co_u32_e64 v7, s[0:1], v1, v7, s[0:1]
	global_load_dword v1, v[6:7], off
	v_add_u32_e32 v4, 0x100, v4
.LBB74_7:
	s_or_b64 exec, exec, s[4:5]
	v_cmp_gt_i32_e64 s[0:1], s6, v4
	v_mov_b32_e32 v6, 0
	v_mov_b32_e32 v7, 0
	s_and_saveexec_b64 s[4:5], s[0:1]
	s_cbranch_execz .LBB74_9
; %bb.8:
	v_add_u32_e32 v8, s2, v4
	v_mov_b32_e32 v9, 0
	v_lshlrev_b64 v[8:9], 2, v[8:9]
	v_mov_b32_e32 v5, s11
	v_add_co_u32_e64 v8, s[0:1], s10, v8
	v_addc_co_u32_e64 v9, s[0:1], v5, v9, s[0:1]
	global_load_dword v7, v[8:9], off
	v_add_u32_e32 v4, 0x100, v4
.LBB74_9:
	s_or_b64 exec, exec, s[4:5]
	v_cmp_gt_i32_e64 s[0:1], s6, v4
	s_and_saveexec_b64 s[4:5], s[0:1]
	s_cbranch_execz .LBB74_11
; %bb.10:
	v_add_u32_e32 v4, s2, v4
	v_mov_b32_e32 v5, 0
	v_lshlrev_b64 v[4:5], 2, v[4:5]
	v_mov_b32_e32 v6, s11
	v_add_co_u32_e64 v4, s[0:1], s10, v4
	v_addc_co_u32_e64 v5, s[0:1], v6, v5, s[0:1]
	global_load_dword v6, v[4:5], off
.LBB74_11:
	s_or_b64 exec, exec, s[4:5]
	s_brev_b32 s0, -2
	v_mov_b32_e32 v9, s7
	s_waitcnt vmcnt(0)
	v_bfi_b32 v8, s0, v9, v3
	v_bfi_b32 v5, s0, v9, v1
	;; [unrolled: 1-line block ×4, first 2 shown]
	s_and_saveexec_b64 s[0:1], vcc
	s_cbranch_execnz .LBB74_17
; %bb.12:
	s_or_b64 exec, exec, s[0:1]
	v_cmp_gt_i32_e32 vcc, s6, v0
	s_and_saveexec_b64 s[0:1], vcc
	s_cbranch_execnz .LBB74_18
.LBB74_13:
	s_or_b64 exec, exec, s[0:1]
	v_cmp_gt_i32_e32 vcc, s6, v0
	s_and_saveexec_b64 s[0:1], vcc
	s_cbranch_execnz .LBB74_19
.LBB74_14:
	s_or_b64 exec, exec, s[0:1]
	v_cmp_gt_i32_e32 vcc, s6, v0
	s_and_saveexec_b64 s[0:1], vcc
	s_cbranch_execz .LBB74_16
.LBB74_15:
	v_add_u32_e32 v2, s2, v0
	v_mov_b32_e32 v3, 0
	v_lshlrev_b64 v[2:3], 2, v[2:3]
	v_mov_b32_e32 v0, s9
	v_add_co_u32_e32 v2, vcc, s8, v2
	v_addc_co_u32_e32 v3, vcc, v0, v3, vcc
	global_store_dword v[2:3], v1, off
.LBB74_16:
	s_endpgm
.LBB74_17:
	v_mov_b32_e32 v3, 0
	v_lshlrev_b64 v[2:3], 2, v[2:3]
	v_mov_b32_e32 v6, s9
	v_add_co_u32_e32 v2, vcc, s8, v2
	v_or_b32_e32 v0, 0x100, v0
	v_addc_co_u32_e32 v3, vcc, v6, v3, vcc
	global_store_dword v[2:3], v8, off
	s_or_b64 exec, exec, s[0:1]
	v_cmp_gt_i32_e32 vcc, s6, v0
	s_and_saveexec_b64 s[0:1], vcc
	s_cbranch_execz .LBB74_13
.LBB74_18:
	v_add_u32_e32 v2, s2, v0
	v_mov_b32_e32 v3, 0
	v_lshlrev_b64 v[2:3], 2, v[2:3]
	v_mov_b32_e32 v6, s9
	v_add_co_u32_e32 v2, vcc, s8, v2
	v_addc_co_u32_e32 v3, vcc, v6, v3, vcc
	v_add_u32_e32 v0, 0x100, v0
	global_store_dword v[2:3], v5, off
	s_or_b64 exec, exec, s[0:1]
	v_cmp_gt_i32_e32 vcc, s6, v0
	s_and_saveexec_b64 s[0:1], vcc
	s_cbranch_execz .LBB74_14
.LBB74_19:
	v_add_u32_e32 v2, s2, v0
	v_mov_b32_e32 v3, 0
	v_lshlrev_b64 v[2:3], 2, v[2:3]
	v_mov_b32_e32 v5, s9
	v_add_co_u32_e32 v2, vcc, s8, v2
	v_addc_co_u32_e32 v3, vcc, v5, v3, vcc
	v_add_u32_e32 v0, 0x100, v0
	global_store_dword v[2:3], v4, off
	s_or_b64 exec, exec, s[0:1]
	v_cmp_gt_i32_e32 vcc, s6, v0
	s_and_saveexec_b64 s[0:1], vcc
	s_cbranch_execnz .LBB74_15
	s_branch .LBB74_16
	.section	.rodata,"a",@progbits
	.p2align	6, 0x0
	.amdhsa_kernel _ZN2at6native29vectorized_elementwise_kernelILi4ENS0_13AUnaryFunctorIfffZZZNS0_20copysign_kernel_cudaERNS_18TensorIteratorBaseEENKUlvE_clEvENKUlvE0_clEvEUlffE_EESt5arrayIPcLm2EEEEviT0_T1_
		.amdhsa_group_segment_fixed_size 0
		.amdhsa_private_segment_fixed_size 0
		.amdhsa_kernarg_size 32
		.amdhsa_user_sgpr_count 6
		.amdhsa_user_sgpr_private_segment_buffer 1
		.amdhsa_user_sgpr_dispatch_ptr 0
		.amdhsa_user_sgpr_queue_ptr 0
		.amdhsa_user_sgpr_kernarg_segment_ptr 1
		.amdhsa_user_sgpr_dispatch_id 0
		.amdhsa_user_sgpr_flat_scratch_init 0
		.amdhsa_user_sgpr_kernarg_preload_length 0
		.amdhsa_user_sgpr_kernarg_preload_offset 0
		.amdhsa_user_sgpr_private_segment_size 0
		.amdhsa_uses_dynamic_stack 0
		.amdhsa_system_sgpr_private_segment_wavefront_offset 0
		.amdhsa_system_sgpr_workgroup_id_x 1
		.amdhsa_system_sgpr_workgroup_id_y 0
		.amdhsa_system_sgpr_workgroup_id_z 0
		.amdhsa_system_sgpr_workgroup_info 0
		.amdhsa_system_vgpr_workitem_id 0
		.amdhsa_next_free_vgpr 10
		.amdhsa_next_free_sgpr 12
		.amdhsa_accum_offset 12
		.amdhsa_reserve_vcc 1
		.amdhsa_reserve_flat_scratch 0
		.amdhsa_float_round_mode_32 0
		.amdhsa_float_round_mode_16_64 0
		.amdhsa_float_denorm_mode_32 3
		.amdhsa_float_denorm_mode_16_64 3
		.amdhsa_dx10_clamp 1
		.amdhsa_ieee_mode 1
		.amdhsa_fp16_overflow 0
		.amdhsa_tg_split 0
		.amdhsa_exception_fp_ieee_invalid_op 0
		.amdhsa_exception_fp_denorm_src 0
		.amdhsa_exception_fp_ieee_div_zero 0
		.amdhsa_exception_fp_ieee_overflow 0
		.amdhsa_exception_fp_ieee_underflow 0
		.amdhsa_exception_fp_ieee_inexact 0
		.amdhsa_exception_int_div_zero 0
	.end_amdhsa_kernel
	.section	.text._ZN2at6native29vectorized_elementwise_kernelILi4ENS0_13AUnaryFunctorIfffZZZNS0_20copysign_kernel_cudaERNS_18TensorIteratorBaseEENKUlvE_clEvENKUlvE0_clEvEUlffE_EESt5arrayIPcLm2EEEEviT0_T1_,"axG",@progbits,_ZN2at6native29vectorized_elementwise_kernelILi4ENS0_13AUnaryFunctorIfffZZZNS0_20copysign_kernel_cudaERNS_18TensorIteratorBaseEENKUlvE_clEvENKUlvE0_clEvEUlffE_EESt5arrayIPcLm2EEEEviT0_T1_,comdat
.Lfunc_end74:
	.size	_ZN2at6native29vectorized_elementwise_kernelILi4ENS0_13AUnaryFunctorIfffZZZNS0_20copysign_kernel_cudaERNS_18TensorIteratorBaseEENKUlvE_clEvENKUlvE0_clEvEUlffE_EESt5arrayIPcLm2EEEEviT0_T1_, .Lfunc_end74-_ZN2at6native29vectorized_elementwise_kernelILi4ENS0_13AUnaryFunctorIfffZZZNS0_20copysign_kernel_cudaERNS_18TensorIteratorBaseEENKUlvE_clEvENKUlvE0_clEvEUlffE_EESt5arrayIPcLm2EEEEviT0_T1_
                                        ; -- End function
	.section	.AMDGPU.csdata,"",@progbits
; Kernel info:
; codeLenInByte = 764
; NumSgprs: 16
; NumVgprs: 10
; NumAgprs: 0
; TotalNumVgprs: 10
; ScratchSize: 0
; MemoryBound: 0
; FloatMode: 240
; IeeeMode: 1
; LDSByteSize: 0 bytes/workgroup (compile time only)
; SGPRBlocks: 1
; VGPRBlocks: 1
; NumSGPRsForWavesPerEU: 16
; NumVGPRsForWavesPerEU: 10
; AccumOffset: 12
; Occupancy: 8
; WaveLimiterHint : 0
; COMPUTE_PGM_RSRC2:SCRATCH_EN: 0
; COMPUTE_PGM_RSRC2:USER_SGPR: 6
; COMPUTE_PGM_RSRC2:TRAP_HANDLER: 0
; COMPUTE_PGM_RSRC2:TGID_X_EN: 1
; COMPUTE_PGM_RSRC2:TGID_Y_EN: 0
; COMPUTE_PGM_RSRC2:TGID_Z_EN: 0
; COMPUTE_PGM_RSRC2:TIDIG_COMP_CNT: 0
; COMPUTE_PGM_RSRC3_GFX90A:ACCUM_OFFSET: 2
; COMPUTE_PGM_RSRC3_GFX90A:TG_SPLIT: 0
	.section	.text._ZN2at6native29vectorized_elementwise_kernelILi2ENS0_13AUnaryFunctorIfffZZZNS0_20copysign_kernel_cudaERNS_18TensorIteratorBaseEENKUlvE_clEvENKUlvE0_clEvEUlffE_EESt5arrayIPcLm2EEEEviT0_T1_,"axG",@progbits,_ZN2at6native29vectorized_elementwise_kernelILi2ENS0_13AUnaryFunctorIfffZZZNS0_20copysign_kernel_cudaERNS_18TensorIteratorBaseEENKUlvE_clEvENKUlvE0_clEvEUlffE_EESt5arrayIPcLm2EEEEviT0_T1_,comdat
	.globl	_ZN2at6native29vectorized_elementwise_kernelILi2ENS0_13AUnaryFunctorIfffZZZNS0_20copysign_kernel_cudaERNS_18TensorIteratorBaseEENKUlvE_clEvENKUlvE0_clEvEUlffE_EESt5arrayIPcLm2EEEEviT0_T1_ ; -- Begin function _ZN2at6native29vectorized_elementwise_kernelILi2ENS0_13AUnaryFunctorIfffZZZNS0_20copysign_kernel_cudaERNS_18TensorIteratorBaseEENKUlvE_clEvENKUlvE0_clEvEUlffE_EESt5arrayIPcLm2EEEEviT0_T1_
	.p2align	8
	.type	_ZN2at6native29vectorized_elementwise_kernelILi2ENS0_13AUnaryFunctorIfffZZZNS0_20copysign_kernel_cudaERNS_18TensorIteratorBaseEENKUlvE_clEvENKUlvE0_clEvEUlffE_EESt5arrayIPcLm2EEEEviT0_T1_,@function
_ZN2at6native29vectorized_elementwise_kernelILi2ENS0_13AUnaryFunctorIfffZZZNS0_20copysign_kernel_cudaERNS_18TensorIteratorBaseEENKUlvE_clEvENKUlvE0_clEvEUlffE_EESt5arrayIPcLm2EEEEviT0_T1_: ; @_ZN2at6native29vectorized_elementwise_kernelILi2ENS0_13AUnaryFunctorIfffZZZNS0_20copysign_kernel_cudaERNS_18TensorIteratorBaseEENKUlvE_clEvENKUlvE0_clEvEUlffE_EESt5arrayIPcLm2EEEEviT0_T1_
; %bb.0:
	s_load_dword s0, s[4:5], 0x0
	s_load_dword s7, s[4:5], 0x8
	s_load_dwordx4 s[8:11], s[4:5], 0x10
	s_lshl_b32 s2, s6, 10
	s_waitcnt lgkmcnt(0)
	s_sub_i32 s6, s0, s2
	s_cmpk_gt_i32 s6, 0x3ff
	s_mov_b64 s[0:1], -1
	s_cbranch_scc0 .LBB75_2
; %bb.1:
	s_ashr_i32 s3, s2, 31
	s_lshl_b64 s[0:1], s[2:3], 2
	s_add_u32 s4, s10, s0
	s_addc_u32 s5, s11, s1
	v_lshlrev_b32_e32 v1, 3, v0
	global_load_dwordx2 v[2:3], v1, s[4:5]
	global_load_dwordx2 v[4:5], v1, s[4:5] offset:2048
	s_brev_b32 s3, -2
	v_mov_b32_e32 v6, s7
	s_add_u32 s0, s8, s0
	s_addc_u32 s1, s9, s1
	s_waitcnt vmcnt(1)
	v_bfi_b32 v3, s3, v6, v3
	v_bfi_b32 v2, s3, v6, v2
	s_waitcnt vmcnt(0)
	v_bfi_b32 v5, s3, v6, v5
	v_bfi_b32 v4, s3, v6, v4
	global_store_dwordx2 v1, v[2:3], s[0:1]
	global_store_dwordx2 v1, v[4:5], s[0:1] offset:2048
	s_mov_b64 s[0:1], 0
.LBB75_2:
	s_andn2_b64 vcc, exec, s[0:1]
	s_cbranch_vccnz .LBB75_16
; %bb.3:
	v_cmp_gt_i32_e32 vcc, s6, v0
	v_mov_b32_e32 v1, 0
	v_or_b32_e32 v2, s2, v0
	v_mov_b32_e32 v3, 0
	v_mov_b32_e32 v4, v0
	s_and_saveexec_b64 s[4:5], vcc
	s_cbranch_execz .LBB75_5
; %bb.4:
	v_mov_b32_e32 v3, 0
	v_lshlrev_b64 v[4:5], 2, v[2:3]
	v_mov_b32_e32 v3, s11
	v_add_co_u32_e64 v4, s[0:1], s10, v4
	v_addc_co_u32_e64 v5, s[0:1], v3, v5, s[0:1]
	global_load_dword v3, v[4:5], off
	v_or_b32_e32 v4, 0x100, v0
.LBB75_5:
	s_or_b64 exec, exec, s[4:5]
	v_cmp_gt_i32_e64 s[0:1], s6, v4
	s_and_saveexec_b64 s[4:5], s[0:1]
	s_cbranch_execz .LBB75_7
; %bb.6:
	v_add_u32_e32 v6, s2, v4
	v_mov_b32_e32 v7, 0
	v_lshlrev_b64 v[6:7], 2, v[6:7]
	v_mov_b32_e32 v1, s11
	v_add_co_u32_e64 v6, s[0:1], s10, v6
	v_addc_co_u32_e64 v7, s[0:1], v1, v7, s[0:1]
	global_load_dword v1, v[6:7], off
	v_add_u32_e32 v4, 0x100, v4
.LBB75_7:
	s_or_b64 exec, exec, s[4:5]
	v_cmp_gt_i32_e64 s[0:1], s6, v4
	v_mov_b32_e32 v6, 0
	v_mov_b32_e32 v7, 0
	s_and_saveexec_b64 s[4:5], s[0:1]
	s_cbranch_execz .LBB75_9
; %bb.8:
	v_add_u32_e32 v8, s2, v4
	v_mov_b32_e32 v9, 0
	v_lshlrev_b64 v[8:9], 2, v[8:9]
	v_mov_b32_e32 v5, s11
	v_add_co_u32_e64 v8, s[0:1], s10, v8
	v_addc_co_u32_e64 v9, s[0:1], v5, v9, s[0:1]
	global_load_dword v7, v[8:9], off
	v_add_u32_e32 v4, 0x100, v4
.LBB75_9:
	s_or_b64 exec, exec, s[4:5]
	v_cmp_gt_i32_e64 s[0:1], s6, v4
	s_and_saveexec_b64 s[4:5], s[0:1]
	s_cbranch_execz .LBB75_11
; %bb.10:
	v_add_u32_e32 v4, s2, v4
	v_mov_b32_e32 v5, 0
	v_lshlrev_b64 v[4:5], 2, v[4:5]
	v_mov_b32_e32 v6, s11
	v_add_co_u32_e64 v4, s[0:1], s10, v4
	v_addc_co_u32_e64 v5, s[0:1], v6, v5, s[0:1]
	global_load_dword v6, v[4:5], off
.LBB75_11:
	s_or_b64 exec, exec, s[4:5]
	s_brev_b32 s0, -2
	v_mov_b32_e32 v9, s7
	s_waitcnt vmcnt(0)
	v_bfi_b32 v8, s0, v9, v3
	v_bfi_b32 v5, s0, v9, v1
	;; [unrolled: 1-line block ×4, first 2 shown]
	s_and_saveexec_b64 s[0:1], vcc
	s_cbranch_execnz .LBB75_17
; %bb.12:
	s_or_b64 exec, exec, s[0:1]
	v_cmp_gt_i32_e32 vcc, s6, v0
	s_and_saveexec_b64 s[0:1], vcc
	s_cbranch_execnz .LBB75_18
.LBB75_13:
	s_or_b64 exec, exec, s[0:1]
	v_cmp_gt_i32_e32 vcc, s6, v0
	s_and_saveexec_b64 s[0:1], vcc
	s_cbranch_execnz .LBB75_19
.LBB75_14:
	s_or_b64 exec, exec, s[0:1]
	v_cmp_gt_i32_e32 vcc, s6, v0
	s_and_saveexec_b64 s[0:1], vcc
	s_cbranch_execz .LBB75_16
.LBB75_15:
	v_add_u32_e32 v2, s2, v0
	v_mov_b32_e32 v3, 0
	v_lshlrev_b64 v[2:3], 2, v[2:3]
	v_mov_b32_e32 v0, s9
	v_add_co_u32_e32 v2, vcc, s8, v2
	v_addc_co_u32_e32 v3, vcc, v0, v3, vcc
	global_store_dword v[2:3], v1, off
.LBB75_16:
	s_endpgm
.LBB75_17:
	v_mov_b32_e32 v3, 0
	v_lshlrev_b64 v[2:3], 2, v[2:3]
	v_mov_b32_e32 v6, s9
	v_add_co_u32_e32 v2, vcc, s8, v2
	v_or_b32_e32 v0, 0x100, v0
	v_addc_co_u32_e32 v3, vcc, v6, v3, vcc
	global_store_dword v[2:3], v8, off
	s_or_b64 exec, exec, s[0:1]
	v_cmp_gt_i32_e32 vcc, s6, v0
	s_and_saveexec_b64 s[0:1], vcc
	s_cbranch_execz .LBB75_13
.LBB75_18:
	v_add_u32_e32 v2, s2, v0
	v_mov_b32_e32 v3, 0
	v_lshlrev_b64 v[2:3], 2, v[2:3]
	v_mov_b32_e32 v6, s9
	v_add_co_u32_e32 v2, vcc, s8, v2
	v_addc_co_u32_e32 v3, vcc, v6, v3, vcc
	v_add_u32_e32 v0, 0x100, v0
	global_store_dword v[2:3], v5, off
	s_or_b64 exec, exec, s[0:1]
	v_cmp_gt_i32_e32 vcc, s6, v0
	s_and_saveexec_b64 s[0:1], vcc
	s_cbranch_execz .LBB75_14
.LBB75_19:
	v_add_u32_e32 v2, s2, v0
	v_mov_b32_e32 v3, 0
	v_lshlrev_b64 v[2:3], 2, v[2:3]
	v_mov_b32_e32 v5, s9
	v_add_co_u32_e32 v2, vcc, s8, v2
	v_addc_co_u32_e32 v3, vcc, v5, v3, vcc
	v_add_u32_e32 v0, 0x100, v0
	global_store_dword v[2:3], v4, off
	s_or_b64 exec, exec, s[0:1]
	v_cmp_gt_i32_e32 vcc, s6, v0
	s_and_saveexec_b64 s[0:1], vcc
	s_cbranch_execnz .LBB75_15
	s_branch .LBB75_16
	.section	.rodata,"a",@progbits
	.p2align	6, 0x0
	.amdhsa_kernel _ZN2at6native29vectorized_elementwise_kernelILi2ENS0_13AUnaryFunctorIfffZZZNS0_20copysign_kernel_cudaERNS_18TensorIteratorBaseEENKUlvE_clEvENKUlvE0_clEvEUlffE_EESt5arrayIPcLm2EEEEviT0_T1_
		.amdhsa_group_segment_fixed_size 0
		.amdhsa_private_segment_fixed_size 0
		.amdhsa_kernarg_size 32
		.amdhsa_user_sgpr_count 6
		.amdhsa_user_sgpr_private_segment_buffer 1
		.amdhsa_user_sgpr_dispatch_ptr 0
		.amdhsa_user_sgpr_queue_ptr 0
		.amdhsa_user_sgpr_kernarg_segment_ptr 1
		.amdhsa_user_sgpr_dispatch_id 0
		.amdhsa_user_sgpr_flat_scratch_init 0
		.amdhsa_user_sgpr_kernarg_preload_length 0
		.amdhsa_user_sgpr_kernarg_preload_offset 0
		.amdhsa_user_sgpr_private_segment_size 0
		.amdhsa_uses_dynamic_stack 0
		.amdhsa_system_sgpr_private_segment_wavefront_offset 0
		.amdhsa_system_sgpr_workgroup_id_x 1
		.amdhsa_system_sgpr_workgroup_id_y 0
		.amdhsa_system_sgpr_workgroup_id_z 0
		.amdhsa_system_sgpr_workgroup_info 0
		.amdhsa_system_vgpr_workitem_id 0
		.amdhsa_next_free_vgpr 10
		.amdhsa_next_free_sgpr 12
		.amdhsa_accum_offset 12
		.amdhsa_reserve_vcc 1
		.amdhsa_reserve_flat_scratch 0
		.amdhsa_float_round_mode_32 0
		.amdhsa_float_round_mode_16_64 0
		.amdhsa_float_denorm_mode_32 3
		.amdhsa_float_denorm_mode_16_64 3
		.amdhsa_dx10_clamp 1
		.amdhsa_ieee_mode 1
		.amdhsa_fp16_overflow 0
		.amdhsa_tg_split 0
		.amdhsa_exception_fp_ieee_invalid_op 0
		.amdhsa_exception_fp_denorm_src 0
		.amdhsa_exception_fp_ieee_div_zero 0
		.amdhsa_exception_fp_ieee_overflow 0
		.amdhsa_exception_fp_ieee_underflow 0
		.amdhsa_exception_fp_ieee_inexact 0
		.amdhsa_exception_int_div_zero 0
	.end_amdhsa_kernel
	.section	.text._ZN2at6native29vectorized_elementwise_kernelILi2ENS0_13AUnaryFunctorIfffZZZNS0_20copysign_kernel_cudaERNS_18TensorIteratorBaseEENKUlvE_clEvENKUlvE0_clEvEUlffE_EESt5arrayIPcLm2EEEEviT0_T1_,"axG",@progbits,_ZN2at6native29vectorized_elementwise_kernelILi2ENS0_13AUnaryFunctorIfffZZZNS0_20copysign_kernel_cudaERNS_18TensorIteratorBaseEENKUlvE_clEvENKUlvE0_clEvEUlffE_EESt5arrayIPcLm2EEEEviT0_T1_,comdat
.Lfunc_end75:
	.size	_ZN2at6native29vectorized_elementwise_kernelILi2ENS0_13AUnaryFunctorIfffZZZNS0_20copysign_kernel_cudaERNS_18TensorIteratorBaseEENKUlvE_clEvENKUlvE0_clEvEUlffE_EESt5arrayIPcLm2EEEEviT0_T1_, .Lfunc_end75-_ZN2at6native29vectorized_elementwise_kernelILi2ENS0_13AUnaryFunctorIfffZZZNS0_20copysign_kernel_cudaERNS_18TensorIteratorBaseEENKUlvE_clEvENKUlvE0_clEvEUlffE_EESt5arrayIPcLm2EEEEviT0_T1_
                                        ; -- End function
	.section	.AMDGPU.csdata,"",@progbits
; Kernel info:
; codeLenInByte = 784
; NumSgprs: 16
; NumVgprs: 10
; NumAgprs: 0
; TotalNumVgprs: 10
; ScratchSize: 0
; MemoryBound: 0
; FloatMode: 240
; IeeeMode: 1
; LDSByteSize: 0 bytes/workgroup (compile time only)
; SGPRBlocks: 1
; VGPRBlocks: 1
; NumSGPRsForWavesPerEU: 16
; NumVGPRsForWavesPerEU: 10
; AccumOffset: 12
; Occupancy: 8
; WaveLimiterHint : 1
; COMPUTE_PGM_RSRC2:SCRATCH_EN: 0
; COMPUTE_PGM_RSRC2:USER_SGPR: 6
; COMPUTE_PGM_RSRC2:TRAP_HANDLER: 0
; COMPUTE_PGM_RSRC2:TGID_X_EN: 1
; COMPUTE_PGM_RSRC2:TGID_Y_EN: 0
; COMPUTE_PGM_RSRC2:TGID_Z_EN: 0
; COMPUTE_PGM_RSRC2:TIDIG_COMP_CNT: 0
; COMPUTE_PGM_RSRC3_GFX90A:ACCUM_OFFSET: 2
; COMPUTE_PGM_RSRC3_GFX90A:TG_SPLIT: 0
	.section	.text._ZN2at6native27unrolled_elementwise_kernelINS0_13AUnaryFunctorIfffZZZNS0_20copysign_kernel_cudaERNS_18TensorIteratorBaseEENKUlvE_clEvENKUlvE0_clEvEUlffE_EESt5arrayIPcLm2EELi4E23TrivialOffsetCalculatorILi1EjESD_NS0_6memory15LoadWithoutCastENSE_16StoreWithoutCastEEEviT_T0_T2_T3_T4_T5_,"axG",@progbits,_ZN2at6native27unrolled_elementwise_kernelINS0_13AUnaryFunctorIfffZZZNS0_20copysign_kernel_cudaERNS_18TensorIteratorBaseEENKUlvE_clEvENKUlvE0_clEvEUlffE_EESt5arrayIPcLm2EELi4E23TrivialOffsetCalculatorILi1EjESD_NS0_6memory15LoadWithoutCastENSE_16StoreWithoutCastEEEviT_T0_T2_T3_T4_T5_,comdat
	.globl	_ZN2at6native27unrolled_elementwise_kernelINS0_13AUnaryFunctorIfffZZZNS0_20copysign_kernel_cudaERNS_18TensorIteratorBaseEENKUlvE_clEvENKUlvE0_clEvEUlffE_EESt5arrayIPcLm2EELi4E23TrivialOffsetCalculatorILi1EjESD_NS0_6memory15LoadWithoutCastENSE_16StoreWithoutCastEEEviT_T0_T2_T3_T4_T5_ ; -- Begin function _ZN2at6native27unrolled_elementwise_kernelINS0_13AUnaryFunctorIfffZZZNS0_20copysign_kernel_cudaERNS_18TensorIteratorBaseEENKUlvE_clEvENKUlvE0_clEvEUlffE_EESt5arrayIPcLm2EELi4E23TrivialOffsetCalculatorILi1EjESD_NS0_6memory15LoadWithoutCastENSE_16StoreWithoutCastEEEviT_T0_T2_T3_T4_T5_
	.p2align	8
	.type	_ZN2at6native27unrolled_elementwise_kernelINS0_13AUnaryFunctorIfffZZZNS0_20copysign_kernel_cudaERNS_18TensorIteratorBaseEENKUlvE_clEvENKUlvE0_clEvEUlffE_EESt5arrayIPcLm2EELi4E23TrivialOffsetCalculatorILi1EjESD_NS0_6memory15LoadWithoutCastENSE_16StoreWithoutCastEEEviT_T0_T2_T3_T4_T5_,@function
_ZN2at6native27unrolled_elementwise_kernelINS0_13AUnaryFunctorIfffZZZNS0_20copysign_kernel_cudaERNS_18TensorIteratorBaseEENKUlvE_clEvENKUlvE0_clEvEUlffE_EESt5arrayIPcLm2EELi4E23TrivialOffsetCalculatorILi1EjESD_NS0_6memory15LoadWithoutCastENSE_16StoreWithoutCastEEEviT_T0_T2_T3_T4_T5_: ; @_ZN2at6native27unrolled_elementwise_kernelINS0_13AUnaryFunctorIfffZZZNS0_20copysign_kernel_cudaERNS_18TensorIteratorBaseEENKUlvE_clEvENKUlvE0_clEvEUlffE_EESt5arrayIPcLm2EELi4E23TrivialOffsetCalculatorILi1EjESD_NS0_6memory15LoadWithoutCastENSE_16StoreWithoutCastEEEviT_T0_T2_T3_T4_T5_
; %bb.0:
	s_load_dword s0, s[4:5], 0x0
	s_load_dwordx4 s[8:11], s[4:5], 0x10
	s_lshl_b32 s6, s6, 10
	v_mov_b32_e32 v1, 0
	v_or_b32_e32 v2, s6, v0
	s_waitcnt lgkmcnt(0)
	s_sub_i32 s7, s0, s6
	v_cmp_gt_i32_e32 vcc, s7, v0
	v_mov_b32_e32 v3, 0
	v_mov_b32_e32 v4, v0
	s_and_saveexec_b64 s[2:3], vcc
	s_cbranch_execz .LBB76_2
; %bb.1:
	v_mov_b32_e32 v3, 0
	v_lshlrev_b64 v[4:5], 2, v[2:3]
	v_mov_b32_e32 v3, s11
	v_add_co_u32_e64 v4, s[0:1], s10, v4
	v_addc_co_u32_e64 v5, s[0:1], v3, v5, s[0:1]
	global_load_dword v3, v[4:5], off
	v_or_b32_e32 v4, 0x100, v0
.LBB76_2:
	s_or_b64 exec, exec, s[2:3]
	v_cmp_gt_i32_e64 s[0:1], s7, v4
	s_and_saveexec_b64 s[2:3], s[0:1]
	s_cbranch_execz .LBB76_4
; %bb.3:
	v_add_u32_e32 v6, s6, v4
	v_mov_b32_e32 v7, 0
	v_lshlrev_b64 v[6:7], 2, v[6:7]
	v_mov_b32_e32 v1, s11
	v_add_co_u32_e64 v6, s[0:1], s10, v6
	v_addc_co_u32_e64 v7, s[0:1], v1, v7, s[0:1]
	global_load_dword v1, v[6:7], off
	v_add_u32_e32 v4, 0x100, v4
.LBB76_4:
	s_or_b64 exec, exec, s[2:3]
	s_load_dword s4, s[4:5], 0x8
	v_cmp_gt_i32_e64 s[0:1], s7, v4
	v_mov_b32_e32 v6, 0
	v_mov_b32_e32 v7, 0
	s_and_saveexec_b64 s[2:3], s[0:1]
	s_cbranch_execz .LBB76_6
; %bb.5:
	v_add_u32_e32 v8, s6, v4
	v_mov_b32_e32 v9, 0
	v_lshlrev_b64 v[8:9], 2, v[8:9]
	v_mov_b32_e32 v5, s11
	v_add_co_u32_e64 v8, s[0:1], s10, v8
	v_addc_co_u32_e64 v9, s[0:1], v5, v9, s[0:1]
	global_load_dword v7, v[8:9], off
	v_add_u32_e32 v4, 0x100, v4
.LBB76_6:
	s_or_b64 exec, exec, s[2:3]
	v_cmp_gt_i32_e64 s[0:1], s7, v4
	s_and_saveexec_b64 s[2:3], s[0:1]
	s_cbranch_execz .LBB76_8
; %bb.7:
	v_add_u32_e32 v4, s6, v4
	v_mov_b32_e32 v5, 0
	v_lshlrev_b64 v[4:5], 2, v[4:5]
	v_mov_b32_e32 v6, s11
	v_add_co_u32_e64 v4, s[0:1], s10, v4
	v_addc_co_u32_e64 v5, s[0:1], v6, v5, s[0:1]
	global_load_dword v6, v[4:5], off
.LBB76_8:
	s_or_b64 exec, exec, s[2:3]
	s_brev_b32 s0, -2
	s_waitcnt lgkmcnt(0)
	v_mov_b32_e32 v9, s4
	s_waitcnt vmcnt(0)
	v_bfi_b32 v8, s0, v9, v3
	v_bfi_b32 v5, s0, v9, v1
	;; [unrolled: 1-line block ×4, first 2 shown]
	s_and_saveexec_b64 s[0:1], vcc
	s_cbranch_execnz .LBB76_13
; %bb.9:
	s_or_b64 exec, exec, s[0:1]
	v_cmp_gt_i32_e32 vcc, s7, v0
	s_and_saveexec_b64 s[0:1], vcc
	s_cbranch_execnz .LBB76_14
.LBB76_10:
	s_or_b64 exec, exec, s[0:1]
	v_cmp_gt_i32_e32 vcc, s7, v0
	s_and_saveexec_b64 s[0:1], vcc
	s_cbranch_execnz .LBB76_15
.LBB76_11:
	s_or_b64 exec, exec, s[0:1]
	v_cmp_gt_i32_e32 vcc, s7, v0
	s_and_saveexec_b64 s[0:1], vcc
	s_cbranch_execnz .LBB76_16
.LBB76_12:
	s_endpgm
.LBB76_13:
	v_mov_b32_e32 v3, 0
	v_lshlrev_b64 v[2:3], 2, v[2:3]
	v_mov_b32_e32 v6, s9
	v_add_co_u32_e32 v2, vcc, s8, v2
	v_or_b32_e32 v0, 0x100, v0
	v_addc_co_u32_e32 v3, vcc, v6, v3, vcc
	global_store_dword v[2:3], v8, off
	s_or_b64 exec, exec, s[0:1]
	v_cmp_gt_i32_e32 vcc, s7, v0
	s_and_saveexec_b64 s[0:1], vcc
	s_cbranch_execz .LBB76_10
.LBB76_14:
	v_add_u32_e32 v2, s6, v0
	v_mov_b32_e32 v3, 0
	v_lshlrev_b64 v[2:3], 2, v[2:3]
	v_add_u32_e32 v6, 0x100, v0
	v_mov_b32_e32 v0, s9
	v_add_co_u32_e32 v2, vcc, s8, v2
	v_addc_co_u32_e32 v3, vcc, v0, v3, vcc
	v_mov_b32_e32 v0, v6
	global_store_dword v[2:3], v5, off
	s_or_b64 exec, exec, s[0:1]
	v_cmp_gt_i32_e32 vcc, s7, v0
	s_and_saveexec_b64 s[0:1], vcc
	s_cbranch_execz .LBB76_11
.LBB76_15:
	v_add_u32_e32 v2, s6, v0
	v_mov_b32_e32 v3, 0
	v_lshlrev_b64 v[2:3], 2, v[2:3]
	v_add_u32_e32 v5, 0x100, v0
	v_mov_b32_e32 v0, s9
	v_add_co_u32_e32 v2, vcc, s8, v2
	v_addc_co_u32_e32 v3, vcc, v0, v3, vcc
	v_mov_b32_e32 v0, v5
	global_store_dword v[2:3], v4, off
	s_or_b64 exec, exec, s[0:1]
	v_cmp_gt_i32_e32 vcc, s7, v0
	s_and_saveexec_b64 s[0:1], vcc
	s_cbranch_execz .LBB76_12
.LBB76_16:
	v_add_u32_e32 v2, s6, v0
	v_mov_b32_e32 v3, 0
	v_lshlrev_b64 v[2:3], 2, v[2:3]
	v_mov_b32_e32 v0, s9
	v_add_co_u32_e32 v2, vcc, s8, v2
	v_addc_co_u32_e32 v3, vcc, v0, v3, vcc
	global_store_dword v[2:3], v1, off
	s_endpgm
	.section	.rodata,"a",@progbits
	.p2align	6, 0x0
	.amdhsa_kernel _ZN2at6native27unrolled_elementwise_kernelINS0_13AUnaryFunctorIfffZZZNS0_20copysign_kernel_cudaERNS_18TensorIteratorBaseEENKUlvE_clEvENKUlvE0_clEvEUlffE_EESt5arrayIPcLm2EELi4E23TrivialOffsetCalculatorILi1EjESD_NS0_6memory15LoadWithoutCastENSE_16StoreWithoutCastEEEviT_T0_T2_T3_T4_T5_
		.amdhsa_group_segment_fixed_size 0
		.amdhsa_private_segment_fixed_size 0
		.amdhsa_kernarg_size 36
		.amdhsa_user_sgpr_count 6
		.amdhsa_user_sgpr_private_segment_buffer 1
		.amdhsa_user_sgpr_dispatch_ptr 0
		.amdhsa_user_sgpr_queue_ptr 0
		.amdhsa_user_sgpr_kernarg_segment_ptr 1
		.amdhsa_user_sgpr_dispatch_id 0
		.amdhsa_user_sgpr_flat_scratch_init 0
		.amdhsa_user_sgpr_kernarg_preload_length 0
		.amdhsa_user_sgpr_kernarg_preload_offset 0
		.amdhsa_user_sgpr_private_segment_size 0
		.amdhsa_uses_dynamic_stack 0
		.amdhsa_system_sgpr_private_segment_wavefront_offset 0
		.amdhsa_system_sgpr_workgroup_id_x 1
		.amdhsa_system_sgpr_workgroup_id_y 0
		.amdhsa_system_sgpr_workgroup_id_z 0
		.amdhsa_system_sgpr_workgroup_info 0
		.amdhsa_system_vgpr_workitem_id 0
		.amdhsa_next_free_vgpr 10
		.amdhsa_next_free_sgpr 12
		.amdhsa_accum_offset 12
		.amdhsa_reserve_vcc 1
		.amdhsa_reserve_flat_scratch 0
		.amdhsa_float_round_mode_32 0
		.amdhsa_float_round_mode_16_64 0
		.amdhsa_float_denorm_mode_32 3
		.amdhsa_float_denorm_mode_16_64 3
		.amdhsa_dx10_clamp 1
		.amdhsa_ieee_mode 1
		.amdhsa_fp16_overflow 0
		.amdhsa_tg_split 0
		.amdhsa_exception_fp_ieee_invalid_op 0
		.amdhsa_exception_fp_denorm_src 0
		.amdhsa_exception_fp_ieee_div_zero 0
		.amdhsa_exception_fp_ieee_overflow 0
		.amdhsa_exception_fp_ieee_underflow 0
		.amdhsa_exception_fp_ieee_inexact 0
		.amdhsa_exception_int_div_zero 0
	.end_amdhsa_kernel
	.section	.text._ZN2at6native27unrolled_elementwise_kernelINS0_13AUnaryFunctorIfffZZZNS0_20copysign_kernel_cudaERNS_18TensorIteratorBaseEENKUlvE_clEvENKUlvE0_clEvEUlffE_EESt5arrayIPcLm2EELi4E23TrivialOffsetCalculatorILi1EjESD_NS0_6memory15LoadWithoutCastENSE_16StoreWithoutCastEEEviT_T0_T2_T3_T4_T5_,"axG",@progbits,_ZN2at6native27unrolled_elementwise_kernelINS0_13AUnaryFunctorIfffZZZNS0_20copysign_kernel_cudaERNS_18TensorIteratorBaseEENKUlvE_clEvENKUlvE0_clEvEUlffE_EESt5arrayIPcLm2EELi4E23TrivialOffsetCalculatorILi1EjESD_NS0_6memory15LoadWithoutCastENSE_16StoreWithoutCastEEEviT_T0_T2_T3_T4_T5_,comdat
.Lfunc_end76:
	.size	_ZN2at6native27unrolled_elementwise_kernelINS0_13AUnaryFunctorIfffZZZNS0_20copysign_kernel_cudaERNS_18TensorIteratorBaseEENKUlvE_clEvENKUlvE0_clEvEUlffE_EESt5arrayIPcLm2EELi4E23TrivialOffsetCalculatorILi1EjESD_NS0_6memory15LoadWithoutCastENSE_16StoreWithoutCastEEEviT_T0_T2_T3_T4_T5_, .Lfunc_end76-_ZN2at6native27unrolled_elementwise_kernelINS0_13AUnaryFunctorIfffZZZNS0_20copysign_kernel_cudaERNS_18TensorIteratorBaseEENKUlvE_clEvENKUlvE0_clEvEUlffE_EESt5arrayIPcLm2EELi4E23TrivialOffsetCalculatorILi1EjESD_NS0_6memory15LoadWithoutCastENSE_16StoreWithoutCastEEEviT_T0_T2_T3_T4_T5_
                                        ; -- End function
	.section	.AMDGPU.csdata,"",@progbits
; Kernel info:
; codeLenInByte = 664
; NumSgprs: 16
; NumVgprs: 10
; NumAgprs: 0
; TotalNumVgprs: 10
; ScratchSize: 0
; MemoryBound: 0
; FloatMode: 240
; IeeeMode: 1
; LDSByteSize: 0 bytes/workgroup (compile time only)
; SGPRBlocks: 1
; VGPRBlocks: 1
; NumSGPRsForWavesPerEU: 16
; NumVGPRsForWavesPerEU: 10
; AccumOffset: 12
; Occupancy: 8
; WaveLimiterHint : 0
; COMPUTE_PGM_RSRC2:SCRATCH_EN: 0
; COMPUTE_PGM_RSRC2:USER_SGPR: 6
; COMPUTE_PGM_RSRC2:TRAP_HANDLER: 0
; COMPUTE_PGM_RSRC2:TGID_X_EN: 1
; COMPUTE_PGM_RSRC2:TGID_Y_EN: 0
; COMPUTE_PGM_RSRC2:TGID_Z_EN: 0
; COMPUTE_PGM_RSRC2:TIDIG_COMP_CNT: 0
; COMPUTE_PGM_RSRC3_GFX90A:ACCUM_OFFSET: 2
; COMPUTE_PGM_RSRC3_GFX90A:TG_SPLIT: 0
	.section	.text._ZN2at6native32elementwise_kernel_manual_unrollILi128ELi4EZNS0_22gpu_kernel_impl_nocastINS0_13AUnaryFunctorIfffZZZNS0_20copysign_kernel_cudaERNS_18TensorIteratorBaseEENKUlvE_clEvENKUlvE0_clEvEUlffE_EEEEvS5_RKT_EUlibE_EEviT1_,"axG",@progbits,_ZN2at6native32elementwise_kernel_manual_unrollILi128ELi4EZNS0_22gpu_kernel_impl_nocastINS0_13AUnaryFunctorIfffZZZNS0_20copysign_kernel_cudaERNS_18TensorIteratorBaseEENKUlvE_clEvENKUlvE0_clEvEUlffE_EEEEvS5_RKT_EUlibE_EEviT1_,comdat
	.globl	_ZN2at6native32elementwise_kernel_manual_unrollILi128ELi4EZNS0_22gpu_kernel_impl_nocastINS0_13AUnaryFunctorIfffZZZNS0_20copysign_kernel_cudaERNS_18TensorIteratorBaseEENKUlvE_clEvENKUlvE0_clEvEUlffE_EEEEvS5_RKT_EUlibE_EEviT1_ ; -- Begin function _ZN2at6native32elementwise_kernel_manual_unrollILi128ELi4EZNS0_22gpu_kernel_impl_nocastINS0_13AUnaryFunctorIfffZZZNS0_20copysign_kernel_cudaERNS_18TensorIteratorBaseEENKUlvE_clEvENKUlvE0_clEvEUlffE_EEEEvS5_RKT_EUlibE_EEviT1_
	.p2align	8
	.type	_ZN2at6native32elementwise_kernel_manual_unrollILi128ELi4EZNS0_22gpu_kernel_impl_nocastINS0_13AUnaryFunctorIfffZZZNS0_20copysign_kernel_cudaERNS_18TensorIteratorBaseEENKUlvE_clEvENKUlvE0_clEvEUlffE_EEEEvS5_RKT_EUlibE_EEviT1_,@function
_ZN2at6native32elementwise_kernel_manual_unrollILi128ELi4EZNS0_22gpu_kernel_impl_nocastINS0_13AUnaryFunctorIfffZZZNS0_20copysign_kernel_cudaERNS_18TensorIteratorBaseEENKUlvE_clEvENKUlvE0_clEvEUlffE_EEEEvS5_RKT_EUlibE_EEviT1_: ; @_ZN2at6native32elementwise_kernel_manual_unrollILi128ELi4EZNS0_22gpu_kernel_impl_nocastINS0_13AUnaryFunctorIfffZZZNS0_20copysign_kernel_cudaERNS_18TensorIteratorBaseEENKUlvE_clEvENKUlvE0_clEvEUlffE_EEEEvS5_RKT_EUlibE_EEviT1_
; %bb.0:
	s_load_dword s58, s[4:5], 0x0
	s_load_dword s33, s[4:5], 0x8
	s_or_b32 s4, s4, 8
	v_lshl_or_b32 v8, s6, 9, v0
	v_or_b32_e32 v15, 0x180, v8
	s_waitcnt lgkmcnt(0)
	v_cmp_le_i32_e32 vcc, s58, v15
	s_add_i32 s56, s33, -1
	s_cmp_gt_u32 s56, 1
	s_cselect_b64 s[6:7], -1, 0
	s_and_saveexec_b64 s[0:1], vcc
	s_xor_b64 s[34:35], exec, s[0:1]
	s_cbranch_execz .LBB77_8
; %bb.1:
	s_load_dwordx4 s[28:31], s[4:5], 0x4
	s_load_dwordx2 s[40:41], s[4:5], 0x14
	s_load_dwordx4 s[24:27], s[4:5], 0xc4
	s_load_dwordx4 s[0:3], s[4:5], 0x148
	s_load_dword s57, s[4:5], 0x15c
	s_cmp_lg_u32 s33, 0
	s_cselect_b64 s[46:47], -1, 0
	s_add_u32 s44, s4, 0xc4
	s_addc_u32 s45, s5, 0
	s_min_u32 s59, s56, 15
	s_cmp_gt_u32 s33, 1
	s_cselect_b64 s[42:43], -1, 0
	v_cmp_gt_i32_e32 vcc, s58, v8
	s_and_saveexec_b64 s[48:49], vcc
	s_cbranch_execz .LBB77_16
; %bb.2:
	s_andn2_b64 vcc, exec, s[6:7]
	s_cbranch_vccnz .LBB77_24
; %bb.3:
	s_mov_b32 s50, 0
	s_andn2_b64 vcc, exec, s[46:47]
	v_mov_b32_e32 v2, 0
	v_mov_b32_e32 v0, 0
	s_cbranch_vccnz .LBB77_80
; %bb.4:
	s_add_i32 s60, s59, 1
	s_cmp_eq_u32 s56, 2
	s_cbranch_scc1 .LBB77_75
; %bb.5:
	s_and_b32 s50, s60, 28
	s_mov_b32 s51, 0
	v_mov_b32_e32 v0, 0
	s_mov_b64 s[52:53], s[4:5]
	s_mov_b64 s[54:55], s[44:45]
	v_mov_b32_e32 v3, v8
	v_mov_b32_e32 v2, 0
.LBB77_6:                               ; =>This Inner Loop Header: Depth=1
	s_load_dwordx8 s[16:23], s[52:53], 0x4
	s_load_dwordx4 s[36:39], s[52:53], 0x24
	s_load_dwordx8 s[8:15], s[54:55], 0x0
	s_add_u32 s52, s52, 48
	s_addc_u32 s53, s53, 0
	s_waitcnt lgkmcnt(0)
	v_mul_hi_u32 v1, s17, v3
	v_add_u32_e32 v1, v3, v1
	v_lshrrev_b32_e32 v1, s18, v1
	v_mul_lo_u32 v4, v1, s16
	v_mul_hi_u32 v5, s20, v1
	v_sub_u32_e32 v3, v3, v4
	v_add_u32_e32 v4, v1, v5
	v_lshrrev_b32_e32 v4, s21, v4
	v_mul_lo_u32 v6, v4, s19
	v_mul_hi_u32 v7, s23, v4
	v_sub_u32_e32 v1, v1, v6
	v_add_u32_e32 v6, v4, v7
	v_mul_lo_u32 v5, v3, s9
	v_mul_lo_u32 v3, v3, s8
	;; [unrolled: 1-line block ×4, first 2 shown]
	v_lshrrev_b32_e32 v6, s36, v6
	v_add3_u32 v0, v3, v0, v1
	v_mul_hi_u32 v3, s38, v6
	v_add_u32_e32 v3, v6, v3
	v_lshrrev_b32_e32 v3, s39, v3
	s_add_i32 s51, s51, 4
	v_add3_u32 v1, v5, v2, v7
	v_mul_lo_u32 v2, v6, s22
	v_mul_lo_u32 v5, v3, s37
	s_add_u32 s54, s54, 32
	v_sub_u32_e32 v2, v4, v2
	v_sub_u32_e32 v5, v6, v5
	s_addc_u32 s55, s55, 0
	v_mul_lo_u32 v4, v2, s12
	v_mul_lo_u32 v2, v2, s13
	;; [unrolled: 1-line block ×4, first 2 shown]
	s_cmp_lg_u32 s50, s51
	v_add3_u32 v2, v2, v1, v5
	v_add3_u32 v0, v4, v0, v6
	s_cbranch_scc1 .LBB77_6
; %bb.7:
	v_mov_b32_e32 v1, v2
	s_branch .LBB77_76
.LBB77_8:
	s_andn2_saveexec_b64 s[0:1], s[34:35]
	s_cbranch_execz .LBB77_103
.LBB77_9:
	v_cndmask_b32_e64 v0, 0, 1, s[6:7]
	v_cmp_ne_u32_e64 s[0:1], 1, v0
	s_andn2_b64 vcc, exec, s[6:7]
	s_cbranch_vccnz .LBB77_23
; %bb.10:
	s_mov_b32 s2, 0
	s_cmp_lg_u32 s33, 0
	v_mov_b32_e32 v2, 0
	v_mov_b32_e32 v0, 0
	s_cbranch_scc0 .LBB77_15
; %bb.11:
	s_min_u32 s30, s56, 15
	s_add_i32 s30, s30, 1
	s_cmp_eq_u32 s56, 2
	s_cbranch_scc1 .LBB77_26
; %bb.12:
	s_add_u32 s6, s4, 0xc4
	s_addc_u32 s7, s5, 0
	s_and_b32 s2, s30, 28
	s_mov_b32 s3, 0
	v_mov_b32_e32 v0, 0
	s_mov_b64 s[28:29], s[4:5]
	v_mov_b32_e32 v3, v8
	v_mov_b32_e32 v2, 0
.LBB77_13:                              ; =>This Inner Loop Header: Depth=1
	s_load_dwordx8 s[16:23], s[28:29], 0x4
	s_load_dwordx4 s[24:27], s[28:29], 0x24
	s_load_dwordx8 s[8:15], s[6:7], 0x0
	s_add_u32 s28, s28, 48
	s_addc_u32 s29, s29, 0
	s_waitcnt lgkmcnt(0)
	v_mul_hi_u32 v1, s17, v3
	v_add_u32_e32 v1, v3, v1
	v_lshrrev_b32_e32 v1, s18, v1
	v_mul_lo_u32 v4, v1, s16
	v_mul_hi_u32 v5, s20, v1
	v_sub_u32_e32 v3, v3, v4
	v_add_u32_e32 v4, v1, v5
	v_lshrrev_b32_e32 v4, s21, v4
	v_mul_lo_u32 v6, v4, s19
	v_mul_hi_u32 v7, s23, v4
	v_sub_u32_e32 v1, v1, v6
	v_add_u32_e32 v6, v4, v7
	v_mul_lo_u32 v5, v3, s9
	v_mul_lo_u32 v3, v3, s8
	;; [unrolled: 1-line block ×4, first 2 shown]
	v_lshrrev_b32_e32 v6, s24, v6
	v_add3_u32 v0, v3, v0, v1
	v_mul_hi_u32 v3, s26, v6
	v_add_u32_e32 v3, v6, v3
	v_lshrrev_b32_e32 v3, s27, v3
	s_add_i32 s3, s3, 4
	v_add3_u32 v1, v5, v2, v7
	v_mul_lo_u32 v2, v6, s22
	v_mul_lo_u32 v5, v3, s25
	s_add_u32 s6, s6, 32
	v_sub_u32_e32 v2, v4, v2
	v_sub_u32_e32 v5, v6, v5
	s_addc_u32 s7, s7, 0
	v_mul_lo_u32 v4, v2, s12
	v_mul_lo_u32 v2, v2, s13
	;; [unrolled: 1-line block ×4, first 2 shown]
	s_cmp_lg_u32 s2, s3
	v_add3_u32 v2, v2, v1, v5
	v_add3_u32 v0, v4, v0, v6
	s_cbranch_scc1 .LBB77_13
; %bb.14:
	v_mov_b32_e32 v1, v2
	s_and_b32 s8, s30, 3
	s_cmp_eq_u32 s8, 0
	s_cbranch_scc0 .LBB77_27
.LBB77_15:
	s_cbranch_execz .LBB77_30
	s_branch .LBB77_32
.LBB77_16:
	s_or_b64 exec, exec, s[48:49]
	v_cmp_gt_i32_e32 vcc, s58, v8
	s_and_saveexec_b64 s[48:49], vcc
	s_cbranch_execz .LBB77_84
.LBB77_17:
	s_andn2_b64 vcc, exec, s[6:7]
	s_cbranch_vccnz .LBB77_25
; %bb.18:
	s_mov_b32 s50, 0
	s_andn2_b64 vcc, exec, s[46:47]
	v_mov_b32_e32 v2, 0
	v_mov_b32_e32 v0, 0
	s_cbranch_vccnz .LBB77_97
; %bb.19:
	s_add_i32 s60, s59, 1
	s_cmp_eq_u32 s56, 2
	s_cbranch_scc1 .LBB77_92
; %bb.20:
	s_and_b32 s50, s60, 28
	s_mov_b32 s51, 0
	v_mov_b32_e32 v0, 0
	s_mov_b64 s[52:53], s[4:5]
	s_mov_b64 s[54:55], s[44:45]
	v_mov_b32_e32 v3, v8
	v_mov_b32_e32 v2, 0
.LBB77_21:                              ; =>This Inner Loop Header: Depth=1
	s_load_dwordx8 s[16:23], s[52:53], 0x4
	s_load_dwordx4 s[36:39], s[52:53], 0x24
	s_load_dwordx8 s[8:15], s[54:55], 0x0
	s_add_u32 s52, s52, 48
	s_addc_u32 s53, s53, 0
	s_waitcnt lgkmcnt(0)
	v_mul_hi_u32 v1, s17, v3
	v_add_u32_e32 v1, v3, v1
	v_lshrrev_b32_e32 v1, s18, v1
	v_mul_lo_u32 v4, v1, s16
	v_mul_hi_u32 v5, s20, v1
	v_sub_u32_e32 v3, v3, v4
	v_add_u32_e32 v4, v1, v5
	v_lshrrev_b32_e32 v4, s21, v4
	v_mul_lo_u32 v6, v4, s19
	v_mul_hi_u32 v7, s23, v4
	v_sub_u32_e32 v1, v1, v6
	v_add_u32_e32 v6, v4, v7
	v_mul_lo_u32 v5, v3, s9
	v_mul_lo_u32 v3, v3, s8
	;; [unrolled: 1-line block ×4, first 2 shown]
	v_lshrrev_b32_e32 v6, s36, v6
	v_add3_u32 v0, v3, v0, v1
	v_mul_hi_u32 v3, s38, v6
	v_add_u32_e32 v3, v6, v3
	v_lshrrev_b32_e32 v3, s39, v3
	s_add_i32 s51, s51, 4
	v_add3_u32 v1, v5, v2, v7
	v_mul_lo_u32 v2, v6, s22
	v_mul_lo_u32 v5, v3, s37
	s_add_u32 s54, s54, 32
	v_sub_u32_e32 v2, v4, v2
	v_sub_u32_e32 v5, v6, v5
	s_addc_u32 s55, s55, 0
	v_mul_lo_u32 v4, v2, s12
	v_mul_lo_u32 v2, v2, s13
	v_mul_lo_u32 v6, v5, s14
	v_mul_lo_u32 v5, v5, s15
	s_cmp_eq_u32 s50, s51
	v_add3_u32 v2, v2, v1, v5
	v_add3_u32 v0, v4, v0, v6
	s_cbranch_scc0 .LBB77_21
; %bb.22:
	v_mov_b32_e32 v1, v2
	s_branch .LBB77_93
.LBB77_23:
                                        ; implicit-def: $vgpr2
                                        ; implicit-def: $vgpr0
	s_branch .LBB77_30
.LBB77_24:
                                        ; implicit-def: $vgpr2
                                        ; implicit-def: $vgpr0
	s_branch .LBB77_81
.LBB77_25:
                                        ; implicit-def: $vgpr2
                                        ; implicit-def: $vgpr0
	s_branch .LBB77_98
.LBB77_26:
	s_mov_b32 s3, s2
	v_pk_mov_b32 v[0:1], s[2:3], s[2:3] op_sel:[0,1]
                                        ; implicit-def: $vgpr2
	v_mov_b32_e32 v3, v8
	s_and_b32 s8, s30, 3
	s_cmp_eq_u32 s8, 0
	s_cbranch_scc1 .LBB77_15
.LBB77_27:
	s_lshl_b32 s3, s2, 3
	s_add_u32 s3, s3, s4
	s_addc_u32 s7, 0, s5
	s_add_u32 s6, s3, 0xc4
	s_addc_u32 s7, s7, 0
	s_mul_i32 s2, s2, 12
	s_add_u32 s2, s4, s2
	s_addc_u32 s3, 0, s5
.LBB77_28:                              ; =>This Inner Loop Header: Depth=1
	s_load_dwordx2 s[10:11], s[2:3], 0x4
	s_load_dword s9, s[2:3], 0xc
	s_load_dwordx2 s[12:13], s[6:7], 0x0
	v_mov_b32_e32 v2, v1
	s_add_u32 s2, s2, 12
	s_waitcnt lgkmcnt(0)
	v_mul_hi_u32 v1, s11, v3
	v_add_u32_e32 v1, v3, v1
	v_lshrrev_b32_e32 v1, s9, v1
	s_addc_u32 s3, s3, 0
	v_mul_lo_u32 v4, v1, s10
	s_add_u32 s6, s6, 8
	v_sub_u32_e32 v6, v3, v4
	v_mov_b32_e32 v3, v1
	s_addc_u32 s7, s7, 0
	s_add_i32 s8, s8, -1
	v_mad_u64_u32 v[4:5], s[10:11], v6, s13, v[2:3]
	v_mad_u64_u32 v[0:1], s[10:11], v6, s12, v[0:1]
	s_cmp_lg_u32 s8, 0
	v_mov_b32_e32 v1, v4
	s_cbranch_scc1 .LBB77_28
; %bb.29:
	v_mov_b32_e32 v2, v1
	s_cbranch_execnz .LBB77_32
.LBB77_30:
	s_load_dwordx4 s[8:11], s[4:5], 0x4
	s_load_dwordx2 s[2:3], s[4:5], 0xc4
	s_cmp_lt_u32 s33, 2
	s_waitcnt lgkmcnt(0)
	v_mul_hi_u32 v0, s9, v8
	v_add_u32_e32 v0, v8, v0
	v_lshrrev_b32_e32 v1, s10, v0
	v_mul_lo_u32 v0, v1, s8
	v_sub_u32_e32 v0, v8, v0
	v_mul_lo_u32 v2, v0, s3
	v_mul_lo_u32 v0, v0, s2
	s_cbranch_scc1 .LBB77_32
; %bb.31:
	s_load_dwordx4 s[8:11], s[4:5], 0x10
	s_load_dwordx2 s[2:3], s[4:5], 0xcc
	s_waitcnt lgkmcnt(0)
	v_mul_hi_u32 v3, s9, v1
	v_add_u32_e32 v3, v1, v3
	v_lshrrev_b32_e32 v3, s10, v3
	v_mul_lo_u32 v3, v3, s8
	v_sub_u32_e32 v3, v1, v3
	v_mad_u64_u32 v[0:1], s[6:7], v3, s2, v[0:1]
	v_mad_u64_u32 v[2:3], s[2:3], v3, s3, v[2:3]
.LBB77_32:
	s_and_b64 vcc, exec, s[0:1]
	v_add_u32_e32 v1, 0x80, v8
	s_cbranch_vccnz .LBB77_39
; %bb.33:
	s_mov_b32 s2, 0
	s_cmp_lg_u32 s33, 0
	v_mov_b32_e32 v6, 0
	v_mov_b32_e32 v4, 0
	s_cbranch_scc0 .LBB77_38
; %bb.34:
	s_min_u32 s30, s56, 15
	s_add_i32 s30, s30, 1
	s_cmp_eq_u32 s56, 2
	s_cbranch_scc1 .LBB77_40
; %bb.35:
	s_add_u32 s6, s4, 0xc4
	s_addc_u32 s7, s5, 0
	s_and_b32 s2, s30, 28
	s_mov_b32 s3, 0
	v_mov_b32_e32 v4, 0
	s_mov_b64 s[28:29], s[4:5]
	v_mov_b32_e32 v3, v1
	v_mov_b32_e32 v6, 0
.LBB77_36:                              ; =>This Inner Loop Header: Depth=1
	s_load_dwordx8 s[16:23], s[28:29], 0x4
	s_load_dwordx4 s[24:27], s[28:29], 0x24
	s_load_dwordx8 s[8:15], s[6:7], 0x0
	s_add_u32 s28, s28, 48
	s_addc_u32 s29, s29, 0
	s_waitcnt lgkmcnt(0)
	v_mul_hi_u32 v5, s17, v3
	v_add_u32_e32 v5, v3, v5
	v_lshrrev_b32_e32 v5, s18, v5
	v_mul_lo_u32 v7, v5, s16
	v_mul_hi_u32 v9, s20, v5
	v_sub_u32_e32 v3, v3, v7
	v_add_u32_e32 v7, v5, v9
	v_lshrrev_b32_e32 v7, s21, v7
	v_mul_lo_u32 v10, v7, s19
	v_mul_hi_u32 v11, s23, v7
	v_sub_u32_e32 v5, v5, v10
	v_add_u32_e32 v10, v7, v11
	v_mul_lo_u32 v9, v3, s9
	v_mul_lo_u32 v3, v3, s8
	;; [unrolled: 1-line block ×4, first 2 shown]
	v_lshrrev_b32_e32 v10, s24, v10
	v_add3_u32 v4, v3, v4, v5
	v_add3_u32 v5, v9, v6, v11
	v_mul_lo_u32 v3, v10, s22
	v_mul_hi_u32 v6, s26, v10
	v_sub_u32_e32 v3, v7, v3
	v_add_u32_e32 v6, v10, v6
	v_mul_lo_u32 v7, v3, s12
	v_mul_lo_u32 v9, v3, s13
	v_lshrrev_b32_e32 v3, s27, v6
	s_add_i32 s3, s3, 4
	v_mul_lo_u32 v6, v3, s25
	s_add_u32 s6, s6, 32
	v_sub_u32_e32 v6, v10, v6
	s_addc_u32 s7, s7, 0
	v_mul_lo_u32 v10, v6, s14
	v_mul_lo_u32 v6, v6, s15
	s_cmp_lg_u32 s2, s3
	v_add3_u32 v6, v9, v5, v6
	v_add3_u32 v4, v7, v4, v10
	s_cbranch_scc1 .LBB77_36
; %bb.37:
	v_mov_b32_e32 v5, v6
	s_and_b32 s8, s30, 3
	s_cmp_eq_u32 s8, 0
	s_cbranch_scc0 .LBB77_41
.LBB77_38:
	s_cbranch_execz .LBB77_44
	s_branch .LBB77_46
.LBB77_39:
                                        ; implicit-def: $vgpr6
                                        ; implicit-def: $vgpr4
	s_branch .LBB77_44
.LBB77_40:
	s_mov_b32 s3, s2
	v_pk_mov_b32 v[4:5], s[2:3], s[2:3] op_sel:[0,1]
                                        ; implicit-def: $vgpr6
	v_mov_b32_e32 v3, v1
	s_and_b32 s8, s30, 3
	s_cmp_eq_u32 s8, 0
	s_cbranch_scc1 .LBB77_38
.LBB77_41:
	s_lshl_b32 s3, s2, 3
	s_add_u32 s3, s3, s4
	s_addc_u32 s7, 0, s5
	s_add_u32 s6, s3, 0xc4
	s_addc_u32 s7, s7, 0
	s_mul_i32 s2, s2, 12
	s_add_u32 s2, s4, s2
	s_addc_u32 s3, 0, s5
.LBB77_42:                              ; =>This Inner Loop Header: Depth=1
	s_load_dwordx2 s[10:11], s[2:3], 0x4
	s_load_dword s9, s[2:3], 0xc
	s_load_dwordx2 s[12:13], s[6:7], 0x0
	v_mov_b32_e32 v6, v5
	s_add_u32 s2, s2, 12
	s_waitcnt lgkmcnt(0)
	v_mul_hi_u32 v5, s11, v3
	v_add_u32_e32 v5, v3, v5
	v_lshrrev_b32_e32 v5, s9, v5
	s_addc_u32 s3, s3, 0
	v_mul_lo_u32 v7, v5, s10
	s_add_u32 s6, s6, 8
	v_sub_u32_e32 v9, v3, v7
	s_addc_u32 s7, s7, 0
	s_add_i32 s8, s8, -1
	v_mov_b32_e32 v3, v5
	v_mad_u64_u32 v[6:7], s[10:11], v9, s13, v[6:7]
	v_mad_u64_u32 v[4:5], s[10:11], v9, s12, v[4:5]
	s_cmp_lg_u32 s8, 0
	v_mov_b32_e32 v5, v6
	s_cbranch_scc1 .LBB77_42
; %bb.43:
	v_mov_b32_e32 v6, v5
	s_cbranch_execnz .LBB77_46
.LBB77_44:
	s_load_dwordx4 s[8:11], s[4:5], 0x4
	s_load_dwordx2 s[2:3], s[4:5], 0xc4
	s_cmp_lt_u32 s33, 2
	s_waitcnt lgkmcnt(0)
	v_mul_hi_u32 v3, s9, v1
	v_add_u32_e32 v3, v1, v3
	v_lshrrev_b32_e32 v3, s10, v3
	v_mul_lo_u32 v4, v3, s8
	v_sub_u32_e32 v1, v1, v4
	v_mul_lo_u32 v6, v1, s3
	v_mul_lo_u32 v4, v1, s2
	s_cbranch_scc1 .LBB77_46
; %bb.45:
	s_load_dwordx4 s[8:11], s[4:5], 0x10
	s_load_dwordx2 s[2:3], s[4:5], 0xcc
	s_waitcnt lgkmcnt(0)
	v_mul_hi_u32 v1, s9, v3
	v_add_u32_e32 v1, v3, v1
	v_lshrrev_b32_e32 v1, s10, v1
	v_mul_lo_u32 v1, v1, s8
	v_sub_u32_e32 v1, v3, v1
	v_mad_u64_u32 v[4:5], s[6:7], v1, s2, v[4:5]
	v_mad_u64_u32 v[6:7], s[2:3], v1, s3, v[6:7]
.LBB77_46:
	s_and_b64 vcc, exec, s[0:1]
	v_add_u32_e32 v1, 0x100, v8
	s_cbranch_vccnz .LBB77_53
; %bb.47:
	s_mov_b32 s2, 0
	s_cmp_lg_u32 s33, 0
	v_mov_b32_e32 v10, 0
	v_mov_b32_e32 v8, 0
	s_cbranch_scc0 .LBB77_52
; %bb.48:
	s_min_u32 s30, s56, 15
	s_add_i32 s30, s30, 1
	s_cmp_eq_u32 s56, 2
	s_cbranch_scc1 .LBB77_54
; %bb.49:
	s_add_u32 s6, s4, 0xc4
	s_addc_u32 s7, s5, 0
	s_and_b32 s2, s30, 28
	s_mov_b32 s3, 0
	v_mov_b32_e32 v8, 0
	s_mov_b64 s[28:29], s[4:5]
	v_mov_b32_e32 v3, v1
	v_mov_b32_e32 v10, 0
.LBB77_50:                              ; =>This Inner Loop Header: Depth=1
	s_load_dwordx8 s[16:23], s[28:29], 0x4
	s_load_dwordx4 s[24:27], s[28:29], 0x24
	s_load_dwordx8 s[8:15], s[6:7], 0x0
	s_add_u32 s28, s28, 48
	s_addc_u32 s29, s29, 0
	s_waitcnt lgkmcnt(0)
	v_mul_hi_u32 v5, s17, v3
	v_add_u32_e32 v5, v3, v5
	v_lshrrev_b32_e32 v5, s18, v5
	v_mul_lo_u32 v7, v5, s16
	v_mul_hi_u32 v9, s20, v5
	v_sub_u32_e32 v3, v3, v7
	v_add_u32_e32 v7, v5, v9
	v_lshrrev_b32_e32 v7, s21, v7
	v_mul_lo_u32 v11, v7, s19
	v_mul_hi_u32 v12, s23, v7
	v_sub_u32_e32 v5, v5, v11
	v_add_u32_e32 v11, v7, v12
	v_mul_lo_u32 v9, v3, s9
	v_mul_lo_u32 v3, v3, s8
	;; [unrolled: 1-line block ×4, first 2 shown]
	v_lshrrev_b32_e32 v11, s24, v11
	v_add3_u32 v5, v3, v8, v5
	v_add3_u32 v8, v9, v10, v12
	v_mul_lo_u32 v3, v11, s22
	v_mul_hi_u32 v9, s26, v11
	v_sub_u32_e32 v3, v7, v3
	v_add_u32_e32 v7, v11, v9
	v_mul_lo_u32 v9, v3, s12
	v_mul_lo_u32 v10, v3, s13
	v_lshrrev_b32_e32 v3, s27, v7
	s_add_i32 s3, s3, 4
	v_mul_lo_u32 v7, v3, s25
	s_add_u32 s6, s6, 32
	v_sub_u32_e32 v7, v11, v7
	s_addc_u32 s7, s7, 0
	v_mul_lo_u32 v11, v7, s14
	v_mul_lo_u32 v7, v7, s15
	s_cmp_lg_u32 s2, s3
	v_add3_u32 v10, v10, v8, v7
	v_add3_u32 v8, v9, v5, v11
	s_cbranch_scc1 .LBB77_50
; %bb.51:
	v_mov_b32_e32 v9, v10
	s_and_b32 s8, s30, 3
	s_cmp_eq_u32 s8, 0
	s_cbranch_scc0 .LBB77_55
.LBB77_52:
	s_cbranch_execz .LBB77_58
	s_branch .LBB77_60
.LBB77_53:
                                        ; implicit-def: $vgpr10
                                        ; implicit-def: $vgpr8
	s_branch .LBB77_58
.LBB77_54:
	s_mov_b32 s3, s2
	v_pk_mov_b32 v[8:9], s[2:3], s[2:3] op_sel:[0,1]
                                        ; implicit-def: $vgpr10
	v_mov_b32_e32 v3, v1
	s_and_b32 s8, s30, 3
	s_cmp_eq_u32 s8, 0
	s_cbranch_scc1 .LBB77_52
.LBB77_55:
	s_lshl_b32 s3, s2, 3
	s_add_u32 s3, s3, s4
	s_addc_u32 s7, 0, s5
	s_add_u32 s6, s3, 0xc4
	s_addc_u32 s7, s7, 0
	s_mul_i32 s2, s2, 12
	s_add_u32 s2, s4, s2
	s_addc_u32 s3, 0, s5
.LBB77_56:                              ; =>This Inner Loop Header: Depth=1
	s_load_dwordx2 s[10:11], s[2:3], 0x4
	s_load_dword s9, s[2:3], 0xc
	s_load_dwordx2 s[12:13], s[6:7], 0x0
	s_add_u32 s2, s2, 12
	s_addc_u32 s3, s3, 0
	s_waitcnt lgkmcnt(0)
	v_mul_hi_u32 v5, s11, v3
	v_add_u32_e32 v5, v3, v5
	v_lshrrev_b32_e32 v5, s9, v5
	v_mul_lo_u32 v7, v5, s10
	v_mov_b32_e32 v10, v9
	s_add_u32 s6, s6, 8
	v_sub_u32_e32 v7, v3, v7
	s_addc_u32 s7, s7, 0
	s_add_i32 s8, s8, -1
	v_mad_u64_u32 v[10:11], s[10:11], v7, s13, v[10:11]
	v_mad_u64_u32 v[8:9], s[10:11], v7, s12, v[8:9]
	s_cmp_lg_u32 s8, 0
	v_mov_b32_e32 v3, v5
	v_mov_b32_e32 v9, v10
	s_cbranch_scc1 .LBB77_56
; %bb.57:
	v_mov_b32_e32 v10, v9
	s_cbranch_execnz .LBB77_60
.LBB77_58:
	s_load_dwordx4 s[8:11], s[4:5], 0x4
	s_load_dwordx2 s[2:3], s[4:5], 0xc4
	s_cmp_lt_u32 s33, 2
	s_waitcnt lgkmcnt(0)
	v_mul_hi_u32 v3, s9, v1
	v_add_u32_e32 v3, v1, v3
	v_lshrrev_b32_e32 v3, s10, v3
	v_mul_lo_u32 v5, v3, s8
	v_sub_u32_e32 v1, v1, v5
	v_mul_lo_u32 v10, v1, s3
	v_mul_lo_u32 v8, v1, s2
	s_cbranch_scc1 .LBB77_60
; %bb.59:
	s_load_dwordx4 s[8:11], s[4:5], 0x10
	s_load_dwordx2 s[2:3], s[4:5], 0xcc
	s_waitcnt lgkmcnt(0)
	v_mul_hi_u32 v1, s9, v3
	v_add_u32_e32 v1, v3, v1
	v_lshrrev_b32_e32 v1, s10, v1
	v_mul_lo_u32 v1, v1, s8
	v_sub_u32_e32 v1, v3, v1
	v_mad_u64_u32 v[8:9], s[6:7], v1, s2, v[8:9]
	v_mad_u64_u32 v[10:11], s[2:3], v1, s3, v[10:11]
.LBB77_60:
	s_and_b64 vcc, exec, s[0:1]
	s_cbranch_vccnz .LBB77_67
; %bb.61:
	s_mov_b32 s6, 0
	s_cmp_lg_u32 s33, 0
	v_mov_b32_e32 v14, 0
	v_mov_b32_e32 v12, 0
	s_cbranch_scc0 .LBB77_66
; %bb.62:
	s_min_u32 s28, s56, 15
	s_add_i32 s28, s28, 1
	s_cmp_eq_u32 s56, 2
	s_cbranch_scc1 .LBB77_68
; %bb.63:
	s_add_u32 s24, s4, 0xc4
	s_addc_u32 s25, s5, 0
	s_and_b32 s6, s28, 28
	s_mov_b32 s7, 0
	v_mov_b32_e32 v12, 0
	s_mov_b64 s[26:27], s[4:5]
	v_mov_b32_e32 v1, v15
	v_mov_b32_e32 v14, 0
.LBB77_64:                              ; =>This Inner Loop Header: Depth=1
	s_load_dwordx8 s[16:23], s[26:27], 0x4
	s_load_dwordx4 s[0:3], s[26:27], 0x24
	s_load_dwordx8 s[8:15], s[24:25], 0x0
	s_add_u32 s26, s26, 48
	s_addc_u32 s27, s27, 0
	s_waitcnt lgkmcnt(0)
	v_mul_hi_u32 v3, s17, v1
	v_add_u32_e32 v3, v1, v3
	v_lshrrev_b32_e32 v3, s18, v3
	v_mul_lo_u32 v5, v3, s16
	v_mul_hi_u32 v7, s20, v3
	v_sub_u32_e32 v1, v1, v5
	v_add_u32_e32 v5, v3, v7
	v_lshrrev_b32_e32 v5, s21, v5
	v_mul_lo_u32 v9, v5, s19
	v_mul_hi_u32 v11, s23, v5
	v_sub_u32_e32 v3, v3, v9
	v_add_u32_e32 v9, v5, v11
	v_mul_lo_u32 v7, v1, s9
	v_mul_lo_u32 v1, v1, s8
	;; [unrolled: 1-line block ×4, first 2 shown]
	v_lshrrev_b32_e32 v9, s0, v9
	v_add3_u32 v3, v1, v12, v3
	v_add3_u32 v7, v7, v14, v11
	v_mul_lo_u32 v1, v9, s22
	v_mul_hi_u32 v11, s2, v9
	v_sub_u32_e32 v1, v5, v1
	v_add_u32_e32 v5, v9, v11
	v_mul_lo_u32 v11, v1, s12
	v_mul_lo_u32 v12, v1, s13
	v_lshrrev_b32_e32 v1, s3, v5
	s_add_i32 s7, s7, 4
	v_mul_lo_u32 v5, v1, s1
	s_add_u32 s24, s24, 32
	v_sub_u32_e32 v5, v9, v5
	s_addc_u32 s25, s25, 0
	v_mul_lo_u32 v9, v5, s14
	v_mul_lo_u32 v5, v5, s15
	s_cmp_lg_u32 s6, s7
	v_add3_u32 v14, v12, v7, v5
	v_add3_u32 v12, v11, v3, v9
	s_cbranch_scc1 .LBB77_64
; %bb.65:
	v_mov_b32_e32 v13, v14
	s_and_b32 s7, s28, 3
	s_cmp_eq_u32 s7, 0
	s_cbranch_scc0 .LBB77_69
.LBB77_66:
	s_cbranch_execz .LBB77_72
	s_branch .LBB77_74
.LBB77_67:
                                        ; implicit-def: $vgpr14
                                        ; implicit-def: $vgpr12
	s_branch .LBB77_72
.LBB77_68:
	s_mov_b32 s7, s6
	v_pk_mov_b32 v[12:13], s[6:7], s[6:7] op_sel:[0,1]
                                        ; implicit-def: $vgpr14
	v_mov_b32_e32 v1, v15
	s_and_b32 s7, s28, 3
	s_cmp_eq_u32 s7, 0
	s_cbranch_scc1 .LBB77_66
.LBB77_69:
	s_lshl_b32 s0, s6, 3
	s_add_u32 s0, s0, s4
	s_addc_u32 s1, 0, s5
	s_add_u32 s0, s0, 0xc4
	s_addc_u32 s1, s1, 0
	s_mul_i32 s2, s6, 12
	s_add_u32 s2, s4, s2
	s_addc_u32 s3, 0, s5
.LBB77_70:                              ; =>This Inner Loop Header: Depth=1
	s_load_dwordx2 s[8:9], s[2:3], 0x4
	s_load_dword s6, s[2:3], 0xc
	s_load_dwordx2 s[10:11], s[0:1], 0x0
	s_add_u32 s2, s2, 12
	s_addc_u32 s3, s3, 0
	s_waitcnt lgkmcnt(0)
	v_mul_hi_u32 v3, s9, v1
	v_add_u32_e32 v3, v1, v3
	v_lshrrev_b32_e32 v3, s6, v3
	v_mul_lo_u32 v5, v3, s8
	v_mov_b32_e32 v14, v13
	s_add_u32 s0, s0, 8
	v_sub_u32_e32 v5, v1, v5
	s_addc_u32 s1, s1, 0
	s_add_i32 s7, s7, -1
	v_mad_u64_u32 v[16:17], s[8:9], v5, s11, v[14:15]
	v_mad_u64_u32 v[12:13], s[8:9], v5, s10, v[12:13]
	s_cmp_lg_u32 s7, 0
	v_mov_b32_e32 v1, v3
	v_mov_b32_e32 v13, v16
	s_cbranch_scc1 .LBB77_70
; %bb.71:
	v_mov_b32_e32 v14, v13
	s_cbranch_execnz .LBB77_74
.LBB77_72:
	s_load_dwordx4 s[0:3], s[4:5], 0x4
	s_load_dwordx2 s[6:7], s[4:5], 0xc4
	s_cmp_lt_u32 s33, 2
	s_waitcnt lgkmcnt(0)
	v_mul_hi_u32 v1, s1, v15
	v_add_u32_e32 v1, v15, v1
	v_lshrrev_b32_e32 v1, s2, v1
	v_mul_lo_u32 v3, v1, s0
	v_sub_u32_e32 v3, v15, v3
	v_mul_lo_u32 v14, v3, s7
	v_mul_lo_u32 v12, v3, s6
	s_cbranch_scc1 .LBB77_74
; %bb.73:
	s_load_dwordx4 s[0:3], s[4:5], 0x10
	s_load_dwordx2 s[6:7], s[4:5], 0xcc
	s_waitcnt lgkmcnt(0)
	v_mul_hi_u32 v3, s1, v1
	v_add_u32_e32 v3, v1, v3
	v_lshrrev_b32_e32 v3, s2, v3
	v_mul_lo_u32 v3, v3, s0
	v_sub_u32_e32 v1, v1, v3
	v_mad_u64_u32 v[12:13], s[0:1], v1, s6, v[12:13]
	v_mad_u64_u32 v[14:15], s[0:1], v1, s7, v[14:15]
.LBB77_74:
	s_load_dwordx4 s[0:3], s[4:5], 0x148
	s_load_dword s6, s[4:5], 0x15c
	s_waitcnt lgkmcnt(0)
	global_load_dword v1, v2, s[2:3]
	global_load_dword v3, v6, s[2:3]
	global_load_dword v5, v10, s[2:3]
	global_load_dword v7, v14, s[2:3]
	s_brev_b32 s2, -2
	v_mov_b32_e32 v2, s6
	s_waitcnt vmcnt(3)
	v_bfi_b32 v1, s2, v2, v1
	s_waitcnt vmcnt(2)
	v_bfi_b32 v3, s2, v2, v3
	;; [unrolled: 2-line block ×4, first 2 shown]
	global_store_dword v0, v1, s[0:1]
	global_store_dword v4, v3, s[0:1]
	;; [unrolled: 1-line block ×4, first 2 shown]
	s_endpgm
.LBB77_75:
	s_mov_b32 s51, s50
	v_pk_mov_b32 v[0:1], s[50:51], s[50:51] op_sel:[0,1]
                                        ; implicit-def: $vgpr2
	v_mov_b32_e32 v3, v8
.LBB77_76:
	s_and_b32 s12, s60, 3
	s_cmp_eq_u32 s12, 0
	s_cbranch_scc1 .LBB77_80
; %bb.77:
	s_lshl_b32 s8, s50, 3
	s_add_u32 s8, s8, s4
	s_addc_u32 s9, s5, 0
	s_add_u32 s8, s8, 0xc4
	s_addc_u32 s9, s9, 0
	s_mul_i32 s10, s50, 12
	s_add_u32 s10, s4, s10
	s_addc_u32 s11, s5, 0
.LBB77_78:                              ; =>This Inner Loop Header: Depth=1
	s_load_dwordx2 s[14:15], s[10:11], 0x4
	s_load_dword s13, s[10:11], 0xc
	s_load_dwordx2 s[16:17], s[8:9], 0x0
	v_mov_b32_e32 v2, v1
	s_add_u32 s10, s10, 12
	s_waitcnt lgkmcnt(0)
	v_mul_hi_u32 v1, s15, v3
	v_add_u32_e32 v1, v3, v1
	v_lshrrev_b32_e32 v1, s13, v1
	s_addc_u32 s11, s11, 0
	v_mul_lo_u32 v4, v1, s14
	s_add_u32 s8, s8, 8
	v_sub_u32_e32 v6, v3, v4
	v_mov_b32_e32 v3, v1
	s_addc_u32 s9, s9, 0
	s_add_i32 s12, s12, -1
	v_mad_u64_u32 v[4:5], s[14:15], v6, s17, v[2:3]
	v_mad_u64_u32 v[0:1], s[14:15], v6, s16, v[0:1]
	s_cmp_lg_u32 s12, 0
	v_mov_b32_e32 v1, v4
	s_cbranch_scc1 .LBB77_78
; %bb.79:
	v_mov_b32_e32 v2, v1
.LBB77_80:
	s_cbranch_execnz .LBB77_83
.LBB77_81:
	s_waitcnt lgkmcnt(0)
	v_mul_hi_u32 v0, s29, v8
	v_add_u32_e32 v0, v8, v0
	v_lshrrev_b32_e32 v1, s30, v0
	v_mul_lo_u32 v0, v1, s28
	v_sub_u32_e32 v0, v8, v0
	v_mul_lo_u32 v2, v0, s25
	s_andn2_b64 vcc, exec, s[42:43]
	v_mul_lo_u32 v0, v0, s24
	s_cbranch_vccnz .LBB77_83
; %bb.82:
	v_mul_hi_u32 v3, s40, v1
	v_add_u32_e32 v3, v1, v3
	v_lshrrev_b32_e32 v3, s41, v3
	v_mul_lo_u32 v3, v3, s31
	v_sub_u32_e32 v3, v1, v3
	v_mad_u64_u32 v[0:1], s[8:9], v3, s26, v[0:1]
	v_mad_u64_u32 v[2:3], s[8:9], v3, s27, v[2:3]
.LBB77_83:
	s_waitcnt lgkmcnt(0)
	global_load_dword v1, v2, s[2:3]
	s_brev_b32 s8, -2
	v_mov_b32_e32 v2, s57
	v_add_u32_e32 v8, 0x80, v8
	s_waitcnt vmcnt(0)
	v_bfi_b32 v1, s8, v2, v1
	global_store_dword v0, v1, s[0:1]
	s_or_b64 exec, exec, s[48:49]
	v_cmp_gt_i32_e32 vcc, s58, v8
	s_and_saveexec_b64 s[48:49], vcc
	s_cbranch_execnz .LBB77_17
.LBB77_84:
	s_or_b64 exec, exec, s[48:49]
	v_cmp_gt_i32_e32 vcc, s58, v8
	s_and_saveexec_b64 s[48:49], vcc
	s_cbranch_execz .LBB77_101
.LBB77_85:
	s_andn2_b64 vcc, exec, s[6:7]
	s_cbranch_vccnz .LBB77_91
; %bb.86:
	s_mov_b32 s50, 0
	s_andn2_b64 vcc, exec, s[46:47]
	v_mov_b32_e32 v2, 0
	v_mov_b32_e32 v0, 0
	s_cbranch_vccnz .LBB77_109
; %bb.87:
	s_add_i32 s60, s59, 1
	s_cmp_eq_u32 s56, 2
	s_cbranch_scc1 .LBB77_104
; %bb.88:
	s_and_b32 s50, s60, 28
	s_mov_b32 s51, 0
	v_mov_b32_e32 v0, 0
	s_mov_b64 s[52:53], s[4:5]
	s_mov_b64 s[54:55], s[44:45]
	v_mov_b32_e32 v3, v8
	v_mov_b32_e32 v2, 0
.LBB77_89:                              ; =>This Inner Loop Header: Depth=1
	s_load_dwordx8 s[16:23], s[52:53], 0x4
	s_load_dwordx4 s[36:39], s[52:53], 0x24
	s_load_dwordx8 s[8:15], s[54:55], 0x0
	s_add_u32 s52, s52, 48
	s_addc_u32 s53, s53, 0
	s_waitcnt lgkmcnt(0)
	v_mul_hi_u32 v1, s17, v3
	v_add_u32_e32 v1, v3, v1
	v_lshrrev_b32_e32 v1, s18, v1
	v_mul_lo_u32 v4, v1, s16
	v_mul_hi_u32 v5, s20, v1
	v_sub_u32_e32 v3, v3, v4
	v_add_u32_e32 v4, v1, v5
	v_lshrrev_b32_e32 v4, s21, v4
	v_mul_lo_u32 v6, v4, s19
	v_mul_hi_u32 v7, s23, v4
	v_sub_u32_e32 v1, v1, v6
	v_add_u32_e32 v6, v4, v7
	v_mul_lo_u32 v5, v3, s9
	v_mul_lo_u32 v3, v3, s8
	;; [unrolled: 1-line block ×4, first 2 shown]
	v_lshrrev_b32_e32 v6, s36, v6
	v_add3_u32 v0, v3, v0, v1
	v_mul_hi_u32 v3, s38, v6
	v_add_u32_e32 v3, v6, v3
	v_lshrrev_b32_e32 v3, s39, v3
	s_add_i32 s51, s51, 4
	v_add3_u32 v1, v5, v2, v7
	v_mul_lo_u32 v2, v6, s22
	v_mul_lo_u32 v5, v3, s37
	s_add_u32 s54, s54, 32
	v_sub_u32_e32 v2, v4, v2
	v_sub_u32_e32 v5, v6, v5
	s_addc_u32 s55, s55, 0
	v_mul_lo_u32 v4, v2, s12
	v_mul_lo_u32 v2, v2, s13
	;; [unrolled: 1-line block ×4, first 2 shown]
	s_cmp_eq_u32 s50, s51
	v_add3_u32 v2, v2, v1, v5
	v_add3_u32 v0, v4, v0, v6
	s_cbranch_scc0 .LBB77_89
; %bb.90:
	v_mov_b32_e32 v1, v2
	s_branch .LBB77_105
.LBB77_91:
                                        ; implicit-def: $vgpr2
                                        ; implicit-def: $vgpr0
	s_branch .LBB77_110
.LBB77_92:
	s_mov_b32 s51, s50
	v_pk_mov_b32 v[0:1], s[50:51], s[50:51] op_sel:[0,1]
                                        ; implicit-def: $vgpr2
	v_mov_b32_e32 v3, v8
.LBB77_93:
	s_and_b32 s12, s60, 3
	s_cmp_eq_u32 s12, 0
	s_cbranch_scc1 .LBB77_97
; %bb.94:
	s_lshl_b32 s8, s50, 3
	s_add_u32 s8, s8, s4
	s_addc_u32 s9, s5, 0
	s_add_u32 s8, s8, 0xc4
	s_addc_u32 s9, s9, 0
	s_mul_i32 s10, s50, 12
	s_add_u32 s10, s4, s10
	s_addc_u32 s11, s5, 0
.LBB77_95:                              ; =>This Inner Loop Header: Depth=1
	s_load_dwordx2 s[14:15], s[10:11], 0x4
	s_load_dword s13, s[10:11], 0xc
	s_load_dwordx2 s[16:17], s[8:9], 0x0
	v_mov_b32_e32 v2, v1
	s_add_u32 s10, s10, 12
	s_waitcnt lgkmcnt(0)
	v_mul_hi_u32 v1, s15, v3
	v_add_u32_e32 v1, v3, v1
	v_lshrrev_b32_e32 v1, s13, v1
	s_addc_u32 s11, s11, 0
	v_mul_lo_u32 v4, v1, s14
	s_add_u32 s8, s8, 8
	v_sub_u32_e32 v6, v3, v4
	v_mov_b32_e32 v3, v1
	s_addc_u32 s9, s9, 0
	s_add_i32 s12, s12, -1
	v_mad_u64_u32 v[4:5], s[14:15], v6, s17, v[2:3]
	v_mad_u64_u32 v[0:1], s[14:15], v6, s16, v[0:1]
	s_cmp_lg_u32 s12, 0
	v_mov_b32_e32 v1, v4
	s_cbranch_scc1 .LBB77_95
; %bb.96:
	v_mov_b32_e32 v2, v1
.LBB77_97:
	s_cbranch_execnz .LBB77_100
.LBB77_98:
	s_waitcnt lgkmcnt(0)
	v_mul_hi_u32 v0, s29, v8
	v_add_u32_e32 v0, v8, v0
	v_lshrrev_b32_e32 v1, s30, v0
	v_mul_lo_u32 v0, v1, s28
	v_sub_u32_e32 v0, v8, v0
	v_mul_lo_u32 v2, v0, s25
	s_andn2_b64 vcc, exec, s[42:43]
	v_mul_lo_u32 v0, v0, s24
	s_cbranch_vccnz .LBB77_100
; %bb.99:
	v_mul_hi_u32 v3, s40, v1
	v_add_u32_e32 v3, v1, v3
	v_lshrrev_b32_e32 v3, s41, v3
	v_mul_lo_u32 v3, v3, s31
	v_sub_u32_e32 v3, v1, v3
	v_mad_u64_u32 v[0:1], s[8:9], v3, s26, v[0:1]
	v_mad_u64_u32 v[2:3], s[8:9], v3, s27, v[2:3]
.LBB77_100:
	s_waitcnt lgkmcnt(0)
	global_load_dword v1, v2, s[2:3]
	s_brev_b32 s8, -2
	v_mov_b32_e32 v2, s57
	v_add_u32_e32 v8, 0x80, v8
	s_waitcnt vmcnt(0)
	v_bfi_b32 v1, s8, v2, v1
	global_store_dword v0, v1, s[0:1]
	s_or_b64 exec, exec, s[48:49]
	v_cmp_gt_i32_e32 vcc, s58, v8
	s_and_saveexec_b64 s[48:49], vcc
	s_cbranch_execnz .LBB77_85
.LBB77_101:
	s_or_b64 exec, exec, s[48:49]
	v_cmp_gt_i32_e32 vcc, s58, v8
	s_and_saveexec_b64 s[48:49], vcc
	s_cbranch_execnz .LBB77_113
.LBB77_102:
	s_or_b64 exec, exec, s[48:49]
                                        ; implicit-def: $vgpr15
                                        ; implicit-def: $vgpr8
	s_waitcnt lgkmcnt(0)
	s_andn2_saveexec_b64 s[0:1], s[34:35]
	s_cbranch_execnz .LBB77_9
.LBB77_103:
	s_endpgm
.LBB77_104:
	s_mov_b32 s51, s50
	v_pk_mov_b32 v[0:1], s[50:51], s[50:51] op_sel:[0,1]
                                        ; implicit-def: $vgpr2
	v_mov_b32_e32 v3, v8
.LBB77_105:
	s_and_b32 s12, s60, 3
	s_cmp_eq_u32 s12, 0
	s_cbranch_scc1 .LBB77_109
; %bb.106:
	s_lshl_b32 s8, s50, 3
	s_add_u32 s8, s8, s4
	s_addc_u32 s9, s5, 0
	s_add_u32 s8, s8, 0xc4
	s_addc_u32 s9, s9, 0
	s_mul_i32 s10, s50, 12
	s_add_u32 s10, s4, s10
	s_addc_u32 s11, s5, 0
.LBB77_107:                             ; =>This Inner Loop Header: Depth=1
	s_load_dwordx2 s[14:15], s[10:11], 0x4
	s_load_dword s13, s[10:11], 0xc
	s_load_dwordx2 s[16:17], s[8:9], 0x0
	v_mov_b32_e32 v2, v1
	s_add_u32 s10, s10, 12
	s_waitcnt lgkmcnt(0)
	v_mul_hi_u32 v1, s15, v3
	v_add_u32_e32 v1, v3, v1
	v_lshrrev_b32_e32 v1, s13, v1
	s_addc_u32 s11, s11, 0
	v_mul_lo_u32 v4, v1, s14
	s_add_u32 s8, s8, 8
	v_sub_u32_e32 v6, v3, v4
	v_mov_b32_e32 v3, v1
	s_addc_u32 s9, s9, 0
	s_add_i32 s12, s12, -1
	v_mad_u64_u32 v[4:5], s[14:15], v6, s17, v[2:3]
	v_mad_u64_u32 v[0:1], s[14:15], v6, s16, v[0:1]
	s_cmp_lg_u32 s12, 0
	v_mov_b32_e32 v1, v4
	s_cbranch_scc1 .LBB77_107
; %bb.108:
	v_mov_b32_e32 v2, v1
.LBB77_109:
	s_cbranch_execnz .LBB77_112
.LBB77_110:
	s_waitcnt lgkmcnt(0)
	v_mul_hi_u32 v0, s29, v8
	v_add_u32_e32 v0, v8, v0
	v_lshrrev_b32_e32 v1, s30, v0
	v_mul_lo_u32 v0, v1, s28
	v_sub_u32_e32 v0, v8, v0
	v_mul_lo_u32 v2, v0, s25
	s_andn2_b64 vcc, exec, s[42:43]
	v_mul_lo_u32 v0, v0, s24
	s_cbranch_vccnz .LBB77_112
; %bb.111:
	v_mul_hi_u32 v3, s40, v1
	v_add_u32_e32 v3, v1, v3
	v_lshrrev_b32_e32 v3, s41, v3
	v_mul_lo_u32 v3, v3, s31
	v_sub_u32_e32 v3, v1, v3
	v_mad_u64_u32 v[0:1], s[8:9], v3, s26, v[0:1]
	v_mad_u64_u32 v[2:3], s[8:9], v3, s27, v[2:3]
.LBB77_112:
	s_waitcnt lgkmcnt(0)
	global_load_dword v1, v2, s[2:3]
	s_brev_b32 s8, -2
	v_mov_b32_e32 v2, s57
	v_add_u32_e32 v8, 0x80, v8
	s_waitcnt vmcnt(0)
	v_bfi_b32 v1, s8, v2, v1
	global_store_dword v0, v1, s[0:1]
	s_or_b64 exec, exec, s[48:49]
	v_cmp_gt_i32_e32 vcc, s58, v8
	s_and_saveexec_b64 s[48:49], vcc
	s_cbranch_execz .LBB77_102
.LBB77_113:
	s_andn2_b64 vcc, exec, s[6:7]
	s_cbranch_vccnz .LBB77_119
; %bb.114:
	s_mov_b32 s50, 0
	s_andn2_b64 vcc, exec, s[46:47]
	v_mov_b32_e32 v2, 0
	v_mov_b32_e32 v0, 0
	s_cbranch_vccnz .LBB77_125
; %bb.115:
	s_add_i32 s59, s59, 1
	s_cmp_eq_u32 s56, 2
	s_cbranch_scc1 .LBB77_120
; %bb.116:
	s_and_b32 s50, s59, 28
	s_mov_b32 s51, 0
	v_mov_b32_e32 v0, 0
	s_mov_b64 s[46:47], s[4:5]
	v_mov_b32_e32 v3, v8
	v_mov_b32_e32 v2, 0
.LBB77_117:                             ; =>This Inner Loop Header: Depth=1
	s_load_dwordx8 s[16:23], s[46:47], 0x4
	s_load_dwordx4 s[36:39], s[46:47], 0x24
	s_load_dwordx8 s[8:15], s[44:45], 0x0
	s_add_u32 s46, s46, 48
	s_addc_u32 s47, s47, 0
	s_waitcnt lgkmcnt(0)
	v_mul_hi_u32 v1, s17, v3
	v_add_u32_e32 v1, v3, v1
	v_lshrrev_b32_e32 v1, s18, v1
	v_mul_lo_u32 v4, v1, s16
	v_mul_hi_u32 v5, s20, v1
	v_sub_u32_e32 v3, v3, v4
	v_add_u32_e32 v4, v1, v5
	v_lshrrev_b32_e32 v4, s21, v4
	v_mul_lo_u32 v6, v4, s19
	v_mul_hi_u32 v7, s23, v4
	v_sub_u32_e32 v1, v1, v6
	v_add_u32_e32 v6, v4, v7
	v_mul_lo_u32 v5, v3, s9
	v_mul_lo_u32 v3, v3, s8
	;; [unrolled: 1-line block ×4, first 2 shown]
	v_lshrrev_b32_e32 v6, s36, v6
	v_add3_u32 v0, v3, v0, v1
	v_mul_hi_u32 v3, s38, v6
	v_add_u32_e32 v3, v6, v3
	v_lshrrev_b32_e32 v3, s39, v3
	s_add_i32 s51, s51, 4
	v_add3_u32 v1, v5, v2, v7
	v_mul_lo_u32 v2, v6, s22
	v_mul_lo_u32 v5, v3, s37
	s_add_u32 s44, s44, 32
	v_sub_u32_e32 v2, v4, v2
	v_sub_u32_e32 v5, v6, v5
	s_addc_u32 s45, s45, 0
	v_mul_lo_u32 v4, v2, s12
	v_mul_lo_u32 v2, v2, s13
	;; [unrolled: 1-line block ×4, first 2 shown]
	s_cmp_eq_u32 s50, s51
	v_add3_u32 v2, v2, v1, v5
	v_add3_u32 v0, v4, v0, v6
	s_cbranch_scc0 .LBB77_117
; %bb.118:
	v_mov_b32_e32 v1, v2
	s_branch .LBB77_121
.LBB77_119:
                                        ; implicit-def: $vgpr2
                                        ; implicit-def: $vgpr0
	s_branch .LBB77_126
.LBB77_120:
	s_mov_b32 s51, s50
	v_pk_mov_b32 v[0:1], s[50:51], s[50:51] op_sel:[0,1]
                                        ; implicit-def: $vgpr2
	v_mov_b32_e32 v3, v8
.LBB77_121:
	s_and_b32 s12, s59, 3
	s_cmp_eq_u32 s12, 0
	s_cbranch_scc1 .LBB77_125
; %bb.122:
	s_lshl_b32 s8, s50, 3
	s_add_u32 s8, s8, s4
	s_addc_u32 s9, s5, 0
	s_add_u32 s8, s8, 0xc4
	s_addc_u32 s9, s9, 0
	s_mul_i32 s10, s50, 12
	s_add_u32 s10, s4, s10
	s_addc_u32 s11, s5, 0
.LBB77_123:                             ; =>This Inner Loop Header: Depth=1
	s_load_dwordx2 s[14:15], s[10:11], 0x4
	s_load_dword s13, s[10:11], 0xc
	s_load_dwordx2 s[16:17], s[8:9], 0x0
	v_mov_b32_e32 v2, v1
	s_add_u32 s10, s10, 12
	s_waitcnt lgkmcnt(0)
	v_mul_hi_u32 v1, s15, v3
	v_add_u32_e32 v1, v3, v1
	v_lshrrev_b32_e32 v1, s13, v1
	s_addc_u32 s11, s11, 0
	v_mul_lo_u32 v4, v1, s14
	s_add_u32 s8, s8, 8
	v_sub_u32_e32 v6, v3, v4
	v_mov_b32_e32 v3, v1
	s_addc_u32 s9, s9, 0
	s_add_i32 s12, s12, -1
	v_mad_u64_u32 v[4:5], s[14:15], v6, s17, v[2:3]
	v_mad_u64_u32 v[0:1], s[14:15], v6, s16, v[0:1]
	s_cmp_lg_u32 s12, 0
	v_mov_b32_e32 v1, v4
	s_cbranch_scc1 .LBB77_123
; %bb.124:
	v_mov_b32_e32 v2, v1
.LBB77_125:
	s_cbranch_execnz .LBB77_128
.LBB77_126:
	s_waitcnt lgkmcnt(0)
	v_mul_hi_u32 v0, s29, v8
	v_add_u32_e32 v0, v8, v0
	v_lshrrev_b32_e32 v1, s30, v0
	v_mul_lo_u32 v0, v1, s28
	v_sub_u32_e32 v0, v8, v0
	v_mul_lo_u32 v2, v0, s25
	s_andn2_b64 vcc, exec, s[42:43]
	v_mul_lo_u32 v0, v0, s24
	s_cbranch_vccnz .LBB77_128
; %bb.127:
	v_mul_hi_u32 v3, s40, v1
	v_add_u32_e32 v3, v1, v3
	v_lshrrev_b32_e32 v3, s41, v3
	v_mul_lo_u32 v3, v3, s31
	v_sub_u32_e32 v3, v1, v3
	v_mad_u64_u32 v[0:1], s[8:9], v3, s26, v[0:1]
	v_mad_u64_u32 v[2:3], s[8:9], v3, s27, v[2:3]
.LBB77_128:
	s_waitcnt lgkmcnt(0)
	global_load_dword v1, v2, s[2:3]
	s_brev_b32 s2, -2
	v_mov_b32_e32 v2, s57
	s_waitcnt vmcnt(0)
	v_bfi_b32 v1, s2, v2, v1
	global_store_dword v0, v1, s[0:1]
	s_or_b64 exec, exec, s[48:49]
                                        ; implicit-def: $vgpr15
                                        ; implicit-def: $vgpr8
	s_andn2_saveexec_b64 s[0:1], s[34:35]
	s_cbranch_execz .LBB77_103
	s_branch .LBB77_9
	.section	.rodata,"a",@progbits
	.p2align	6, 0x0
	.amdhsa_kernel _ZN2at6native32elementwise_kernel_manual_unrollILi128ELi4EZNS0_22gpu_kernel_impl_nocastINS0_13AUnaryFunctorIfffZZZNS0_20copysign_kernel_cudaERNS_18TensorIteratorBaseEENKUlvE_clEvENKUlvE0_clEvEUlffE_EEEEvS5_RKT_EUlibE_EEviT1_
		.amdhsa_group_segment_fixed_size 0
		.amdhsa_private_segment_fixed_size 0
		.amdhsa_kernarg_size 360
		.amdhsa_user_sgpr_count 6
		.amdhsa_user_sgpr_private_segment_buffer 1
		.amdhsa_user_sgpr_dispatch_ptr 0
		.amdhsa_user_sgpr_queue_ptr 0
		.amdhsa_user_sgpr_kernarg_segment_ptr 1
		.amdhsa_user_sgpr_dispatch_id 0
		.amdhsa_user_sgpr_flat_scratch_init 0
		.amdhsa_user_sgpr_kernarg_preload_length 0
		.amdhsa_user_sgpr_kernarg_preload_offset 0
		.amdhsa_user_sgpr_private_segment_size 0
		.amdhsa_uses_dynamic_stack 0
		.amdhsa_system_sgpr_private_segment_wavefront_offset 0
		.amdhsa_system_sgpr_workgroup_id_x 1
		.amdhsa_system_sgpr_workgroup_id_y 0
		.amdhsa_system_sgpr_workgroup_id_z 0
		.amdhsa_system_sgpr_workgroup_info 0
		.amdhsa_system_vgpr_workitem_id 0
		.amdhsa_next_free_vgpr 18
		.amdhsa_next_free_sgpr 61
		.amdhsa_accum_offset 20
		.amdhsa_reserve_vcc 1
		.amdhsa_reserve_flat_scratch 0
		.amdhsa_float_round_mode_32 0
		.amdhsa_float_round_mode_16_64 0
		.amdhsa_float_denorm_mode_32 3
		.amdhsa_float_denorm_mode_16_64 3
		.amdhsa_dx10_clamp 1
		.amdhsa_ieee_mode 1
		.amdhsa_fp16_overflow 0
		.amdhsa_tg_split 0
		.amdhsa_exception_fp_ieee_invalid_op 0
		.amdhsa_exception_fp_denorm_src 0
		.amdhsa_exception_fp_ieee_div_zero 0
		.amdhsa_exception_fp_ieee_overflow 0
		.amdhsa_exception_fp_ieee_underflow 0
		.amdhsa_exception_fp_ieee_inexact 0
		.amdhsa_exception_int_div_zero 0
	.end_amdhsa_kernel
	.section	.text._ZN2at6native32elementwise_kernel_manual_unrollILi128ELi4EZNS0_22gpu_kernel_impl_nocastINS0_13AUnaryFunctorIfffZZZNS0_20copysign_kernel_cudaERNS_18TensorIteratorBaseEENKUlvE_clEvENKUlvE0_clEvEUlffE_EEEEvS5_RKT_EUlibE_EEviT1_,"axG",@progbits,_ZN2at6native32elementwise_kernel_manual_unrollILi128ELi4EZNS0_22gpu_kernel_impl_nocastINS0_13AUnaryFunctorIfffZZZNS0_20copysign_kernel_cudaERNS_18TensorIteratorBaseEENKUlvE_clEvENKUlvE0_clEvEUlffE_EEEEvS5_RKT_EUlibE_EEviT1_,comdat
.Lfunc_end77:
	.size	_ZN2at6native32elementwise_kernel_manual_unrollILi128ELi4EZNS0_22gpu_kernel_impl_nocastINS0_13AUnaryFunctorIfffZZZNS0_20copysign_kernel_cudaERNS_18TensorIteratorBaseEENKUlvE_clEvENKUlvE0_clEvEUlffE_EEEEvS5_RKT_EUlibE_EEviT1_, .Lfunc_end77-_ZN2at6native32elementwise_kernel_manual_unrollILi128ELi4EZNS0_22gpu_kernel_impl_nocastINS0_13AUnaryFunctorIfffZZZNS0_20copysign_kernel_cudaERNS_18TensorIteratorBaseEENKUlvE_clEvENKUlvE0_clEvEUlffE_EEEEvS5_RKT_EUlibE_EEviT1_
                                        ; -- End function
	.section	.AMDGPU.csdata,"",@progbits
; Kernel info:
; codeLenInByte = 5928
; NumSgprs: 65
; NumVgprs: 18
; NumAgprs: 0
; TotalNumVgprs: 18
; ScratchSize: 0
; MemoryBound: 0
; FloatMode: 240
; IeeeMode: 1
; LDSByteSize: 0 bytes/workgroup (compile time only)
; SGPRBlocks: 8
; VGPRBlocks: 2
; NumSGPRsForWavesPerEU: 65
; NumVGPRsForWavesPerEU: 18
; AccumOffset: 20
; Occupancy: 8
; WaveLimiterHint : 1
; COMPUTE_PGM_RSRC2:SCRATCH_EN: 0
; COMPUTE_PGM_RSRC2:USER_SGPR: 6
; COMPUTE_PGM_RSRC2:TRAP_HANDLER: 0
; COMPUTE_PGM_RSRC2:TGID_X_EN: 1
; COMPUTE_PGM_RSRC2:TGID_Y_EN: 0
; COMPUTE_PGM_RSRC2:TGID_Z_EN: 0
; COMPUTE_PGM_RSRC2:TIDIG_COMP_CNT: 0
; COMPUTE_PGM_RSRC3_GFX90A:ACCUM_OFFSET: 4
; COMPUTE_PGM_RSRC3_GFX90A:TG_SPLIT: 0
	.section	.text._ZN2at6native32elementwise_kernel_manual_unrollILi128ELi4EZNS0_15gpu_kernel_implINS0_13AUnaryFunctorIfffZZZNS0_20copysign_kernel_cudaERNS_18TensorIteratorBaseEENKUlvE_clEvENKUlvE0_clEvEUlffE_EEEEvS5_RKT_EUlibE_EEviT1_,"axG",@progbits,_ZN2at6native32elementwise_kernel_manual_unrollILi128ELi4EZNS0_15gpu_kernel_implINS0_13AUnaryFunctorIfffZZZNS0_20copysign_kernel_cudaERNS_18TensorIteratorBaseEENKUlvE_clEvENKUlvE0_clEvEUlffE_EEEEvS5_RKT_EUlibE_EEviT1_,comdat
	.globl	_ZN2at6native32elementwise_kernel_manual_unrollILi128ELi4EZNS0_15gpu_kernel_implINS0_13AUnaryFunctorIfffZZZNS0_20copysign_kernel_cudaERNS_18TensorIteratorBaseEENKUlvE_clEvENKUlvE0_clEvEUlffE_EEEEvS5_RKT_EUlibE_EEviT1_ ; -- Begin function _ZN2at6native32elementwise_kernel_manual_unrollILi128ELi4EZNS0_15gpu_kernel_implINS0_13AUnaryFunctorIfffZZZNS0_20copysign_kernel_cudaERNS_18TensorIteratorBaseEENKUlvE_clEvENKUlvE0_clEvEUlffE_EEEEvS5_RKT_EUlibE_EEviT1_
	.p2align	8
	.type	_ZN2at6native32elementwise_kernel_manual_unrollILi128ELi4EZNS0_15gpu_kernel_implINS0_13AUnaryFunctorIfffZZZNS0_20copysign_kernel_cudaERNS_18TensorIteratorBaseEENKUlvE_clEvENKUlvE0_clEvEUlffE_EEEEvS5_RKT_EUlibE_EEviT1_,@function
_ZN2at6native32elementwise_kernel_manual_unrollILi128ELi4EZNS0_15gpu_kernel_implINS0_13AUnaryFunctorIfffZZZNS0_20copysign_kernel_cudaERNS_18TensorIteratorBaseEENKUlvE_clEvENKUlvE0_clEvEUlffE_EEEEvS5_RKT_EUlibE_EEviT1_: ; @_ZN2at6native32elementwise_kernel_manual_unrollILi128ELi4EZNS0_15gpu_kernel_implINS0_13AUnaryFunctorIfffZZZNS0_20copysign_kernel_cudaERNS_18TensorIteratorBaseEENKUlvE_clEvENKUlvE0_clEvEUlffE_EEEEvS5_RKT_EUlibE_EEviT1_
; %bb.0:
	s_load_dwordx2 s[2:3], s[4:5], 0x24
	s_load_dwordx2 s[12:13], s[4:5], 0x18
	s_load_dword s56, s[4:5], 0x0
	s_load_dwordx4 s[8:11], s[4:5], 0x8
	v_lshl_or_b32 v4, s6, 9, v0
	v_or_b32_e32 v0, 0x180, v4
	s_waitcnt lgkmcnt(0)
	v_lshrrev_b16_e64 v5, 8, s3
	v_cmp_le_i32_e32 vcc, s56, v0
	s_mov_b64 s[4:5], 0
	s_mov_b64 s[14:15], 0
	s_and_saveexec_b64 s[0:1], vcc
	s_xor_b64 s[6:7], exec, s[0:1]
	s_cbranch_execz .LBB78_983
; %bb.1:
	s_and_b32 s33, s2, 0x7fffffff
	s_cmp_lt_u32 s33, 0x43800000
	v_mov_b32_e32 v0, 0x46000000
	s_cselect_b64 s[28:29], -1, 0
	s_cmp_gt_u32 s33, 0x3bffffff
	v_add_f32_e64 v0, |s2|, v0
	s_cselect_b64 s[26:27], -1, 0
	v_and_b32_e32 v7, 0xff, v0
	s_cmp_gt_u32 s33, 0x477fffff
	v_mov_b32_e32 v0, 0x42800000
	s_cselect_b64 s[14:15], -1, 0
	s_cmp_lt_u32 s33, 0x47800000
	v_add_f32_e64 v0, |s2|, v0
	s_cselect_b64 s[22:23], -1, 0
	s_cmp_gt_u32 s33, 0x37ffffff
	v_and_b32_e32 v6, 0xff, v0
	v_mov_b32_e32 v0, 0x46800000
	s_cselect_b64 s[20:21], -1, 0
	s_cmp_gt_u32 s33, 0x43efffff
	v_add_f32_e64 v0, |s2|, v0
	s_cselect_b64 s[16:17], -1, 0
	v_readfirstlane_b32 s62, v0
	s_cmp_gt_u32 s33, 0x7f800000
	s_movk_i32 s0, 0x7f
	v_mov_b32_e32 v0, 0x43000000
	s_cselect_b32 s63, s0, 0x7e
	v_add_f32_e64 v0, |s2|, v0
	s_movk_i32 s0, 0x7c
	v_cmp_ne_u32_e64 s[24:25], 0, v7
	v_cmp_ne_u32_e64 s[18:19], 0, v6
	v_readfirstlane_b32 s60, v0
	s_cselect_b32 s61, 0x7f, s0
	v_cmp_gt_i32_e32 vcc, s56, v4
	s_mov_b64 s[38:39], -1
	s_mov_b64 s[40:41], 0
	s_mov_b64 s[34:35], 0
	;; [unrolled: 1-line block ×3, first 2 shown]
	s_and_saveexec_b64 s[36:37], vcc
	s_cbranch_execz .LBB78_244
; %bb.2:
	v_mul_lo_u32 v0, v4, s13
	v_ashrrev_i32_e32 v1, 31, v0
	v_mov_b32_e32 v2, s11
	v_add_co_u32_e32 v0, vcc, s10, v0
	v_addc_co_u32_e32 v1, vcc, v2, v1, vcc
	v_cmp_gt_i16_e32 vcc, 11, v5
	s_cbranch_vccnz .LBB78_9
; %bb.3:
	v_cmp_lt_i16_e32 vcc, 25, v5
	s_cbranch_vccz .LBB78_18
; %bb.4:
	v_cmp_lt_i16_e32 vcc, 28, v5
	s_cbranch_vccz .LBB78_22
	;; [unrolled: 3-line block ×4, first 2 shown]
; %bb.7:
	v_cmp_eq_u16_e32 vcc, 46, v5
	s_cbranch_vccz .LBB78_28
; %bb.8:
	global_load_dword v2, v[0:1], off
	s_mov_b64 s[0:1], -1
	s_waitcnt vmcnt(0)
	v_lshlrev_b32_e32 v2, 16, v2
	s_branch .LBB78_30
.LBB78_9:
                                        ; implicit-def: $vgpr2
	s_mov_b64 s[0:1], 0
	s_cbranch_execnz .LBB78_116
.LBB78_10:
	s_andn2_b64 vcc, exec, s[0:1]
	s_cbranch_vccnz .LBB78_163
.LBB78_11:
	s_brev_b32 s0, -2
	v_mov_b32_e32 v0, s2
	s_waitcnt vmcnt(0)
	v_bfi_b32 v2, s0, v0, v2
	v_mul_lo_u32 v0, v4, s12
	v_ashrrev_i32_e32 v1, 31, v0
	v_mov_b32_e32 v3, s9
	v_add_co_u32_e32 v0, vcc, s8, v0
	v_addc_co_u32_e32 v1, vcc, v3, v1, vcc
	v_mov_b32_e32 v3, 11
	v_cmp_lt_i16_sdwa s[0:1], s3, v3 src0_sel:BYTE_0 src1_sel:DWORD
	s_and_b64 vcc, exec, s[0:1]
	s_cbranch_vccnz .LBB78_19
; %bb.12:
	v_mov_b32_e32 v3, 25
	v_cmp_gt_i16_sdwa s[0:1], s3, v3 src0_sel:BYTE_0 src1_sel:DWORD
	s_and_b64 vcc, exec, s[0:1]
	s_cbranch_vccz .LBB78_23
; %bb.13:
	v_mov_b32_e32 v3, 28
	v_cmp_gt_i16_sdwa s[0:1], s3, v3 src0_sel:BYTE_0 src1_sel:DWORD
	s_and_b64 vcc, exec, s[0:1]
	s_cbranch_vccz .LBB78_25
; %bb.14:
	v_mov_b32_e32 v3, 43
	v_cmp_gt_i16_sdwa s[0:1], s3, v3 src0_sel:BYTE_0 src1_sel:DWORD
	s_and_b64 vcc, exec, s[0:1]
	s_cbranch_vccz .LBB78_27
; %bb.15:
	v_mov_b32_e32 v3, 45
	v_cmp_gt_i16_sdwa s[0:1], s3, v3 src0_sel:BYTE_0 src1_sel:DWORD
	s_and_b64 vcc, exec, s[0:1]
	s_cbranch_vccz .LBB78_33
; %bb.16:
	v_mov_b32_e32 v3, 46
	v_cmp_eq_u16_sdwa s[30:31], s3, v3 src0_sel:BYTE_0 src1_sel:DWORD
	s_mov_b64 s[38:39], 0
	s_mov_b64 s[0:1], -1
	s_and_b64 vcc, exec, s[30:31]
	s_mov_b64 s[30:31], 0
	s_cbranch_vccz .LBB78_34
; %bb.17:
	v_bfe_u32 v3, v2, 16, 1
	s_movk_i32 s0, 0x7fff
	v_add3_u32 v3, v2, v3, s0
	v_lshrrev_b32_e32 v3, 16, v3
	v_mov_b32_e32 v8, 0x7fc0
	v_cmp_o_f32_e32 vcc, v2, v2
	v_cndmask_b32_e32 v3, v8, v3, vcc
	global_store_dword v[0:1], v3, off
	s_mov_b64 s[30:31], -1
	s_mov_b64 s[0:1], 0
	s_branch .LBB78_34
.LBB78_18:
	s_mov_b64 s[0:1], 0
                                        ; implicit-def: $vgpr2
	s_cbranch_execnz .LBB78_81
	s_branch .LBB78_115
.LBB78_19:
	s_mov_b64 s[0:1], 0
	s_mov_b64 s[30:31], 0
	s_cbranch_execnz .LBB78_204
.LBB78_20:
	s_andn2_b64 vcc, exec, s[30:31]
	s_cbranch_vccnz .LBB78_242
.LBB78_21:
	v_add_u32_e32 v4, 0x80, v4
	s_mov_b64 s[38:39], -1
	s_branch .LBB78_243
.LBB78_22:
	s_mov_b64 s[30:31], -1
	s_mov_b64 s[0:1], 0
                                        ; implicit-def: $vgpr2
	s_branch .LBB78_62
.LBB78_23:
	s_mov_b64 s[38:39], -1
	s_mov_b64 s[0:1], 0
	s_mov_b64 s[30:31], 0
	s_branch .LBB78_172
.LBB78_24:
	s_mov_b64 s[30:31], -1
	s_mov_b64 s[0:1], 0
                                        ; implicit-def: $vgpr2
	s_branch .LBB78_57
.LBB78_25:
	s_mov_b64 s[38:39], -1
	s_mov_b64 s[0:1], 0
	s_mov_b64 s[30:31], 0
	s_branch .LBB78_44
.LBB78_26:
	s_mov_b64 s[30:31], -1
	s_branch .LBB78_29
.LBB78_27:
	s_mov_b64 s[38:39], -1
	s_mov_b64 s[0:1], 0
	s_mov_b64 s[30:31], 0
	s_branch .LBB78_40
.LBB78_28:
	s_mov_b64 s[34:35], -1
.LBB78_29:
	s_mov_b64 s[0:1], 0
                                        ; implicit-def: $vgpr2
.LBB78_30:
	s_and_b64 vcc, exec, s[30:31]
	s_cbranch_vccz .LBB78_56
; %bb.31:
	v_cmp_eq_u16_e32 vcc, 44, v5
	s_cbranch_vccz .LBB78_55
; %bb.32:
	global_load_ubyte v2, v[0:1], off
	s_movk_i32 s30, 0xff
	v_mov_b32_e32 v3, 0x7f800001
	v_mov_b32_e32 v8, 0x400000
	s_mov_b64 s[0:1], -1
	s_mov_b64 s[34:35], 0
	s_waitcnt vmcnt(0)
	v_lshlrev_b32_e32 v9, 23, v2
	v_cmp_ne_u32_e32 vcc, s30, v2
	v_cndmask_b32_e32 v3, v3, v9, vcc
	v_cmp_ne_u32_e32 vcc, 0, v2
	v_cndmask_b32_e32 v2, v8, v3, vcc
	s_branch .LBB78_56
.LBB78_33:
	s_mov_b64 s[38:39], -1
	s_mov_b64 s[0:1], 0
	s_mov_b64 s[30:31], 0
.LBB78_34:
	s_and_b64 vcc, exec, s[38:39]
	s_cbranch_vccz .LBB78_39
; %bb.35:
	v_mov_b32_e32 v3, 44
	v_cmp_eq_u16_sdwa s[38:39], s3, v3 src0_sel:BYTE_0 src1_sel:DWORD
	s_mov_b64 s[0:1], -1
	s_and_b64 vcc, exec, s[38:39]
	s_cbranch_vccz .LBB78_39
; %bb.36:
	v_bfe_u32 v3, v2, 23, 8
	s_movk_i32 s0, 0xff
	v_cmp_ne_u32_e32 vcc, s0, v3
	v_mov_b32_e32 v8, 0xff
	s_and_saveexec_b64 s[30:31], vcc
; %bb.37:
	s_mov_b32 s0, 0x3fffff
	v_and_b32_e32 v9, 0x400000, v2
	v_and_or_b32 v3, v2, s0, v3
	v_cmp_ne_u32_e32 vcc, 0, v9
	v_cmp_ne_u32_e64 s[0:1], 0, v3
	s_and_b64 s[0:1], vcc, s[0:1]
	v_lshrrev_b32_e32 v8, 23, v2
	v_cndmask_b32_e64 v3, 0, 1, s[0:1]
	v_add_u32_e32 v8, v8, v3
; %bb.38:
	s_or_b64 exec, exec, s[30:31]
	s_mov_b64 s[30:31], -1
	s_mov_b64 s[0:1], 0
	global_store_byte v[0:1], v8, off
.LBB78_39:
	s_mov_b64 s[38:39], 0
.LBB78_40:
	s_and_b64 vcc, exec, s[38:39]
	s_cbranch_vccz .LBB78_43
; %bb.41:
	v_mov_b32_e32 v3, 29
	v_cmp_eq_u16_sdwa s[38:39], s3, v3 src0_sel:BYTE_0 src1_sel:DWORD
	s_mov_b64 s[0:1], -1
	s_and_b64 vcc, exec, s[38:39]
	s_cbranch_vccz .LBB78_43
; %bb.42:
	v_trunc_f32_e32 v3, v2
	v_mul_f32_e32 v8, 0x2f800000, v3
	v_floor_f32_e32 v8, v8
	v_fmac_f32_e32 v3, 0xcf800000, v8
	v_cvt_u32_f32_e32 v9, v8
	v_cvt_u32_f32_e32 v8, v3
	s_mov_b64 s[30:31], -1
	s_mov_b64 s[0:1], 0
	s_mov_b64 s[38:39], 0
	global_store_dwordx2 v[0:1], v[8:9], off
	s_branch .LBB78_44
.LBB78_43:
	s_mov_b64 s[38:39], 0
.LBB78_44:
	s_and_b64 vcc, exec, s[38:39]
	s_cbranch_vccz .LBB78_171
; %bb.45:
	v_mov_b32_e32 v3, 27
	v_cmp_lt_i16_sdwa s[38:39], s3, v3 src0_sel:BYTE_0 src1_sel:DWORD
	s_mov_b64 s[30:31], -1
	s_and_b64 vcc, exec, s[38:39]
	s_cbranch_vccnz .LBB78_51
; %bb.46:
	v_cmp_gt_i16_sdwa s[38:39], s3, v3 src0_sel:BYTE_0 src1_sel:DWORD
	v_cvt_u32_f32_e32 v3, v2
	s_and_b64 vcc, exec, s[38:39]
	s_cbranch_vccz .LBB78_48
; %bb.47:
	s_mov_b64 s[30:31], 0
	global_store_dword v[0:1], v3, off
.LBB78_48:
	s_andn2_b64 vcc, exec, s[30:31]
	s_cbranch_vccnz .LBB78_50
; %bb.49:
	global_store_short v[0:1], v3, off
.LBB78_50:
	s_mov_b64 s[30:31], 0
.LBB78_51:
	s_andn2_b64 vcc, exec, s[30:31]
	s_cbranch_vccnz .LBB78_170
; %bb.52:
	s_andn2_b64 vcc, exec, s[28:29]
	v_mov_b32_e32 v8, 0x80
	s_cbranch_vccnz .LBB78_169
; %bb.53:
	s_and_b64 vcc, exec, s[26:27]
	s_cbranch_vccz .LBB78_164
; %bb.54:
	v_bfe_u32 v3, v2, 20, 1
	s_mov_b32 s30, 0x487ffff
	v_add3_u32 v3, v2, v3, s30
	v_lshrrev_b32_e32 v3, 20, v3
	s_mov_b64 s[38:39], 0
	s_mov_b64 s[30:31], -1
	s_branch .LBB78_165
.LBB78_55:
	s_mov_b64 s[34:35], -1
                                        ; implicit-def: $vgpr2
.LBB78_56:
	s_mov_b64 s[30:31], 0
.LBB78_57:
	s_and_b64 vcc, exec, s[30:31]
	s_cbranch_vccz .LBB78_61
; %bb.58:
	v_cmp_eq_u16_e32 vcc, 29, v5
	s_cbranch_vccz .LBB78_60
; %bb.59:
	global_load_dwordx2 v[2:3], v[0:1], off
	s_mov_b64 s[0:1], -1
	s_mov_b64 s[34:35], 0
	s_mov_b64 s[30:31], 0
	s_waitcnt vmcnt(0)
	v_ffbh_u32_e32 v8, v3
	v_min_u32_e32 v8, 32, v8
	v_lshlrev_b64 v[2:3], v8, v[2:3]
	v_min_u32_e32 v2, 1, v2
	v_or_b32_e32 v2, v3, v2
	v_cvt_f32_u32_e32 v2, v2
	v_sub_u32_e32 v3, 32, v8
	v_ldexp_f32 v2, v2, v3
	s_branch .LBB78_62
.LBB78_60:
	s_mov_b64 s[34:35], -1
                                        ; implicit-def: $vgpr2
.LBB78_61:
	s_mov_b64 s[30:31], 0
.LBB78_62:
	s_and_b64 vcc, exec, s[30:31]
	s_cbranch_vccz .LBB78_80
; %bb.63:
	v_cmp_gt_i16_e32 vcc, 27, v5
	s_cbranch_vccnz .LBB78_66
; %bb.64:
	v_cmp_lt_i16_e32 vcc, 27, v5
	s_cbranch_vccz .LBB78_67
; %bb.65:
	global_load_dword v2, v[0:1], off
	s_mov_b64 s[0:1], 0
	s_waitcnt vmcnt(0)
	v_cvt_f32_u32_e32 v2, v2
	s_branch .LBB78_68
.LBB78_66:
	s_mov_b64 s[0:1], -1
                                        ; implicit-def: $vgpr2
	s_branch .LBB78_71
.LBB78_67:
	s_mov_b64 s[0:1], -1
                                        ; implicit-def: $vgpr2
.LBB78_68:
	s_andn2_b64 vcc, exec, s[0:1]
	s_cbranch_vccnz .LBB78_70
; %bb.69:
	global_load_ushort v2, v[0:1], off
	s_waitcnt vmcnt(0)
	v_cvt_f32_u32_e32 v2, v2
.LBB78_70:
	s_mov_b64 s[0:1], 0
.LBB78_71:
	s_andn2_b64 vcc, exec, s[0:1]
	s_cbranch_vccnz .LBB78_79
; %bb.72:
	global_load_ubyte v3, v[0:1], off
	s_movk_i32 s0, 0x7f
                                        ; implicit-def: $sgpr42
	s_waitcnt vmcnt(0)
	v_cmp_lt_i16_e32 vcc, s0, v3
	s_mov_b64 s[0:1], 0
	s_and_saveexec_b64 s[30:31], vcc
	s_xor_b64 s[30:31], exec, s[30:31]
	s_cbranch_execz .LBB78_92
; %bb.73:
	s_movk_i32 s0, 0x80
	v_cmp_eq_u16_e32 vcc, s0, v3
	s_mov_b64 s[0:1], -1
                                        ; implicit-def: $sgpr42
	s_and_saveexec_b64 s[38:39], vcc
; %bb.74:
	s_mov_b32 s42, 0x7f800001
	s_xor_b64 s[0:1], exec, -1
; %bb.75:
	s_or_b64 exec, exec, s[38:39]
	s_and_b64 s[0:1], s[0:1], exec
	s_or_saveexec_b64 s[30:31], s[30:31]
	v_mov_b32_e32 v2, s42
	s_xor_b64 exec, exec, s[30:31]
	s_cbranch_execnz .LBB78_93
.LBB78_76:
	s_or_b64 exec, exec, s[30:31]
	s_and_saveexec_b64 s[30:31], s[0:1]
	s_cbranch_execz .LBB78_78
.LBB78_77:
	v_lshlrev_b32_e32 v2, 24, v3
	v_and_b32_e32 v3, 0xffff, v3
	v_and_b32_e32 v8, 7, v3
	v_ffbh_u32_e32 v10, v8
	v_min_u32_e32 v10, 32, v10
	v_subrev_u32_e32 v11, 28, v10
	v_bfe_u32 v9, v3, 3, 4
	v_lshlrev_b32_e32 v3, v11, v3
	v_sub_u32_e32 v10, 29, v10
	v_and_b32_e32 v3, 7, v3
	v_cmp_eq_u32_e32 vcc, 0, v9
	v_cndmask_b32_e32 v9, v9, v10, vcc
	v_cndmask_b32_e32 v3, v8, v3, vcc
	v_mov_b32_e32 v8, 0x3b800000
	v_lshlrev_b32_e32 v3, 20, v3
	v_and_b32_e32 v2, 0x80000000, v2
	v_lshl_add_u32 v8, v9, 23, v8
	v_or3_b32 v2, v2, v8, v3
.LBB78_78:
	s_or_b64 exec, exec, s[30:31]
.LBB78_79:
	s_mov_b64 s[0:1], -1
.LBB78_80:
	s_branch .LBB78_115
.LBB78_81:
	v_cmp_lt_i16_e32 vcc, 22, v5
	s_cbranch_vccz .LBB78_91
; %bb.82:
	v_cmp_gt_i16_e32 vcc, 24, v5
	s_cbranch_vccnz .LBB78_94
; %bb.83:
	v_cmp_lt_i16_e32 vcc, 24, v5
	s_cbranch_vccz .LBB78_95
; %bb.84:
	global_load_ubyte v3, v[0:1], off
	s_movk_i32 s0, 0x7f
                                        ; implicit-def: $sgpr42
	s_waitcnt vmcnt(0)
	v_cmp_lt_i16_e32 vcc, s0, v3
	s_mov_b64 s[0:1], 0
	s_and_saveexec_b64 s[30:31], vcc
	s_xor_b64 s[30:31], exec, s[30:31]
	s_cbranch_execz .LBB78_107
; %bb.85:
	s_movk_i32 s0, 0x80
	v_cmp_eq_u16_e32 vcc, s0, v3
	s_mov_b64 s[0:1], -1
                                        ; implicit-def: $sgpr42
	s_and_saveexec_b64 s[38:39], vcc
; %bb.86:
	s_mov_b32 s42, 0x7f800001
	s_xor_b64 s[0:1], exec, -1
; %bb.87:
	s_or_b64 exec, exec, s[38:39]
	s_and_b64 s[0:1], s[0:1], exec
	s_or_saveexec_b64 s[30:31], s[30:31]
	v_mov_b32_e32 v2, s42
	s_xor_b64 exec, exec, s[30:31]
	s_cbranch_execnz .LBB78_108
.LBB78_88:
	s_or_b64 exec, exec, s[30:31]
	s_and_saveexec_b64 s[30:31], s[0:1]
	s_cbranch_execz .LBB78_90
.LBB78_89:
	v_lshlrev_b32_e32 v2, 24, v3
	v_and_b32_e32 v3, 0xffff, v3
	v_and_b32_e32 v8, 3, v3
	v_ffbh_u32_e32 v10, v8
	v_min_u32_e32 v10, 32, v10
	v_subrev_u32_e32 v11, 29, v10
	v_bfe_u32 v9, v3, 2, 5
	v_lshlrev_b32_e32 v3, v11, v3
	v_sub_u32_e32 v10, 30, v10
	v_and_b32_e32 v3, 3, v3
	v_cmp_eq_u32_e32 vcc, 0, v9
	v_cndmask_b32_e32 v9, v9, v10, vcc
	v_cndmask_b32_e32 v3, v8, v3, vcc
	v_mov_b32_e32 v8, 0x37800000
	v_lshlrev_b32_e32 v3, 21, v3
	v_and_b32_e32 v2, 0x80000000, v2
	v_lshl_add_u32 v8, v9, 23, v8
	v_or3_b32 v2, v2, v8, v3
.LBB78_90:
	s_or_b64 exec, exec, s[30:31]
	s_mov_b64 s[0:1], 0
	s_branch .LBB78_96
.LBB78_91:
	s_mov_b64 s[30:31], -1
                                        ; implicit-def: $vgpr2
	s_branch .LBB78_102
.LBB78_92:
	s_or_saveexec_b64 s[30:31], s[30:31]
	v_mov_b32_e32 v2, s42
	s_xor_b64 exec, exec, s[30:31]
	s_cbranch_execz .LBB78_76
.LBB78_93:
	v_cmp_ne_u16_e32 vcc, 0, v3
	s_andn2_b64 s[0:1], s[0:1], exec
	s_and_b64 s[38:39], vcc, exec
	v_mov_b32_e32 v2, 0
	s_or_b64 s[0:1], s[0:1], s[38:39]
	s_or_b64 exec, exec, s[30:31]
	s_and_saveexec_b64 s[30:31], s[0:1]
	s_cbranch_execnz .LBB78_77
	s_branch .LBB78_78
.LBB78_94:
	s_mov_b64 s[0:1], -1
                                        ; implicit-def: $vgpr2
	s_branch .LBB78_99
.LBB78_95:
	s_mov_b64 s[0:1], -1
                                        ; implicit-def: $vgpr2
.LBB78_96:
	s_and_b64 vcc, exec, s[0:1]
	s_cbranch_vccz .LBB78_98
; %bb.97:
	global_load_ubyte v2, v[0:1], off
	s_mov_b32 s0, 0x7f800000
	s_waitcnt vmcnt(0)
	v_lshlrev_b32_e32 v2, 24, v2
	v_and_b32_e32 v3, 0x7f000000, v2
	v_ffbh_u32_e32 v8, v3
	v_min_u32_e32 v8, 32, v8
	v_sub_u32_e64 v8, v8, 4 clamp
	v_lshlrev_b32_e32 v10, v8, v3
	v_lshlrev_b32_e32 v8, 23, v8
	v_lshrrev_b32_e32 v10, 4, v10
	v_add_u32_e32 v9, 0x1000000, v3
	v_sub_u32_e32 v8, v10, v8
	v_ashrrev_i32_e32 v9, 8, v9
	v_add_u32_e32 v8, 0x3c000000, v8
	v_and_or_b32 v8, v9, s0, v8
	v_cmp_ne_u32_e32 vcc, 0, v3
	v_cndmask_b32_e32 v3, 0, v8, vcc
	s_brev_b32 s0, 1
	v_and_or_b32 v2, v2, s0, v3
.LBB78_98:
	s_mov_b64 s[0:1], 0
.LBB78_99:
	s_andn2_b64 vcc, exec, s[0:1]
	s_cbranch_vccnz .LBB78_101
; %bb.100:
	global_load_ubyte v2, v[0:1], off
	s_movk_i32 s0, 0x7f00
	s_brev_b32 s1, 16
	s_waitcnt vmcnt(0)
	v_lshlrev_b16_e32 v3, 8, v2
	v_lshlrev_b32_e32 v2, 25, v2
	v_lshrrev_b32_e32 v8, 4, v2
	v_and_or_b32 v9, v3, s0, 0.5
	v_or_b32_e32 v8, 0x70000000, v8
	v_add_f32_e32 v9, -0.5, v9
	v_mul_f32_e32 v8, 0x7800000, v8
	v_cmp_gt_u32_e32 vcc, s1, v2
	v_bfe_i32 v3, v3, 0, 16
	v_cndmask_b32_e32 v2, v8, v9, vcc
	s_brev_b32 s0, 1
	v_and_or_b32 v2, v3, s0, v2
.LBB78_101:
	s_mov_b64 s[30:31], 0
	s_mov_b64 s[0:1], -1
.LBB78_102:
	s_andn2_b64 vcc, exec, s[30:31]
	s_cbranch_vccnz .LBB78_115
; %bb.103:
	v_cmp_lt_i16_e32 vcc, 14, v5
	s_cbranch_vccz .LBB78_106
; %bb.104:
	v_cmp_eq_u16_e32 vcc, 15, v5
	s_cbranch_vccz .LBB78_109
; %bb.105:
	global_load_ushort v2, v[0:1], off
	s_mov_b64 s[0:1], -1
	s_mov_b64 s[34:35], 0
	s_waitcnt vmcnt(0)
	v_lshlrev_b32_e32 v2, 16, v2
	s_branch .LBB78_110
.LBB78_106:
	s_mov_b64 s[30:31], -1
                                        ; implicit-def: $vgpr2
	s_branch .LBB78_111
.LBB78_107:
	s_or_saveexec_b64 s[30:31], s[30:31]
	v_mov_b32_e32 v2, s42
	s_xor_b64 exec, exec, s[30:31]
	s_cbranch_execz .LBB78_88
.LBB78_108:
	v_cmp_ne_u16_e32 vcc, 0, v3
	s_andn2_b64 s[0:1], s[0:1], exec
	s_and_b64 s[38:39], vcc, exec
	v_mov_b32_e32 v2, 0
	s_or_b64 s[0:1], s[0:1], s[38:39]
	s_or_b64 exec, exec, s[30:31]
	s_and_saveexec_b64 s[30:31], s[0:1]
	s_cbranch_execnz .LBB78_89
	s_branch .LBB78_90
.LBB78_109:
	s_mov_b64 s[34:35], -1
                                        ; implicit-def: $vgpr2
.LBB78_110:
	s_mov_b64 s[30:31], 0
.LBB78_111:
	s_and_b64 vcc, exec, s[30:31]
	s_cbranch_vccz .LBB78_115
; %bb.112:
	v_cmp_eq_u16_e32 vcc, 11, v5
	s_cbranch_vccz .LBB78_114
; %bb.113:
	global_load_ubyte v2, v[0:1], off
	s_mov_b64 s[0:1], -1
	s_mov_b64 s[34:35], 0
	s_waitcnt vmcnt(0)
	v_cmp_ne_u16_e32 vcc, 0, v2
	v_cndmask_b32_e64 v2, 0, 1.0, vcc
	s_branch .LBB78_115
.LBB78_114:
	s_mov_b64 s[34:35], -1
                                        ; implicit-def: $vgpr2
.LBB78_115:
	s_branch .LBB78_10
.LBB78_116:
	v_cmp_gt_i16_e32 vcc, 5, v5
	s_cbranch_vccnz .LBB78_121
; %bb.117:
	v_cmp_gt_i16_e32 vcc, 8, v5
	s_cbranch_vccnz .LBB78_122
; %bb.118:
	;; [unrolled: 3-line block ×3, first 2 shown]
	v_cmp_lt_i16_e32 vcc, 9, v5
	s_cbranch_vccz .LBB78_124
; %bb.120:
	global_load_dwordx2 v[2:3], v[0:1], off
	s_mov_b64 s[0:1], 0
	s_waitcnt vmcnt(0)
	v_cvt_f32_f64_e32 v2, v[2:3]
	s_branch .LBB78_125
.LBB78_121:
                                        ; implicit-def: $vgpr2
	s_branch .LBB78_143
.LBB78_122:
	s_mov_b64 s[0:1], -1
                                        ; implicit-def: $vgpr2
	s_branch .LBB78_131
.LBB78_123:
	s_mov_b64 s[0:1], -1
                                        ; implicit-def: $vgpr2
	s_branch .LBB78_128
.LBB78_124:
	s_mov_b64 s[0:1], -1
                                        ; implicit-def: $vgpr2
.LBB78_125:
	s_andn2_b64 vcc, exec, s[0:1]
	s_cbranch_vccnz .LBB78_127
; %bb.126:
	global_load_dword v2, v[0:1], off
.LBB78_127:
	s_mov_b64 s[0:1], 0
.LBB78_128:
	s_andn2_b64 vcc, exec, s[0:1]
	s_cbranch_vccnz .LBB78_130
; %bb.129:
	global_load_dword v2, v[0:1], off
	s_waitcnt vmcnt(0)
	v_cvt_f32_f16_e32 v2, v2
.LBB78_130:
	s_mov_b64 s[0:1], 0
.LBB78_131:
	s_andn2_b64 vcc, exec, s[0:1]
	s_cbranch_vccnz .LBB78_142
; %bb.132:
	v_cmp_gt_i16_e32 vcc, 6, v5
	s_cbranch_vccnz .LBB78_135
; %bb.133:
	v_cmp_lt_i16_e32 vcc, 6, v5
	s_cbranch_vccz .LBB78_136
; %bb.134:
	global_load_dwordx2 v[2:3], v[0:1], off
	s_mov_b64 s[0:1], 0
	s_waitcnt vmcnt(0)
	v_cvt_f32_f64_e32 v2, v[2:3]
	s_branch .LBB78_137
.LBB78_135:
	s_mov_b64 s[0:1], -1
                                        ; implicit-def: $vgpr2
	s_branch .LBB78_140
.LBB78_136:
	s_mov_b64 s[0:1], -1
                                        ; implicit-def: $vgpr2
.LBB78_137:
	s_andn2_b64 vcc, exec, s[0:1]
	s_cbranch_vccnz .LBB78_139
; %bb.138:
	global_load_dword v2, v[0:1], off
.LBB78_139:
	s_mov_b64 s[0:1], 0
.LBB78_140:
	s_andn2_b64 vcc, exec, s[0:1]
	s_cbranch_vccnz .LBB78_142
; %bb.141:
	global_load_ushort v2, v[0:1], off
	s_waitcnt vmcnt(0)
	v_cvt_f32_f16_e32 v2, v2
.LBB78_142:
	s_cbranch_execnz .LBB78_162
.LBB78_143:
	v_cmp_gt_i16_e32 vcc, 2, v5
	s_cbranch_vccnz .LBB78_147
; %bb.144:
	v_cmp_gt_i16_e32 vcc, 3, v5
	s_cbranch_vccnz .LBB78_148
; %bb.145:
	v_cmp_lt_i16_e32 vcc, 3, v5
	s_cbranch_vccz .LBB78_149
; %bb.146:
	global_load_dwordx2 v[2:3], v[0:1], off
	s_mov_b64 s[0:1], 0
	s_waitcnt vmcnt(0)
	v_xor_b32_e32 v9, v2, v3
	v_ffbh_i32_e32 v8, v3
	v_ashrrev_i32_e32 v9, 31, v9
	v_add_u32_e32 v8, -1, v8
	v_add_u32_e32 v9, 32, v9
	v_min_u32_e32 v8, v8, v9
	v_lshlrev_b64 v[2:3], v8, v[2:3]
	v_min_u32_e32 v2, 1, v2
	v_or_b32_e32 v2, v3, v2
	v_cvt_f32_i32_e32 v2, v2
	v_sub_u32_e32 v3, 32, v8
	v_ldexp_f32 v2, v2, v3
	s_branch .LBB78_150
.LBB78_147:
	s_mov_b64 s[0:1], -1
                                        ; implicit-def: $vgpr2
	s_branch .LBB78_156
.LBB78_148:
	s_mov_b64 s[0:1], -1
                                        ; implicit-def: $vgpr2
	s_branch .LBB78_153
.LBB78_149:
	s_mov_b64 s[0:1], -1
                                        ; implicit-def: $vgpr2
.LBB78_150:
	s_andn2_b64 vcc, exec, s[0:1]
	s_cbranch_vccnz .LBB78_152
; %bb.151:
	global_load_dword v2, v[0:1], off
	s_waitcnt vmcnt(0)
	v_cvt_f32_i32_e32 v2, v2
.LBB78_152:
	s_mov_b64 s[0:1], 0
.LBB78_153:
	s_andn2_b64 vcc, exec, s[0:1]
	s_cbranch_vccnz .LBB78_155
; %bb.154:
	global_load_sshort v2, v[0:1], off
	s_waitcnt vmcnt(0)
	v_cvt_f32_i32_e32 v2, v2
.LBB78_155:
	s_mov_b64 s[0:1], 0
.LBB78_156:
	s_andn2_b64 vcc, exec, s[0:1]
	s_cbranch_vccnz .LBB78_162
; %bb.157:
	v_cmp_lt_i16_e32 vcc, 0, v5
	s_cbranch_vccz .LBB78_159
; %bb.158:
	global_load_sbyte v2, v[0:1], off
	s_mov_b64 s[0:1], 0
	s_waitcnt vmcnt(0)
	v_cvt_f32_i32_e32 v2, v2
	s_branch .LBB78_160
.LBB78_159:
	s_mov_b64 s[0:1], -1
                                        ; implicit-def: $vgpr2
.LBB78_160:
	s_andn2_b64 vcc, exec, s[0:1]
	s_cbranch_vccnz .LBB78_162
; %bb.161:
	global_load_ubyte v0, v[0:1], off
	s_waitcnt vmcnt(0)
	v_cvt_f32_ubyte0_e32 v2, v0
.LBB78_162:
	s_branch .LBB78_11
.LBB78_163:
	s_mov_b64 s[0:1], 0
                                        ; implicit-def: $vgpr4
	s_mov_b64 s[38:39], 0
	s_branch .LBB78_243
.LBB78_164:
	s_mov_b64 s[38:39], -1
	s_mov_b64 s[30:31], 0
                                        ; implicit-def: $vgpr3
.LBB78_165:
	s_andn2_b64 vcc, exec, s[38:39]
                                        ; implicit-def: $sgpr38
	s_cbranch_vccnz .LBB78_167
; %bb.166:
	s_mov_b32 s38, 0
	v_mov_b32_e32 v3, v7
	s_mov_b64 s[30:31], s[24:25]
.LBB78_167:
	s_andn2_b64 vcc, exec, s[30:31]
	v_mov_b32_e32 v8, s38
	s_cbranch_vccnz .LBB78_169
; %bb.168:
	v_lshrrev_b32_e32 v8, 24, v2
	s_movk_i32 s30, 0x80
	v_and_or_b32 v8, v8, s30, v3
.LBB78_169:
	global_store_byte v[0:1], v8, off
.LBB78_170:
	s_mov_b64 s[30:31], -1
.LBB78_171:
	s_mov_b64 s[38:39], 0
.LBB78_172:
	s_and_b64 vcc, exec, s[38:39]
	s_cbranch_vccz .LBB78_203
; %bb.173:
	v_mov_b32_e32 v3, 22
	v_cmp_gt_i16_sdwa s[42:43], s3, v3 src0_sel:BYTE_0 src1_sel:DWORD
	s_mov_b64 s[38:39], -1
	s_and_b64 vcc, exec, s[42:43]
	s_cbranch_vccz .LBB78_195
; %bb.174:
	v_mov_b32_e32 v3, 24
	v_cmp_lt_i16_sdwa s[38:39], s3, v3 src0_sel:BYTE_0 src1_sel:DWORD
	s_mov_b64 s[30:31], -1
	s_and_b64 vcc, exec, s[38:39]
	s_cbranch_vccnz .LBB78_190
; %bb.175:
	v_cmp_gt_i16_sdwa s[38:39], s3, v3 src0_sel:BYTE_0 src1_sel:DWORD
	s_and_b64 vcc, exec, s[38:39]
	s_cbranch_vccz .LBB78_185
; %bb.176:
	s_andn2_b64 vcc, exec, s[22:23]
	v_mov_b32_e32 v8, 0x80
	s_cbranch_vccnz .LBB78_184
; %bb.177:
	s_and_b64 vcc, exec, s[20:21]
	s_cbranch_vccz .LBB78_179
; %bb.178:
	v_bfe_u32 v3, v2, 21, 1
	s_mov_b32 s30, 0x88fffff
	v_add3_u32 v3, v2, v3, s30
	v_lshrrev_b32_e32 v3, 21, v3
	s_mov_b64 s[38:39], 0
	s_mov_b64 s[30:31], -1
	s_branch .LBB78_180
.LBB78_179:
	s_mov_b64 s[38:39], -1
	s_mov_b64 s[30:31], 0
                                        ; implicit-def: $vgpr3
.LBB78_180:
	s_andn2_b64 vcc, exec, s[38:39]
                                        ; implicit-def: $sgpr38
	s_cbranch_vccnz .LBB78_182
; %bb.181:
	s_mov_b32 s38, 0
	v_mov_b32_e32 v3, v6
	s_mov_b64 s[30:31], s[18:19]
.LBB78_182:
	s_andn2_b64 vcc, exec, s[30:31]
	v_mov_b32_e32 v8, s38
	s_cbranch_vccnz .LBB78_184
; %bb.183:
	v_lshrrev_b32_e32 v8, 24, v2
	s_movk_i32 s30, 0x80
	v_and_or_b32 v8, v8, s30, v3
.LBB78_184:
	s_mov_b64 s[30:31], 0
	global_store_byte v[0:1], v8, off
.LBB78_185:
	s_and_b64 vcc, exec, s[30:31]
	s_cbranch_vccz .LBB78_189
; %bb.186:
	s_add_i32 s38, s33, 0xbc100000
	s_and_b64 s[30:31], s[16:17], exec
	s_cselect_b32 s30, s63, s62
	s_cmp_lt_u32 s38, 0xf8900000
	v_mov_b32_e32 v3, s30
	s_cbranch_scc1 .LBB78_188
; %bb.187:
	v_bfe_u32 v3, v2, 20, 1
	s_mov_b32 s30, 0x407ffff
	v_add3_u32 v3, v2, v3, s30
	v_lshrrev_b32_e32 v8, 20, v3
	v_and_b32_e32 v3, 0xff00000, v3
	s_mov_b32 s30, 0x7f00000
	v_mov_b32_e32 v9, 0x7e
	v_cmp_ne_u32_e32 vcc, s30, v3
	v_cndmask_b32_e32 v3, v9, v8, vcc
.LBB78_188:
	v_lshrrev_b32_e32 v8, 24, v2
	s_movk_i32 s30, 0x80
	v_and_or_b32 v3, v8, s30, v3
	global_store_byte v[0:1], v3, off
.LBB78_189:
	s_mov_b64 s[30:31], 0
.LBB78_190:
	s_andn2_b64 vcc, exec, s[30:31]
	s_cbranch_vccnz .LBB78_194
; %bb.191:
	s_add_i32 s38, s33, 0xb8800000
	s_and_b64 s[30:31], s[14:15], exec
	s_cselect_b32 s30, s61, s60
	s_cmp_lt_u32 s38, 0xf1000000
	v_mov_b32_e32 v3, s30
	s_cbranch_scc1 .LBB78_193
; %bb.192:
	v_bfe_u32 v3, v2, 21, 1
	s_mov_b32 s30, 0x80fffff
	v_add3_u32 v3, v2, v3, s30
	v_lshrrev_b32_e32 v3, 21, v3
.LBB78_193:
	v_lshrrev_b32_e32 v8, 24, v2
	s_movk_i32 s30, 0x80
	v_and_or_b32 v3, v8, s30, v3
	global_store_byte v[0:1], v3, off
.LBB78_194:
	s_mov_b64 s[38:39], 0
	s_mov_b64 s[30:31], -1
.LBB78_195:
	s_andn2_b64 vcc, exec, s[38:39]
	s_cbranch_vccnz .LBB78_203
; %bb.196:
	v_mov_b32_e32 v3, 14
	v_cmp_gt_i16_sdwa s[42:43], s3, v3 src0_sel:BYTE_0 src1_sel:DWORD
	s_mov_b64 s[38:39], -1
	s_and_b64 vcc, exec, s[42:43]
	s_cbranch_vccz .LBB78_200
; %bb.197:
	v_mov_b32_e32 v3, 15
	v_cmp_eq_u16_sdwa s[38:39], s3, v3 src0_sel:BYTE_0 src1_sel:DWORD
	s_mov_b64 s[0:1], -1
	s_and_b64 vcc, exec, s[38:39]
	s_cbranch_vccz .LBB78_199
; %bb.198:
	v_bfe_u32 v3, v2, 16, 1
	s_movk_i32 s0, 0x7fff
	v_add3_u32 v3, v2, v3, s0
	v_lshrrev_b32_e32 v3, 16, v3
	v_mov_b32_e32 v8, 0x7fc0
	v_cmp_o_f32_e32 vcc, v2, v2
	v_cndmask_b32_e32 v3, v8, v3, vcc
	global_store_short v[0:1], v3, off
	s_mov_b64 s[30:31], -1
	s_mov_b64 s[0:1], 0
.LBB78_199:
	s_mov_b64 s[38:39], 0
.LBB78_200:
	s_and_b64 vcc, exec, s[38:39]
	s_cbranch_vccz .LBB78_203
; %bb.201:
	v_mov_b32_e32 v3, 11
	v_cmp_eq_u16_sdwa s[38:39], s3, v3 src0_sel:BYTE_0 src1_sel:DWORD
	s_mov_b64 s[0:1], -1
	s_and_b64 vcc, exec, s[38:39]
	s_cbranch_vccz .LBB78_203
; %bb.202:
	v_cmp_neq_f32_e32 vcc, 0, v2
	v_cndmask_b32_e64 v3, 0, 1, vcc
	s_mov_b64 s[30:31], -1
	s_mov_b64 s[0:1], 0
	global_store_byte v[0:1], v3, off
.LBB78_203:
	s_branch .LBB78_20
.LBB78_204:
	v_mov_b32_e32 v3, 5
	v_cmp_lt_i16_sdwa s[38:39], s3, v3 src0_sel:BYTE_0 src1_sel:DWORD
	s_mov_b64 s[30:31], -1
	s_and_b64 vcc, exec, s[38:39]
	s_cbranch_vccnz .LBB78_225
; %bb.205:
	v_mov_b32_e32 v3, 8
	v_cmp_lt_i16_sdwa s[38:39], s3, v3 src0_sel:BYTE_0 src1_sel:DWORD
	s_and_b64 vcc, exec, s[38:39]
	s_cbranch_vccnz .LBB78_215
; %bb.206:
	v_mov_b32_e32 v3, 9
	v_cmp_lt_i16_sdwa s[38:39], s3, v3 src0_sel:BYTE_0 src1_sel:DWORD
	s_and_b64 vcc, exec, s[38:39]
	s_cbranch_vccnz .LBB78_212
; %bb.207:
	v_cmp_gt_i16_sdwa s[38:39], s3, v3 src0_sel:BYTE_0 src1_sel:DWORD
	s_and_b64 vcc, exec, s[38:39]
	s_cbranch_vccz .LBB78_209
; %bb.208:
	v_mov_b32_e32 v10, 0
	v_cvt_f64_f32_e32 v[8:9], v2
	v_mov_b32_e32 v11, v10
	global_store_dwordx4 v[0:1], v[8:11], off
	s_mov_b64 s[30:31], 0
.LBB78_209:
	s_andn2_b64 vcc, exec, s[30:31]
	s_cbranch_vccnz .LBB78_211
; %bb.210:
	v_mov_b32_e32 v3, 0
	global_store_dwordx2 v[0:1], v[2:3], off
.LBB78_211:
	s_mov_b64 s[30:31], 0
.LBB78_212:
	s_andn2_b64 vcc, exec, s[30:31]
	s_cbranch_vccnz .LBB78_214
; %bb.213:
	v_cvt_f16_f32_e32 v3, v2
	global_store_dword v[0:1], v3, off
.LBB78_214:
	s_mov_b64 s[30:31], 0
.LBB78_215:
	s_andn2_b64 vcc, exec, s[30:31]
	s_cbranch_vccnz .LBB78_224
; %bb.216:
	v_mov_b32_e32 v3, 6
	v_cmp_lt_i16_sdwa s[38:39], s3, v3 src0_sel:BYTE_0 src1_sel:DWORD
	s_mov_b64 s[30:31], -1
	s_and_b64 vcc, exec, s[38:39]
	s_cbranch_vccnz .LBB78_222
; %bb.217:
	v_cmp_gt_i16_sdwa s[38:39], s3, v3 src0_sel:BYTE_0 src1_sel:DWORD
	s_and_b64 vcc, exec, s[38:39]
	s_cbranch_vccz .LBB78_219
; %bb.218:
	v_cvt_f64_f32_e32 v[8:9], v2
	global_store_dwordx2 v[0:1], v[8:9], off
	s_mov_b64 s[30:31], 0
.LBB78_219:
	s_andn2_b64 vcc, exec, s[30:31]
	s_cbranch_vccnz .LBB78_221
; %bb.220:
	global_store_dword v[0:1], v2, off
.LBB78_221:
	s_mov_b64 s[30:31], 0
.LBB78_222:
	s_andn2_b64 vcc, exec, s[30:31]
	s_cbranch_vccnz .LBB78_224
; %bb.223:
	v_cvt_f16_f32_e32 v3, v2
	global_store_short v[0:1], v3, off
.LBB78_224:
	s_mov_b64 s[30:31], 0
.LBB78_225:
	s_andn2_b64 vcc, exec, s[30:31]
	s_cbranch_vccnz .LBB78_241
; %bb.226:
	v_mov_b32_e32 v3, 2
	v_cmp_lt_i16_sdwa s[38:39], s3, v3 src0_sel:BYTE_0 src1_sel:DWORD
	s_mov_b64 s[30:31], -1
	s_and_b64 vcc, exec, s[38:39]
	s_cbranch_vccnz .LBB78_236
; %bb.227:
	v_mov_b32_e32 v3, 3
	v_cmp_lt_i16_sdwa s[38:39], s3, v3 src0_sel:BYTE_0 src1_sel:DWORD
	s_and_b64 vcc, exec, s[38:39]
	s_cbranch_vccnz .LBB78_233
; %bb.228:
	v_cmp_gt_i16_sdwa s[38:39], s3, v3 src0_sel:BYTE_0 src1_sel:DWORD
	s_and_b64 vcc, exec, s[38:39]
	s_cbranch_vccz .LBB78_230
; %bb.229:
	v_trunc_f32_e32 v3, v2
	s_mov_b32 s30, 0x2f800000
	v_mul_f32_e64 v8, |v3|, s30
	v_floor_f32_e32 v8, v8
	s_mov_b32 s30, 0xcf800000
	v_cvt_u32_f32_e32 v9, v8
	v_fma_f32 v8, v8, s30, |v3|
	v_cvt_u32_f32_e32 v8, v8
	v_ashrrev_i32_e32 v3, 31, v3
	v_xor_b32_e32 v9, v9, v3
	s_mov_b64 s[30:31], 0
	v_xor_b32_e32 v8, v8, v3
	v_sub_co_u32_e32 v8, vcc, v8, v3
	v_subb_co_u32_e32 v9, vcc, v9, v3, vcc
	global_store_dwordx2 v[0:1], v[8:9], off
.LBB78_230:
	s_andn2_b64 vcc, exec, s[30:31]
	s_cbranch_vccnz .LBB78_232
; %bb.231:
	v_cvt_i32_f32_e32 v3, v2
	global_store_dword v[0:1], v3, off
.LBB78_232:
	s_mov_b64 s[30:31], 0
.LBB78_233:
	s_andn2_b64 vcc, exec, s[30:31]
	s_cbranch_vccnz .LBB78_235
; %bb.234:
	v_cvt_i32_f32_e32 v3, v2
	global_store_short v[0:1], v3, off
.LBB78_235:
	s_mov_b64 s[30:31], 0
.LBB78_236:
	s_andn2_b64 vcc, exec, s[30:31]
	s_cbranch_vccnz .LBB78_241
; %bb.237:
	v_mov_b32_e32 v3, 0
	v_cmp_gt_i16_sdwa s[38:39], s3, v3 src0_sel:BYTE_0 src1_sel:DWORD
	s_mov_b64 s[30:31], -1
	s_and_b64 vcc, exec, s[38:39]
	s_cbranch_vccz .LBB78_239
; %bb.238:
	v_cvt_i32_f32_e32 v3, v2
	s_mov_b64 s[30:31], 0
	global_store_byte v[0:1], v3, off
.LBB78_239:
	s_andn2_b64 vcc, exec, s[30:31]
	s_cbranch_vccnz .LBB78_241
; %bb.240:
	v_trunc_f32_e32 v2, v2
	s_mov_b32 s30, 0x2f800000
	v_mul_f32_e64 v3, |v2|, s30
	v_floor_f32_e32 v3, v3
	s_mov_b32 s30, 0xcf800000
	v_fma_f32 v3, v3, s30, |v2|
	v_cvt_u32_f32_e32 v3, v3
	v_ashrrev_i32_e32 v2, 31, v2
	v_xor_b32_e32 v3, v3, v2
	v_sub_u32_e32 v2, v3, v2
	global_store_byte v[0:1], v2, off
.LBB78_241:
	s_branch .LBB78_21
.LBB78_242:
	s_mov_b64 s[38:39], 0
                                        ; implicit-def: $vgpr4
.LBB78_243:
	s_and_b64 s[30:31], s[0:1], exec
	s_and_b64 s[34:35], s[34:35], exec
	s_orn2_b64 s[38:39], s[38:39], exec
.LBB78_244:
	s_or_b64 exec, exec, s[36:37]
	s_mov_b64 s[42:43], 0
	s_mov_b64 s[0:1], 0
                                        ; implicit-def: $vgpr0_vgpr1
                                        ; implicit-def: $vgpr3
	s_and_saveexec_b64 s[36:37], s[38:39]
	s_cbranch_execz .LBB78_253
; %bb.245:
	v_cmp_gt_i32_e32 vcc, s56, v4
	s_mov_b64 s[0:1], -1
	s_mov_b64 s[38:39], s[34:35]
	s_mov_b64 s[40:41], s[30:31]
	s_and_saveexec_b64 s[42:43], vcc
	s_cbranch_execz .LBB78_493
; %bb.246:
	v_mul_lo_u32 v0, v4, s13
	v_ashrrev_i32_e32 v1, 31, v0
	s_waitcnt vmcnt(0)
	v_mov_b32_e32 v2, s11
	v_add_co_u32_e32 v0, vcc, s10, v0
	v_addc_co_u32_e32 v1, vcc, v2, v1, vcc
	v_cmp_gt_i16_e32 vcc, 11, v5
	s_cbranch_vccnz .LBB78_256
; %bb.247:
	v_cmp_lt_i16_e32 vcc, 25, v5
	s_cbranch_vccz .LBB78_265
; %bb.248:
	v_cmp_lt_i16_e32 vcc, 28, v5
	s_cbranch_vccz .LBB78_267
	;; [unrolled: 3-line block ×4, first 2 shown]
; %bb.251:
	v_cmp_eq_u16_e32 vcc, 46, v5
	s_mov_b64 s[40:41], 0
	s_cbranch_vccz .LBB78_273
; %bb.252:
	global_load_dword v2, v[0:1], off
	s_mov_b64 s[38:39], 0
	s_waitcnt vmcnt(0)
	v_lshlrev_b32_e32 v2, 16, v2
	s_branch .LBB78_274
.LBB78_253:
	s_or_b64 exec, exec, s[36:37]
	s_mov_b64 s[36:37], 0
	s_and_saveexec_b64 s[38:39], s[34:35]
	s_cbranch_execnz .LBB78_823
.LBB78_254:
	s_or_b64 exec, exec, s[38:39]
	s_and_saveexec_b64 s[34:35], s[40:41]
	s_xor_b64 s[34:35], exec, s[34:35]
	s_cbranch_execz .LBB78_824
.LBB78_255:
	global_load_ubyte v2, v[0:1], off
	s_or_b64 s[0:1], s[0:1], exec
	s_waitcnt vmcnt(0)
	v_cmp_ne_u16_e32 vcc, 0, v2
	v_cndmask_b32_e64 v3, 0, 1.0, vcc
	s_or_b64 exec, exec, s[34:35]
	s_and_saveexec_b64 s[34:35], s[42:43]
	s_cbranch_execz .LBB78_870
	s_branch .LBB78_825
.LBB78_256:
	s_mov_b64 s[0:1], 0
                                        ; implicit-def: $vgpr2
	s_mov_b64 s[38:39], s[34:35]
	s_cbranch_execnz .LBB78_361
.LBB78_257:
	s_andn2_b64 vcc, exec, s[0:1]
	s_cbranch_vccnz .LBB78_409
.LBB78_258:
	s_brev_b32 s0, -2
	v_mov_b32_e32 v0, s2
	s_waitcnt vmcnt(0)
	v_bfi_b32 v2, s0, v0, v2
	v_mul_lo_u32 v0, v4, s12
	v_ashrrev_i32_e32 v1, 31, v0
	v_mov_b32_e32 v3, s9
	v_add_co_u32_e32 v0, vcc, s8, v0
	v_addc_co_u32_e32 v1, vcc, v3, v1, vcc
	v_mov_b32_e32 v3, 11
	v_cmp_lt_i16_sdwa s[0:1], s3, v3 src0_sel:BYTE_0 src1_sel:DWORD
	s_and_b64 vcc, exec, s[0:1]
	s_cbranch_vccnz .LBB78_266
; %bb.259:
	v_mov_b32_e32 v3, 25
	v_cmp_gt_i16_sdwa s[0:1], s3, v3 src0_sel:BYTE_0 src1_sel:DWORD
	s_and_b64 vcc, exec, s[0:1]
	s_cbranch_vccz .LBB78_268
; %bb.260:
	v_mov_b32_e32 v3, 28
	v_cmp_gt_i16_sdwa s[0:1], s3, v3 src0_sel:BYTE_0 src1_sel:DWORD
	s_and_b64 vcc, exec, s[0:1]
	s_cbranch_vccz .LBB78_270
	;; [unrolled: 5-line block ×4, first 2 shown]
; %bb.263:
	v_mov_b32_e32 v3, 46
	v_cmp_eq_u16_sdwa s[40:41], s3, v3 src0_sel:BYTE_0 src1_sel:DWORD
	s_mov_b64 s[44:45], 0
	s_mov_b64 s[0:1], -1
	s_and_b64 vcc, exec, s[40:41]
	s_mov_b64 s[40:41], 0
	s_cbranch_vccz .LBB78_278
; %bb.264:
	v_bfe_u32 v3, v2, 16, 1
	s_movk_i32 s0, 0x7fff
	v_add3_u32 v3, v2, v3, s0
	v_lshrrev_b32_e32 v3, 16, v3
	v_mov_b32_e32 v8, 0x7fc0
	v_cmp_o_f32_e32 vcc, v2, v2
	v_cndmask_b32_e32 v3, v8, v3, vcc
	global_store_dword v[0:1], v3, off
	s_mov_b64 s[40:41], -1
	s_mov_b64 s[0:1], 0
	s_branch .LBB78_278
.LBB78_265:
	s_mov_b64 s[40:41], -1
	s_mov_b64 s[0:1], 0
	s_mov_b64 s[38:39], s[34:35]
                                        ; implicit-def: $vgpr2
	s_branch .LBB78_325
.LBB78_266:
	s_mov_b64 s[44:45], -1
	s_mov_b64 s[40:41], 0
	s_mov_b64 s[0:1], s[30:31]
	s_branch .LBB78_450
.LBB78_267:
	s_mov_b64 s[40:41], -1
	s_mov_b64 s[0:1], 0
	s_mov_b64 s[38:39], s[34:35]
                                        ; implicit-def: $vgpr2
	s_branch .LBB78_306
.LBB78_268:
	s_mov_b64 s[44:45], -1
	s_mov_b64 s[40:41], 0
	s_mov_b64 s[0:1], s[30:31]
	s_branch .LBB78_418
.LBB78_269:
	s_mov_b64 s[40:41], -1
	s_mov_b64 s[0:1], 0
	s_mov_b64 s[38:39], s[34:35]
                                        ; implicit-def: $vgpr2
	s_branch .LBB78_301
.LBB78_270:
	s_mov_b64 s[44:45], -1
	s_mov_b64 s[40:41], 0
	s_mov_b64 s[0:1], s[30:31]
	s_branch .LBB78_288
.LBB78_271:
	s_mov_b64 s[40:41], -1
	s_mov_b64 s[0:1], 0
	s_mov_b64 s[38:39], s[34:35]
                                        ; implicit-def: $vgpr2
	s_branch .LBB78_274
.LBB78_272:
	s_mov_b64 s[44:45], -1
	s_mov_b64 s[40:41], 0
	s_mov_b64 s[0:1], s[30:31]
	s_branch .LBB78_284
.LBB78_273:
	s_mov_b64 s[38:39], -1
                                        ; implicit-def: $vgpr2
	s_mov_b64 s[0:1], 0
.LBB78_274:
	s_and_b64 vcc, exec, s[40:41]
	s_cbranch_vccz .LBB78_300
; %bb.275:
	v_cmp_eq_u16_e32 vcc, 44, v5
	s_cbranch_vccz .LBB78_299
; %bb.276:
	global_load_ubyte v2, v[0:1], off
	s_movk_i32 s38, 0xff
	v_mov_b32_e32 v3, 0x7f800001
	v_mov_b32_e32 v8, 0x400000
	s_mov_b64 s[0:1], -1
	s_waitcnt vmcnt(0)
	v_lshlrev_b32_e32 v9, 23, v2
	v_cmp_ne_u32_e32 vcc, s38, v2
	v_cndmask_b32_e32 v3, v3, v9, vcc
	v_cmp_ne_u32_e32 vcc, 0, v2
	v_cndmask_b32_e32 v2, v8, v3, vcc
	s_mov_b64 s[38:39], 0
	s_branch .LBB78_300
.LBB78_277:
	s_mov_b64 s[44:45], -1
	s_mov_b64 s[40:41], 0
	s_mov_b64 s[0:1], s[30:31]
.LBB78_278:
	s_and_b64 vcc, exec, s[44:45]
	s_cbranch_vccz .LBB78_283
; %bb.279:
	v_mov_b32_e32 v3, 44
	v_cmp_eq_u16_sdwa s[44:45], s3, v3 src0_sel:BYTE_0 src1_sel:DWORD
	s_mov_b64 s[0:1], -1
	s_and_b64 vcc, exec, s[44:45]
	s_cbranch_vccz .LBB78_283
; %bb.280:
	v_bfe_u32 v3, v2, 23, 8
	s_movk_i32 s0, 0xff
	v_cmp_ne_u32_e32 vcc, s0, v3
	v_mov_b32_e32 v8, 0xff
	s_and_saveexec_b64 s[40:41], vcc
; %bb.281:
	s_mov_b32 s0, 0x3fffff
	v_and_b32_e32 v9, 0x400000, v2
	v_and_or_b32 v3, v2, s0, v3
	v_cmp_ne_u32_e32 vcc, 0, v9
	v_cmp_ne_u32_e64 s[0:1], 0, v3
	s_and_b64 s[0:1], vcc, s[0:1]
	v_lshrrev_b32_e32 v8, 23, v2
	v_cndmask_b32_e64 v3, 0, 1, s[0:1]
	v_add_u32_e32 v8, v8, v3
; %bb.282:
	s_or_b64 exec, exec, s[40:41]
	s_mov_b64 s[40:41], -1
	s_mov_b64 s[0:1], 0
	global_store_byte v[0:1], v8, off
.LBB78_283:
	s_mov_b64 s[44:45], 0
.LBB78_284:
	s_and_b64 vcc, exec, s[44:45]
	s_cbranch_vccz .LBB78_287
; %bb.285:
	v_mov_b32_e32 v3, 29
	v_cmp_eq_u16_sdwa s[44:45], s3, v3 src0_sel:BYTE_0 src1_sel:DWORD
	s_mov_b64 s[0:1], -1
	s_and_b64 vcc, exec, s[44:45]
	s_cbranch_vccz .LBB78_287
; %bb.286:
	v_trunc_f32_e32 v3, v2
	v_mul_f32_e32 v8, 0x2f800000, v3
	v_floor_f32_e32 v8, v8
	v_fmac_f32_e32 v3, 0xcf800000, v8
	v_cvt_u32_f32_e32 v9, v8
	v_cvt_u32_f32_e32 v8, v3
	s_mov_b64 s[40:41], -1
	s_mov_b64 s[0:1], 0
	s_mov_b64 s[44:45], 0
	global_store_dwordx2 v[0:1], v[8:9], off
	s_branch .LBB78_288
.LBB78_287:
	s_mov_b64 s[44:45], 0
.LBB78_288:
	s_and_b64 vcc, exec, s[44:45]
	s_cbranch_vccz .LBB78_417
; %bb.289:
	v_mov_b32_e32 v3, 27
	v_cmp_lt_i16_sdwa s[44:45], s3, v3 src0_sel:BYTE_0 src1_sel:DWORD
	s_mov_b64 s[40:41], -1
	s_and_b64 vcc, exec, s[44:45]
	s_cbranch_vccnz .LBB78_295
; %bb.290:
	v_cmp_gt_i16_sdwa s[44:45], s3, v3 src0_sel:BYTE_0 src1_sel:DWORD
	v_cvt_u32_f32_e32 v3, v2
	s_and_b64 vcc, exec, s[44:45]
	s_cbranch_vccz .LBB78_292
; %bb.291:
	s_mov_b64 s[40:41], 0
	global_store_dword v[0:1], v3, off
.LBB78_292:
	s_andn2_b64 vcc, exec, s[40:41]
	s_cbranch_vccnz .LBB78_294
; %bb.293:
	global_store_short v[0:1], v3, off
.LBB78_294:
	s_mov_b64 s[40:41], 0
.LBB78_295:
	s_andn2_b64 vcc, exec, s[40:41]
	s_cbranch_vccnz .LBB78_416
; %bb.296:
	s_andn2_b64 vcc, exec, s[28:29]
	v_mov_b32_e32 v8, 0x80
	s_cbranch_vccnz .LBB78_415
; %bb.297:
	s_andn2_b64 vcc, exec, s[26:27]
	s_cbranch_vccnz .LBB78_410
; %bb.298:
	v_bfe_u32 v3, v2, 20, 1
	s_mov_b32 s40, 0x487ffff
	v_add3_u32 v3, v2, v3, s40
	v_lshrrev_b32_e32 v3, 20, v3
	s_mov_b64 s[44:45], 0
	s_mov_b64 s[40:41], -1
	s_branch .LBB78_411
.LBB78_299:
	s_mov_b64 s[38:39], -1
                                        ; implicit-def: $vgpr2
.LBB78_300:
	s_mov_b64 s[40:41], 0
.LBB78_301:
	s_and_b64 vcc, exec, s[40:41]
	s_cbranch_vccz .LBB78_305
; %bb.302:
	v_cmp_eq_u16_e32 vcc, 29, v5
	s_cbranch_vccz .LBB78_304
; %bb.303:
	global_load_dwordx2 v[2:3], v[0:1], off
	s_mov_b64 s[0:1], -1
	s_mov_b64 s[38:39], 0
	s_mov_b64 s[40:41], 0
	s_waitcnt vmcnt(0)
	v_ffbh_u32_e32 v8, v3
	v_min_u32_e32 v8, 32, v8
	v_lshlrev_b64 v[2:3], v8, v[2:3]
	v_min_u32_e32 v2, 1, v2
	v_or_b32_e32 v2, v3, v2
	v_cvt_f32_u32_e32 v2, v2
	v_sub_u32_e32 v3, 32, v8
	v_ldexp_f32 v2, v2, v3
	s_branch .LBB78_306
.LBB78_304:
	s_mov_b64 s[38:39], -1
                                        ; implicit-def: $vgpr2
.LBB78_305:
	s_mov_b64 s[40:41], 0
.LBB78_306:
	s_and_b64 vcc, exec, s[40:41]
	s_cbranch_vccz .LBB78_324
; %bb.307:
	v_cmp_gt_i16_e32 vcc, 27, v5
	s_cbranch_vccnz .LBB78_310
; %bb.308:
	v_cmp_lt_i16_e32 vcc, 27, v5
	s_cbranch_vccz .LBB78_311
; %bb.309:
	global_load_dword v2, v[0:1], off
	s_mov_b64 s[0:1], 0
	s_waitcnt vmcnt(0)
	v_cvt_f32_u32_e32 v2, v2
	s_branch .LBB78_312
.LBB78_310:
	s_mov_b64 s[0:1], -1
                                        ; implicit-def: $vgpr2
	s_branch .LBB78_315
.LBB78_311:
	s_mov_b64 s[0:1], -1
                                        ; implicit-def: $vgpr2
.LBB78_312:
	s_andn2_b64 vcc, exec, s[0:1]
	s_cbranch_vccnz .LBB78_314
; %bb.313:
	global_load_ushort v2, v[0:1], off
	s_waitcnt vmcnt(0)
	v_cvt_f32_u32_e32 v2, v2
.LBB78_314:
	s_mov_b64 s[0:1], 0
.LBB78_315:
	s_andn2_b64 vcc, exec, s[0:1]
	s_cbranch_vccnz .LBB78_323
; %bb.316:
	global_load_ubyte v3, v[0:1], off
	s_movk_i32 s0, 0x7f
                                        ; implicit-def: $sgpr46
	s_waitcnt vmcnt(0)
	v_cmp_lt_i16_e32 vcc, s0, v3
	s_mov_b64 s[0:1], 0
	s_and_saveexec_b64 s[40:41], vcc
	s_xor_b64 s[40:41], exec, s[40:41]
	s_cbranch_execz .LBB78_337
; %bb.317:
	s_movk_i32 s0, 0x80
	v_cmp_eq_u16_e32 vcc, s0, v3
	s_mov_b64 s[0:1], -1
                                        ; implicit-def: $sgpr46
	s_and_saveexec_b64 s[44:45], vcc
; %bb.318:
	s_mov_b32 s46, 0x7f800001
	s_xor_b64 s[0:1], exec, -1
; %bb.319:
	s_or_b64 exec, exec, s[44:45]
	s_and_b64 s[0:1], s[0:1], exec
	s_or_saveexec_b64 s[40:41], s[40:41]
	v_mov_b32_e32 v2, s46
	s_xor_b64 exec, exec, s[40:41]
	s_cbranch_execnz .LBB78_338
.LBB78_320:
	s_or_b64 exec, exec, s[40:41]
	s_and_saveexec_b64 s[40:41], s[0:1]
	s_cbranch_execz .LBB78_322
.LBB78_321:
	v_lshlrev_b32_e32 v2, 24, v3
	v_and_b32_e32 v3, 0xffff, v3
	v_and_b32_e32 v8, 7, v3
	v_ffbh_u32_e32 v10, v8
	v_min_u32_e32 v10, 32, v10
	v_subrev_u32_e32 v11, 28, v10
	v_bfe_u32 v9, v3, 3, 4
	v_lshlrev_b32_e32 v3, v11, v3
	v_sub_u32_e32 v10, 29, v10
	v_and_b32_e32 v3, 7, v3
	v_cmp_eq_u32_e32 vcc, 0, v9
	v_cndmask_b32_e32 v9, v9, v10, vcc
	v_cndmask_b32_e32 v3, v8, v3, vcc
	v_mov_b32_e32 v8, 0x3b800000
	v_lshlrev_b32_e32 v3, 20, v3
	v_and_b32_e32 v2, 0x80000000, v2
	v_lshl_add_u32 v8, v9, 23, v8
	v_or3_b32 v2, v2, v8, v3
.LBB78_322:
	s_or_b64 exec, exec, s[40:41]
.LBB78_323:
	s_mov_b64 s[0:1], -1
.LBB78_324:
	s_mov_b64 s[40:41], 0
.LBB78_325:
	s_and_b64 vcc, exec, s[40:41]
	s_cbranch_vccz .LBB78_360
; %bb.326:
	v_cmp_lt_i16_e32 vcc, 22, v5
	s_cbranch_vccz .LBB78_336
; %bb.327:
	v_cmp_gt_i16_e32 vcc, 24, v5
	s_cbranch_vccnz .LBB78_339
; %bb.328:
	v_cmp_lt_i16_e32 vcc, 24, v5
	s_cbranch_vccz .LBB78_340
; %bb.329:
	global_load_ubyte v3, v[0:1], off
	s_movk_i32 s0, 0x7f
                                        ; implicit-def: $sgpr46
	s_waitcnt vmcnt(0)
	v_cmp_lt_i16_e32 vcc, s0, v3
	s_mov_b64 s[0:1], 0
	s_and_saveexec_b64 s[40:41], vcc
	s_xor_b64 s[40:41], exec, s[40:41]
	s_cbranch_execz .LBB78_352
; %bb.330:
	s_movk_i32 s0, 0x80
	v_cmp_eq_u16_e32 vcc, s0, v3
	s_mov_b64 s[0:1], -1
                                        ; implicit-def: $sgpr46
	s_and_saveexec_b64 s[44:45], vcc
; %bb.331:
	s_mov_b32 s46, 0x7f800001
	s_xor_b64 s[0:1], exec, -1
; %bb.332:
	s_or_b64 exec, exec, s[44:45]
	s_and_b64 s[0:1], s[0:1], exec
	s_or_saveexec_b64 s[40:41], s[40:41]
	v_mov_b32_e32 v2, s46
	s_xor_b64 exec, exec, s[40:41]
	s_cbranch_execnz .LBB78_353
.LBB78_333:
	s_or_b64 exec, exec, s[40:41]
	s_and_saveexec_b64 s[40:41], s[0:1]
	s_cbranch_execz .LBB78_335
.LBB78_334:
	v_lshlrev_b32_e32 v2, 24, v3
	v_and_b32_e32 v3, 0xffff, v3
	v_and_b32_e32 v8, 3, v3
	v_ffbh_u32_e32 v10, v8
	v_min_u32_e32 v10, 32, v10
	v_subrev_u32_e32 v11, 29, v10
	v_bfe_u32 v9, v3, 2, 5
	v_lshlrev_b32_e32 v3, v11, v3
	v_sub_u32_e32 v10, 30, v10
	v_and_b32_e32 v3, 3, v3
	v_cmp_eq_u32_e32 vcc, 0, v9
	v_cndmask_b32_e32 v9, v9, v10, vcc
	v_cndmask_b32_e32 v3, v8, v3, vcc
	v_mov_b32_e32 v8, 0x37800000
	v_lshlrev_b32_e32 v3, 21, v3
	v_and_b32_e32 v2, 0x80000000, v2
	v_lshl_add_u32 v8, v9, 23, v8
	v_or3_b32 v2, v2, v8, v3
.LBB78_335:
	s_or_b64 exec, exec, s[40:41]
	s_mov_b64 s[0:1], 0
	s_branch .LBB78_341
.LBB78_336:
	s_mov_b64 s[40:41], -1
                                        ; implicit-def: $vgpr2
	s_branch .LBB78_347
.LBB78_337:
	s_or_saveexec_b64 s[40:41], s[40:41]
	v_mov_b32_e32 v2, s46
	s_xor_b64 exec, exec, s[40:41]
	s_cbranch_execz .LBB78_320
.LBB78_338:
	v_cmp_ne_u16_e32 vcc, 0, v3
	s_andn2_b64 s[0:1], s[0:1], exec
	s_and_b64 s[44:45], vcc, exec
	v_mov_b32_e32 v2, 0
	s_or_b64 s[0:1], s[0:1], s[44:45]
	s_or_b64 exec, exec, s[40:41]
	s_and_saveexec_b64 s[40:41], s[0:1]
	s_cbranch_execnz .LBB78_321
	s_branch .LBB78_322
.LBB78_339:
	s_mov_b64 s[0:1], -1
                                        ; implicit-def: $vgpr2
	s_branch .LBB78_344
.LBB78_340:
	s_mov_b64 s[0:1], -1
                                        ; implicit-def: $vgpr2
.LBB78_341:
	s_and_b64 vcc, exec, s[0:1]
	s_cbranch_vccz .LBB78_343
; %bb.342:
	global_load_ubyte v2, v[0:1], off
	s_mov_b32 s0, 0x7f800000
	s_waitcnt vmcnt(0)
	v_lshlrev_b32_e32 v2, 24, v2
	v_and_b32_e32 v3, 0x7f000000, v2
	v_ffbh_u32_e32 v8, v3
	v_min_u32_e32 v8, 32, v8
	v_sub_u32_e64 v8, v8, 4 clamp
	v_lshlrev_b32_e32 v10, v8, v3
	v_lshlrev_b32_e32 v8, 23, v8
	v_lshrrev_b32_e32 v10, 4, v10
	v_add_u32_e32 v9, 0x1000000, v3
	v_sub_u32_e32 v8, v10, v8
	v_ashrrev_i32_e32 v9, 8, v9
	v_add_u32_e32 v8, 0x3c000000, v8
	v_and_or_b32 v8, v9, s0, v8
	v_cmp_ne_u32_e32 vcc, 0, v3
	v_cndmask_b32_e32 v3, 0, v8, vcc
	s_brev_b32 s0, 1
	v_and_or_b32 v2, v2, s0, v3
.LBB78_343:
	s_mov_b64 s[0:1], 0
.LBB78_344:
	s_andn2_b64 vcc, exec, s[0:1]
	s_cbranch_vccnz .LBB78_346
; %bb.345:
	global_load_ubyte v2, v[0:1], off
	s_movk_i32 s0, 0x7f00
	s_brev_b32 s1, 16
	s_waitcnt vmcnt(0)
	v_lshlrev_b16_e32 v3, 8, v2
	v_lshlrev_b32_e32 v2, 25, v2
	v_lshrrev_b32_e32 v8, 4, v2
	v_and_or_b32 v9, v3, s0, 0.5
	v_or_b32_e32 v8, 0x70000000, v8
	v_add_f32_e32 v9, -0.5, v9
	v_mul_f32_e32 v8, 0x7800000, v8
	v_cmp_gt_u32_e32 vcc, s1, v2
	v_bfe_i32 v3, v3, 0, 16
	v_cndmask_b32_e32 v2, v8, v9, vcc
	s_brev_b32 s0, 1
	v_and_or_b32 v2, v3, s0, v2
.LBB78_346:
	s_mov_b64 s[40:41], 0
	s_mov_b64 s[0:1], -1
.LBB78_347:
	s_andn2_b64 vcc, exec, s[40:41]
	s_cbranch_vccnz .LBB78_360
; %bb.348:
	v_cmp_lt_i16_e32 vcc, 14, v5
	s_cbranch_vccz .LBB78_351
; %bb.349:
	v_cmp_eq_u16_e32 vcc, 15, v5
	s_cbranch_vccz .LBB78_354
; %bb.350:
	global_load_ushort v2, v[0:1], off
	s_mov_b64 s[0:1], -1
	s_mov_b64 s[38:39], 0
	s_waitcnt vmcnt(0)
	v_lshlrev_b32_e32 v2, 16, v2
	s_branch .LBB78_355
.LBB78_351:
	s_mov_b64 s[40:41], -1
                                        ; implicit-def: $vgpr2
	s_branch .LBB78_356
.LBB78_352:
	s_or_saveexec_b64 s[40:41], s[40:41]
	v_mov_b32_e32 v2, s46
	s_xor_b64 exec, exec, s[40:41]
	s_cbranch_execz .LBB78_333
.LBB78_353:
	v_cmp_ne_u16_e32 vcc, 0, v3
	s_andn2_b64 s[0:1], s[0:1], exec
	s_and_b64 s[44:45], vcc, exec
	v_mov_b32_e32 v2, 0
	s_or_b64 s[0:1], s[0:1], s[44:45]
	s_or_b64 exec, exec, s[40:41]
	s_and_saveexec_b64 s[40:41], s[0:1]
	s_cbranch_execnz .LBB78_334
	s_branch .LBB78_335
.LBB78_354:
	s_mov_b64 s[38:39], -1
                                        ; implicit-def: $vgpr2
.LBB78_355:
	s_mov_b64 s[40:41], 0
.LBB78_356:
	s_and_b64 vcc, exec, s[40:41]
	s_cbranch_vccz .LBB78_360
; %bb.357:
	v_cmp_eq_u16_e32 vcc, 11, v5
	s_cbranch_vccz .LBB78_359
; %bb.358:
	global_load_ubyte v2, v[0:1], off
	s_mov_b64 s[0:1], -1
	s_mov_b64 s[38:39], 0
	s_waitcnt vmcnt(0)
	v_cmp_ne_u16_e32 vcc, 0, v2
	v_cndmask_b32_e64 v2, 0, 1.0, vcc
	s_branch .LBB78_360
.LBB78_359:
	s_mov_b64 s[38:39], -1
                                        ; implicit-def: $vgpr2
.LBB78_360:
	s_branch .LBB78_257
.LBB78_361:
	v_cmp_gt_i16_e32 vcc, 5, v5
	s_cbranch_vccnz .LBB78_366
; %bb.362:
	v_cmp_gt_i16_e32 vcc, 8, v5
	s_cbranch_vccnz .LBB78_367
; %bb.363:
	;; [unrolled: 3-line block ×3, first 2 shown]
	v_cmp_lt_i16_e32 vcc, 9, v5
	s_cbranch_vccz .LBB78_369
; %bb.365:
	global_load_dwordx2 v[2:3], v[0:1], off
	s_mov_b64 s[0:1], 0
	s_waitcnt vmcnt(0)
	v_cvt_f32_f64_e32 v2, v[2:3]
	s_branch .LBB78_370
.LBB78_366:
	s_mov_b64 s[0:1], -1
                                        ; implicit-def: $vgpr2
	s_branch .LBB78_388
.LBB78_367:
	s_mov_b64 s[0:1], -1
                                        ; implicit-def: $vgpr2
	s_branch .LBB78_376
.LBB78_368:
	s_mov_b64 s[0:1], -1
                                        ; implicit-def: $vgpr2
	s_branch .LBB78_373
.LBB78_369:
	s_mov_b64 s[0:1], -1
                                        ; implicit-def: $vgpr2
.LBB78_370:
	s_andn2_b64 vcc, exec, s[0:1]
	s_cbranch_vccnz .LBB78_372
; %bb.371:
	global_load_dword v2, v[0:1], off
.LBB78_372:
	s_mov_b64 s[0:1], 0
.LBB78_373:
	s_andn2_b64 vcc, exec, s[0:1]
	s_cbranch_vccnz .LBB78_375
; %bb.374:
	global_load_dword v2, v[0:1], off
	s_waitcnt vmcnt(0)
	v_cvt_f32_f16_e32 v2, v2
.LBB78_375:
	s_mov_b64 s[0:1], 0
.LBB78_376:
	s_andn2_b64 vcc, exec, s[0:1]
	s_cbranch_vccnz .LBB78_387
; %bb.377:
	v_cmp_gt_i16_e32 vcc, 6, v5
	s_cbranch_vccnz .LBB78_380
; %bb.378:
	v_cmp_lt_i16_e32 vcc, 6, v5
	s_cbranch_vccz .LBB78_381
; %bb.379:
	global_load_dwordx2 v[2:3], v[0:1], off
	s_mov_b64 s[0:1], 0
	s_waitcnt vmcnt(0)
	v_cvt_f32_f64_e32 v2, v[2:3]
	s_branch .LBB78_382
.LBB78_380:
	s_mov_b64 s[0:1], -1
                                        ; implicit-def: $vgpr2
	s_branch .LBB78_385
.LBB78_381:
	s_mov_b64 s[0:1], -1
                                        ; implicit-def: $vgpr2
.LBB78_382:
	s_andn2_b64 vcc, exec, s[0:1]
	s_cbranch_vccnz .LBB78_384
; %bb.383:
	global_load_dword v2, v[0:1], off
.LBB78_384:
	s_mov_b64 s[0:1], 0
.LBB78_385:
	s_andn2_b64 vcc, exec, s[0:1]
	s_cbranch_vccnz .LBB78_387
; %bb.386:
	global_load_ushort v2, v[0:1], off
	s_waitcnt vmcnt(0)
	v_cvt_f32_f16_e32 v2, v2
.LBB78_387:
	s_mov_b64 s[0:1], 0
.LBB78_388:
	s_andn2_b64 vcc, exec, s[0:1]
	s_cbranch_vccnz .LBB78_408
; %bb.389:
	v_cmp_gt_i16_e32 vcc, 2, v5
	s_cbranch_vccnz .LBB78_393
; %bb.390:
	v_cmp_gt_i16_e32 vcc, 3, v5
	s_cbranch_vccnz .LBB78_394
; %bb.391:
	v_cmp_lt_i16_e32 vcc, 3, v5
	s_cbranch_vccz .LBB78_395
; %bb.392:
	global_load_dwordx2 v[2:3], v[0:1], off
	s_mov_b64 s[0:1], 0
	s_waitcnt vmcnt(0)
	v_xor_b32_e32 v9, v2, v3
	v_ffbh_i32_e32 v8, v3
	v_ashrrev_i32_e32 v9, 31, v9
	v_add_u32_e32 v8, -1, v8
	v_add_u32_e32 v9, 32, v9
	v_min_u32_e32 v8, v8, v9
	v_lshlrev_b64 v[2:3], v8, v[2:3]
	v_min_u32_e32 v2, 1, v2
	v_or_b32_e32 v2, v3, v2
	v_cvt_f32_i32_e32 v2, v2
	v_sub_u32_e32 v3, 32, v8
	v_ldexp_f32 v2, v2, v3
	s_branch .LBB78_396
.LBB78_393:
	s_mov_b64 s[0:1], -1
                                        ; implicit-def: $vgpr2
	s_branch .LBB78_402
.LBB78_394:
	s_mov_b64 s[0:1], -1
                                        ; implicit-def: $vgpr2
	s_branch .LBB78_399
.LBB78_395:
	s_mov_b64 s[0:1], -1
                                        ; implicit-def: $vgpr2
.LBB78_396:
	s_andn2_b64 vcc, exec, s[0:1]
	s_cbranch_vccnz .LBB78_398
; %bb.397:
	global_load_dword v2, v[0:1], off
	s_waitcnt vmcnt(0)
	v_cvt_f32_i32_e32 v2, v2
.LBB78_398:
	s_mov_b64 s[0:1], 0
.LBB78_399:
	s_andn2_b64 vcc, exec, s[0:1]
	s_cbranch_vccnz .LBB78_401
; %bb.400:
	global_load_sshort v2, v[0:1], off
	s_waitcnt vmcnt(0)
	v_cvt_f32_i32_e32 v2, v2
.LBB78_401:
	s_mov_b64 s[0:1], 0
.LBB78_402:
	s_andn2_b64 vcc, exec, s[0:1]
	s_cbranch_vccnz .LBB78_408
; %bb.403:
	v_cmp_lt_i16_e32 vcc, 0, v5
	s_cbranch_vccz .LBB78_405
; %bb.404:
	global_load_sbyte v2, v[0:1], off
	s_mov_b64 s[0:1], 0
	s_waitcnt vmcnt(0)
	v_cvt_f32_i32_e32 v2, v2
	s_branch .LBB78_406
.LBB78_405:
	s_mov_b64 s[0:1], -1
                                        ; implicit-def: $vgpr2
.LBB78_406:
	s_andn2_b64 vcc, exec, s[0:1]
	s_cbranch_vccnz .LBB78_408
; %bb.407:
	global_load_ubyte v0, v[0:1], off
	s_waitcnt vmcnt(0)
	v_cvt_f32_ubyte0_e32 v2, v0
.LBB78_408:
	s_branch .LBB78_258
.LBB78_409:
	s_mov_b64 s[44:45], 0
                                        ; implicit-def: $vgpr4
	s_mov_b64 s[0:1], s[30:31]
	s_branch .LBB78_492
.LBB78_410:
	s_mov_b64 s[44:45], -1
	s_mov_b64 s[40:41], 0
                                        ; implicit-def: $vgpr3
.LBB78_411:
	s_andn2_b64 vcc, exec, s[44:45]
                                        ; implicit-def: $sgpr44
	s_cbranch_vccnz .LBB78_413
; %bb.412:
	s_mov_b32 s44, 0
	v_mov_b32_e32 v3, v7
	s_mov_b64 s[40:41], s[24:25]
.LBB78_413:
	s_andn2_b64 vcc, exec, s[40:41]
	v_mov_b32_e32 v8, s44
	s_cbranch_vccnz .LBB78_415
; %bb.414:
	v_lshrrev_b32_e32 v8, 24, v2
	s_movk_i32 s40, 0x80
	v_and_or_b32 v8, v8, s40, v3
.LBB78_415:
	global_store_byte v[0:1], v8, off
.LBB78_416:
	s_mov_b64 s[40:41], -1
.LBB78_417:
	s_mov_b64 s[44:45], 0
.LBB78_418:
	s_and_b64 vcc, exec, s[44:45]
	s_cbranch_vccz .LBB78_449
; %bb.419:
	v_mov_b32_e32 v3, 22
	v_cmp_gt_i16_sdwa s[46:47], s3, v3 src0_sel:BYTE_0 src1_sel:DWORD
	s_mov_b64 s[44:45], -1
	s_and_b64 vcc, exec, s[46:47]
	s_cbranch_vccz .LBB78_441
; %bb.420:
	v_mov_b32_e32 v3, 24
	v_cmp_lt_i16_sdwa s[44:45], s3, v3 src0_sel:BYTE_0 src1_sel:DWORD
	s_mov_b64 s[40:41], -1
	s_and_b64 vcc, exec, s[44:45]
	s_cbranch_vccnz .LBB78_436
; %bb.421:
	v_cmp_gt_i16_sdwa s[44:45], s3, v3 src0_sel:BYTE_0 src1_sel:DWORD
	s_and_b64 vcc, exec, s[44:45]
	s_cbranch_vccz .LBB78_431
; %bb.422:
	s_andn2_b64 vcc, exec, s[22:23]
	v_mov_b32_e32 v8, 0x80
	s_cbranch_vccnz .LBB78_430
; %bb.423:
	s_andn2_b64 vcc, exec, s[20:21]
	s_cbranch_vccnz .LBB78_425
; %bb.424:
	v_bfe_u32 v3, v2, 21, 1
	s_mov_b32 s40, 0x88fffff
	v_add3_u32 v3, v2, v3, s40
	v_lshrrev_b32_e32 v3, 21, v3
	s_mov_b64 s[44:45], 0
	s_mov_b64 s[40:41], -1
	s_branch .LBB78_426
.LBB78_425:
	s_mov_b64 s[44:45], -1
	s_mov_b64 s[40:41], 0
                                        ; implicit-def: $vgpr3
.LBB78_426:
	s_andn2_b64 vcc, exec, s[44:45]
                                        ; implicit-def: $sgpr44
	s_cbranch_vccnz .LBB78_428
; %bb.427:
	s_mov_b32 s44, 0
	v_mov_b32_e32 v3, v6
	s_mov_b64 s[40:41], s[18:19]
.LBB78_428:
	s_andn2_b64 vcc, exec, s[40:41]
	v_mov_b32_e32 v8, s44
	s_cbranch_vccnz .LBB78_430
; %bb.429:
	v_lshrrev_b32_e32 v8, 24, v2
	s_movk_i32 s40, 0x80
	v_and_or_b32 v8, v8, s40, v3
.LBB78_430:
	s_mov_b64 s[40:41], 0
	global_store_byte v[0:1], v8, off
.LBB78_431:
	s_and_b64 vcc, exec, s[40:41]
	s_cbranch_vccz .LBB78_435
; %bb.432:
	s_add_i32 s44, s33, 0xbc100000
	s_and_b64 s[40:41], s[16:17], exec
	s_cselect_b32 s40, s63, s62
	s_cmp_lt_u32 s44, 0xf8900000
	v_mov_b32_e32 v3, s40
	s_cbranch_scc1 .LBB78_434
; %bb.433:
	v_bfe_u32 v3, v2, 20, 1
	s_mov_b32 s40, 0x407ffff
	v_add3_u32 v3, v2, v3, s40
	v_lshrrev_b32_e32 v8, 20, v3
	v_and_b32_e32 v3, 0xff00000, v3
	s_mov_b32 s40, 0x7f00000
	v_mov_b32_e32 v9, 0x7e
	v_cmp_ne_u32_e32 vcc, s40, v3
	v_cndmask_b32_e32 v3, v9, v8, vcc
.LBB78_434:
	v_lshrrev_b32_e32 v8, 24, v2
	s_movk_i32 s40, 0x80
	v_and_or_b32 v3, v8, s40, v3
	global_store_byte v[0:1], v3, off
.LBB78_435:
	s_mov_b64 s[40:41], 0
.LBB78_436:
	s_andn2_b64 vcc, exec, s[40:41]
	s_cbranch_vccnz .LBB78_440
; %bb.437:
	s_add_i32 s44, s33, 0xb8800000
	s_and_b64 s[40:41], s[14:15], exec
	s_cselect_b32 s40, s61, s60
	s_cmp_lt_u32 s44, 0xf1000000
	v_mov_b32_e32 v3, s40
	s_cbranch_scc1 .LBB78_439
; %bb.438:
	v_bfe_u32 v3, v2, 21, 1
	s_mov_b32 s40, 0x80fffff
	v_add3_u32 v3, v2, v3, s40
	v_lshrrev_b32_e32 v3, 21, v3
.LBB78_439:
	v_lshrrev_b32_e32 v8, 24, v2
	s_movk_i32 s40, 0x80
	v_and_or_b32 v3, v8, s40, v3
	global_store_byte v[0:1], v3, off
.LBB78_440:
	s_mov_b64 s[44:45], 0
	s_mov_b64 s[40:41], -1
.LBB78_441:
	s_andn2_b64 vcc, exec, s[44:45]
	s_cbranch_vccnz .LBB78_449
; %bb.442:
	v_mov_b32_e32 v3, 14
	v_cmp_gt_i16_sdwa s[46:47], s3, v3 src0_sel:BYTE_0 src1_sel:DWORD
	s_mov_b64 s[44:45], -1
	s_and_b64 vcc, exec, s[46:47]
	s_cbranch_vccz .LBB78_446
; %bb.443:
	v_mov_b32_e32 v3, 15
	v_cmp_eq_u16_sdwa s[44:45], s3, v3 src0_sel:BYTE_0 src1_sel:DWORD
	s_mov_b64 s[0:1], -1
	s_and_b64 vcc, exec, s[44:45]
	s_cbranch_vccz .LBB78_445
; %bb.444:
	v_bfe_u32 v3, v2, 16, 1
	s_movk_i32 s0, 0x7fff
	v_add3_u32 v3, v2, v3, s0
	v_lshrrev_b32_e32 v3, 16, v3
	v_mov_b32_e32 v8, 0x7fc0
	v_cmp_o_f32_e32 vcc, v2, v2
	v_cndmask_b32_e32 v3, v8, v3, vcc
	global_store_short v[0:1], v3, off
	s_mov_b64 s[40:41], -1
	s_mov_b64 s[0:1], 0
.LBB78_445:
	s_mov_b64 s[44:45], 0
.LBB78_446:
	s_and_b64 vcc, exec, s[44:45]
	s_cbranch_vccz .LBB78_449
; %bb.447:
	v_mov_b32_e32 v3, 11
	v_cmp_eq_u16_sdwa s[44:45], s3, v3 src0_sel:BYTE_0 src1_sel:DWORD
	s_mov_b64 s[0:1], -1
	s_and_b64 vcc, exec, s[44:45]
	s_cbranch_vccz .LBB78_449
; %bb.448:
	v_cmp_neq_f32_e32 vcc, 0, v2
	v_cndmask_b32_e64 v3, 0, 1, vcc
	global_store_byte v[0:1], v3, off
	s_mov_b64 s[40:41], -1
	s_mov_b64 s[0:1], 0
.LBB78_449:
	s_mov_b64 s[44:45], 0
.LBB78_450:
	s_and_b64 vcc, exec, s[44:45]
	s_cbranch_vccz .LBB78_489
; %bb.451:
	v_mov_b32_e32 v3, 5
	v_cmp_lt_i16_sdwa s[44:45], s3, v3 src0_sel:BYTE_0 src1_sel:DWORD
	s_mov_b64 s[40:41], -1
	s_and_b64 vcc, exec, s[44:45]
	s_cbranch_vccnz .LBB78_472
; %bb.452:
	v_mov_b32_e32 v3, 8
	v_cmp_lt_i16_sdwa s[44:45], s3, v3 src0_sel:BYTE_0 src1_sel:DWORD
	s_and_b64 vcc, exec, s[44:45]
	s_cbranch_vccnz .LBB78_462
; %bb.453:
	v_mov_b32_e32 v3, 9
	v_cmp_lt_i16_sdwa s[44:45], s3, v3 src0_sel:BYTE_0 src1_sel:DWORD
	s_and_b64 vcc, exec, s[44:45]
	s_cbranch_vccnz .LBB78_459
; %bb.454:
	v_cmp_gt_i16_sdwa s[44:45], s3, v3 src0_sel:BYTE_0 src1_sel:DWORD
	s_and_b64 vcc, exec, s[44:45]
	s_cbranch_vccz .LBB78_456
; %bb.455:
	v_mov_b32_e32 v10, 0
	v_cvt_f64_f32_e32 v[8:9], v2
	v_mov_b32_e32 v11, v10
	s_mov_b64 s[40:41], 0
	global_store_dwordx4 v[0:1], v[8:11], off
.LBB78_456:
	s_andn2_b64 vcc, exec, s[40:41]
	s_cbranch_vccnz .LBB78_458
; %bb.457:
	v_mov_b32_e32 v3, 0
	global_store_dwordx2 v[0:1], v[2:3], off
.LBB78_458:
	s_mov_b64 s[40:41], 0
.LBB78_459:
	s_andn2_b64 vcc, exec, s[40:41]
	s_cbranch_vccnz .LBB78_461
; %bb.460:
	v_cvt_f16_f32_e32 v3, v2
	global_store_dword v[0:1], v3, off
.LBB78_461:
	s_mov_b64 s[40:41], 0
.LBB78_462:
	s_andn2_b64 vcc, exec, s[40:41]
	s_cbranch_vccnz .LBB78_471
; %bb.463:
	v_mov_b32_e32 v3, 6
	v_cmp_lt_i16_sdwa s[44:45], s3, v3 src0_sel:BYTE_0 src1_sel:DWORD
	s_mov_b64 s[40:41], -1
	s_and_b64 vcc, exec, s[44:45]
	s_cbranch_vccnz .LBB78_469
; %bb.464:
	v_cmp_gt_i16_sdwa s[44:45], s3, v3 src0_sel:BYTE_0 src1_sel:DWORD
	s_and_b64 vcc, exec, s[44:45]
	s_cbranch_vccz .LBB78_466
; %bb.465:
	v_cvt_f64_f32_e32 v[8:9], v2
	s_mov_b64 s[40:41], 0
	global_store_dwordx2 v[0:1], v[8:9], off
.LBB78_466:
	s_andn2_b64 vcc, exec, s[40:41]
	s_cbranch_vccnz .LBB78_468
; %bb.467:
	global_store_dword v[0:1], v2, off
.LBB78_468:
	s_mov_b64 s[40:41], 0
.LBB78_469:
	s_andn2_b64 vcc, exec, s[40:41]
	s_cbranch_vccnz .LBB78_471
; %bb.470:
	v_cvt_f16_f32_e32 v3, v2
	global_store_short v[0:1], v3, off
.LBB78_471:
	s_mov_b64 s[40:41], 0
.LBB78_472:
	s_andn2_b64 vcc, exec, s[40:41]
	s_cbranch_vccnz .LBB78_488
; %bb.473:
	v_mov_b32_e32 v3, 2
	v_cmp_lt_i16_sdwa s[44:45], s3, v3 src0_sel:BYTE_0 src1_sel:DWORD
	s_mov_b64 s[40:41], -1
	s_and_b64 vcc, exec, s[44:45]
	s_cbranch_vccnz .LBB78_483
; %bb.474:
	v_mov_b32_e32 v3, 3
	v_cmp_lt_i16_sdwa s[44:45], s3, v3 src0_sel:BYTE_0 src1_sel:DWORD
	s_and_b64 vcc, exec, s[44:45]
	s_cbranch_vccnz .LBB78_480
; %bb.475:
	v_cmp_gt_i16_sdwa s[44:45], s3, v3 src0_sel:BYTE_0 src1_sel:DWORD
	s_and_b64 vcc, exec, s[44:45]
	s_cbranch_vccz .LBB78_477
; %bb.476:
	v_trunc_f32_e32 v3, v2
	s_mov_b32 s40, 0x2f800000
	v_mul_f32_e64 v8, |v3|, s40
	v_floor_f32_e32 v8, v8
	s_mov_b32 s40, 0xcf800000
	v_cvt_u32_f32_e32 v9, v8
	v_fma_f32 v8, v8, s40, |v3|
	v_cvt_u32_f32_e32 v8, v8
	v_ashrrev_i32_e32 v3, 31, v3
	v_xor_b32_e32 v9, v9, v3
	s_mov_b64 s[40:41], 0
	v_xor_b32_e32 v8, v8, v3
	v_sub_co_u32_e32 v8, vcc, v8, v3
	v_subb_co_u32_e32 v9, vcc, v9, v3, vcc
	global_store_dwordx2 v[0:1], v[8:9], off
.LBB78_477:
	s_andn2_b64 vcc, exec, s[40:41]
	s_cbranch_vccnz .LBB78_479
; %bb.478:
	v_cvt_i32_f32_e32 v3, v2
	global_store_dword v[0:1], v3, off
.LBB78_479:
	s_mov_b64 s[40:41], 0
.LBB78_480:
	s_andn2_b64 vcc, exec, s[40:41]
	s_cbranch_vccnz .LBB78_482
; %bb.481:
	v_cvt_i32_f32_e32 v3, v2
	global_store_short v[0:1], v3, off
.LBB78_482:
	s_mov_b64 s[40:41], 0
.LBB78_483:
	s_andn2_b64 vcc, exec, s[40:41]
	s_cbranch_vccnz .LBB78_488
; %bb.484:
	v_mov_b32_e32 v3, 0
	v_cmp_gt_i16_sdwa s[44:45], s3, v3 src0_sel:BYTE_0 src1_sel:DWORD
	s_mov_b64 s[40:41], -1
	s_and_b64 vcc, exec, s[44:45]
	s_cbranch_vccz .LBB78_486
; %bb.485:
	v_cvt_i32_f32_e32 v3, v2
	s_mov_b64 s[40:41], 0
	global_store_byte v[0:1], v3, off
.LBB78_486:
	s_andn2_b64 vcc, exec, s[40:41]
	s_cbranch_vccnz .LBB78_488
; %bb.487:
	v_trunc_f32_e32 v2, v2
	s_mov_b32 s40, 0x2f800000
	v_mul_f32_e64 v3, |v2|, s40
	v_floor_f32_e32 v3, v3
	s_mov_b32 s40, 0xcf800000
	v_fma_f32 v3, v3, s40, |v2|
	v_cvt_u32_f32_e32 v3, v3
	v_ashrrev_i32_e32 v2, 31, v2
	v_xor_b32_e32 v3, v3, v2
	v_sub_u32_e32 v2, v3, v2
	global_store_byte v[0:1], v2, off
.LBB78_488:
	s_mov_b64 s[40:41], -1
.LBB78_489:
	s_andn2_b64 vcc, exec, s[40:41]
	s_cbranch_vccnz .LBB78_491
; %bb.490:
	v_add_u32_e32 v4, 0x80, v4
	s_mov_b64 s[44:45], -1
	s_branch .LBB78_492
.LBB78_491:
	s_mov_b64 s[44:45], 0
                                        ; implicit-def: $vgpr4
.LBB78_492:
	s_andn2_b64 s[40:41], s[30:31], exec
	s_and_b64 s[0:1], s[0:1], exec
	s_or_b64 s[40:41], s[40:41], s[0:1]
	s_andn2_b64 s[0:1], s[34:35], exec
	s_and_b64 s[38:39], s[38:39], exec
	s_or_b64 s[38:39], s[0:1], s[38:39]
	s_orn2_b64 s[0:1], s[44:45], exec
.LBB78_493:
	s_or_b64 exec, exec, s[42:43]
	s_mov_b64 s[44:45], 0
	s_mov_b64 s[46:47], 0
	;; [unrolled: 1-line block ×3, first 2 shown]
                                        ; implicit-def: $vgpr0_vgpr1
                                        ; implicit-def: $vgpr3
	s_and_saveexec_b64 s[42:43], s[0:1]
	s_cbranch_execz .LBB78_822
; %bb.494:
	v_cmp_gt_i32_e32 vcc, s56, v4
	s_mov_b64 s[52:53], -1
	s_mov_b64 s[0:1], s[38:39]
	s_mov_b64 s[48:49], s[40:41]
	s_and_saveexec_b64 s[44:45], vcc
	s_cbranch_execz .LBB78_740
; %bb.495:
	v_mul_lo_u32 v0, v4, s13
	v_ashrrev_i32_e32 v1, 31, v0
	s_waitcnt vmcnt(0)
	v_mov_b32_e32 v2, s11
	v_add_co_u32_e32 v0, vcc, s10, v0
	v_addc_co_u32_e32 v1, vcc, v2, v1, vcc
	v_cmp_gt_i16_e32 vcc, 11, v5
	s_cbranch_vccnz .LBB78_502
; %bb.496:
	v_cmp_lt_i16_e32 vcc, 25, v5
	s_cbranch_vccz .LBB78_503
; %bb.497:
	v_cmp_lt_i16_e32 vcc, 28, v5
	s_cbranch_vccz .LBB78_504
	;; [unrolled: 3-line block ×4, first 2 shown]
; %bb.500:
	v_cmp_eq_u16_e32 vcc, 46, v5
	s_mov_b64 s[48:49], 0
	s_cbranch_vccz .LBB78_507
; %bb.501:
	global_load_dword v2, v[0:1], off
	s_mov_b64 s[0:1], -1
	s_waitcnt vmcnt(0)
	v_lshlrev_b32_e32 v2, 16, v2
	s_branch .LBB78_508
.LBB78_502:
	s_mov_b64 s[48:49], -1
	s_mov_b64 s[0:1], 0
                                        ; implicit-def: $vgpr2
	s_mov_b64 s[46:47], s[38:39]
	s_branch .LBB78_573
.LBB78_503:
	s_mov_b64 s[48:49], -1
	s_mov_b64 s[0:1], 0
	s_mov_b64 s[46:47], s[38:39]
                                        ; implicit-def: $vgpr2
	s_branch .LBB78_537
.LBB78_504:
	s_mov_b64 s[48:49], -1
	s_mov_b64 s[0:1], 0
	s_mov_b64 s[46:47], s[38:39]
                                        ; implicit-def: $vgpr2
	s_branch .LBB78_518
.LBB78_505:
	s_mov_b64 s[48:49], -1
	s_mov_b64 s[0:1], 0
	s_mov_b64 s[46:47], s[38:39]
                                        ; implicit-def: $vgpr2
	s_branch .LBB78_513
.LBB78_506:
	s_mov_b64 s[48:49], -1
	s_mov_b64 s[0:1], 0
	s_mov_b64 s[46:47], s[38:39]
                                        ; implicit-def: $vgpr2
	s_branch .LBB78_508
.LBB78_507:
	s_mov_b64 s[46:47], -1
                                        ; implicit-def: $vgpr2
	s_mov_b64 s[0:1], 0
.LBB78_508:
	s_and_b64 vcc, exec, s[48:49]
	s_cbranch_vccz .LBB78_512
; %bb.509:
	v_cmp_eq_u16_e32 vcc, 44, v5
	s_cbranch_vccz .LBB78_511
; %bb.510:
	global_load_ubyte v2, v[0:1], off
	s_movk_i32 s46, 0xff
	v_mov_b32_e32 v3, 0x7f800001
	v_mov_b32_e32 v8, 0x400000
	s_mov_b64 s[0:1], -1
	s_waitcnt vmcnt(0)
	v_lshlrev_b32_e32 v9, 23, v2
	v_cmp_ne_u32_e32 vcc, s46, v2
	v_cndmask_b32_e32 v3, v3, v9, vcc
	v_cmp_ne_u32_e32 vcc, 0, v2
	v_cndmask_b32_e32 v2, v8, v3, vcc
	s_mov_b64 s[46:47], 0
	s_branch .LBB78_512
.LBB78_511:
	s_mov_b64 s[46:47], -1
                                        ; implicit-def: $vgpr2
.LBB78_512:
	s_mov_b64 s[48:49], 0
.LBB78_513:
	s_and_b64 vcc, exec, s[48:49]
	s_cbranch_vccz .LBB78_517
; %bb.514:
	v_cmp_eq_u16_e32 vcc, 29, v5
	s_cbranch_vccz .LBB78_516
; %bb.515:
	global_load_dwordx2 v[2:3], v[0:1], off
	s_mov_b64 s[0:1], -1
	s_mov_b64 s[46:47], 0
	s_mov_b64 s[48:49], 0
	s_waitcnt vmcnt(0)
	v_ffbh_u32_e32 v8, v3
	v_min_u32_e32 v8, 32, v8
	v_lshlrev_b64 v[2:3], v8, v[2:3]
	v_min_u32_e32 v2, 1, v2
	v_or_b32_e32 v2, v3, v2
	v_cvt_f32_u32_e32 v2, v2
	v_sub_u32_e32 v3, 32, v8
	v_ldexp_f32 v2, v2, v3
	s_branch .LBB78_518
.LBB78_516:
	s_mov_b64 s[46:47], -1
                                        ; implicit-def: $vgpr2
.LBB78_517:
	s_mov_b64 s[48:49], 0
.LBB78_518:
	s_and_b64 vcc, exec, s[48:49]
	s_cbranch_vccz .LBB78_536
; %bb.519:
	v_cmp_gt_i16_e32 vcc, 27, v5
	s_cbranch_vccnz .LBB78_522
; %bb.520:
	v_cmp_lt_i16_e32 vcc, 27, v5
	s_cbranch_vccz .LBB78_523
; %bb.521:
	global_load_dword v2, v[0:1], off
	s_mov_b64 s[0:1], 0
	s_waitcnt vmcnt(0)
	v_cvt_f32_u32_e32 v2, v2
	s_branch .LBB78_524
.LBB78_522:
	s_mov_b64 s[0:1], -1
                                        ; implicit-def: $vgpr2
	s_branch .LBB78_527
.LBB78_523:
	s_mov_b64 s[0:1], -1
                                        ; implicit-def: $vgpr2
.LBB78_524:
	s_andn2_b64 vcc, exec, s[0:1]
	s_cbranch_vccnz .LBB78_526
; %bb.525:
	global_load_ushort v2, v[0:1], off
	s_waitcnt vmcnt(0)
	v_cvt_f32_u32_e32 v2, v2
.LBB78_526:
	s_mov_b64 s[0:1], 0
.LBB78_527:
	s_andn2_b64 vcc, exec, s[0:1]
	s_cbranch_vccnz .LBB78_535
; %bb.528:
	global_load_ubyte v3, v[0:1], off
	s_movk_i32 s0, 0x7f
                                        ; implicit-def: $sgpr52
	s_waitcnt vmcnt(0)
	v_cmp_lt_i16_e32 vcc, s0, v3
	s_mov_b64 s[0:1], 0
	s_and_saveexec_b64 s[48:49], vcc
	s_xor_b64 s[48:49], exec, s[48:49]
	s_cbranch_execz .LBB78_549
; %bb.529:
	s_movk_i32 s0, 0x80
	v_cmp_eq_u16_e32 vcc, s0, v3
	s_mov_b64 s[0:1], -1
                                        ; implicit-def: $sgpr52
	s_and_saveexec_b64 s[50:51], vcc
; %bb.530:
	s_mov_b32 s52, 0x7f800001
	s_xor_b64 s[0:1], exec, -1
; %bb.531:
	s_or_b64 exec, exec, s[50:51]
	s_and_b64 s[0:1], s[0:1], exec
	s_or_saveexec_b64 s[48:49], s[48:49]
	v_mov_b32_e32 v2, s52
	s_xor_b64 exec, exec, s[48:49]
	s_cbranch_execnz .LBB78_550
.LBB78_532:
	s_or_b64 exec, exec, s[48:49]
	s_and_saveexec_b64 s[48:49], s[0:1]
	s_cbranch_execz .LBB78_534
.LBB78_533:
	v_lshlrev_b32_e32 v2, 24, v3
	v_and_b32_e32 v3, 0xffff, v3
	v_and_b32_e32 v8, 7, v3
	v_ffbh_u32_e32 v10, v8
	v_min_u32_e32 v10, 32, v10
	v_subrev_u32_e32 v11, 28, v10
	v_bfe_u32 v9, v3, 3, 4
	v_lshlrev_b32_e32 v3, v11, v3
	v_sub_u32_e32 v10, 29, v10
	v_and_b32_e32 v3, 7, v3
	v_cmp_eq_u32_e32 vcc, 0, v9
	v_cndmask_b32_e32 v9, v9, v10, vcc
	v_cndmask_b32_e32 v3, v8, v3, vcc
	v_mov_b32_e32 v8, 0x3b800000
	v_lshlrev_b32_e32 v3, 20, v3
	v_and_b32_e32 v2, 0x80000000, v2
	v_lshl_add_u32 v8, v9, 23, v8
	v_or3_b32 v2, v2, v8, v3
.LBB78_534:
	s_or_b64 exec, exec, s[48:49]
.LBB78_535:
	s_mov_b64 s[0:1], -1
.LBB78_536:
	s_mov_b64 s[48:49], 0
.LBB78_537:
	s_and_b64 vcc, exec, s[48:49]
	s_cbranch_vccz .LBB78_572
; %bb.538:
	v_cmp_lt_i16_e32 vcc, 22, v5
	s_cbranch_vccz .LBB78_548
; %bb.539:
	v_cmp_gt_i16_e32 vcc, 24, v5
	s_cbranch_vccnz .LBB78_551
; %bb.540:
	v_cmp_lt_i16_e32 vcc, 24, v5
	s_cbranch_vccz .LBB78_552
; %bb.541:
	global_load_ubyte v3, v[0:1], off
	s_movk_i32 s0, 0x7f
                                        ; implicit-def: $sgpr52
	s_waitcnt vmcnt(0)
	v_cmp_lt_i16_e32 vcc, s0, v3
	s_mov_b64 s[0:1], 0
	s_and_saveexec_b64 s[48:49], vcc
	s_xor_b64 s[48:49], exec, s[48:49]
	s_cbranch_execz .LBB78_564
; %bb.542:
	s_movk_i32 s0, 0x80
	v_cmp_eq_u16_e32 vcc, s0, v3
	s_mov_b64 s[0:1], -1
                                        ; implicit-def: $sgpr52
	s_and_saveexec_b64 s[50:51], vcc
; %bb.543:
	s_mov_b32 s52, 0x7f800001
	s_xor_b64 s[0:1], exec, -1
; %bb.544:
	s_or_b64 exec, exec, s[50:51]
	s_and_b64 s[0:1], s[0:1], exec
	s_or_saveexec_b64 s[48:49], s[48:49]
	v_mov_b32_e32 v2, s52
	s_xor_b64 exec, exec, s[48:49]
	s_cbranch_execnz .LBB78_565
.LBB78_545:
	s_or_b64 exec, exec, s[48:49]
	s_and_saveexec_b64 s[48:49], s[0:1]
	s_cbranch_execz .LBB78_547
.LBB78_546:
	v_lshlrev_b32_e32 v2, 24, v3
	v_and_b32_e32 v3, 0xffff, v3
	v_and_b32_e32 v8, 3, v3
	v_ffbh_u32_e32 v10, v8
	v_min_u32_e32 v10, 32, v10
	v_subrev_u32_e32 v11, 29, v10
	v_bfe_u32 v9, v3, 2, 5
	v_lshlrev_b32_e32 v3, v11, v3
	v_sub_u32_e32 v10, 30, v10
	v_and_b32_e32 v3, 3, v3
	v_cmp_eq_u32_e32 vcc, 0, v9
	v_cndmask_b32_e32 v9, v9, v10, vcc
	v_cndmask_b32_e32 v3, v8, v3, vcc
	v_mov_b32_e32 v8, 0x37800000
	v_lshlrev_b32_e32 v3, 21, v3
	v_and_b32_e32 v2, 0x80000000, v2
	v_lshl_add_u32 v8, v9, 23, v8
	v_or3_b32 v2, v2, v8, v3
.LBB78_547:
	s_or_b64 exec, exec, s[48:49]
	s_mov_b64 s[0:1], 0
	s_branch .LBB78_553
.LBB78_548:
	s_mov_b64 s[48:49], -1
                                        ; implicit-def: $vgpr2
	s_branch .LBB78_559
.LBB78_549:
	s_or_saveexec_b64 s[48:49], s[48:49]
	v_mov_b32_e32 v2, s52
	s_xor_b64 exec, exec, s[48:49]
	s_cbranch_execz .LBB78_532
.LBB78_550:
	v_cmp_ne_u16_e32 vcc, 0, v3
	s_andn2_b64 s[0:1], s[0:1], exec
	s_and_b64 s[50:51], vcc, exec
	v_mov_b32_e32 v2, 0
	s_or_b64 s[0:1], s[0:1], s[50:51]
	s_or_b64 exec, exec, s[48:49]
	s_and_saveexec_b64 s[48:49], s[0:1]
	s_cbranch_execnz .LBB78_533
	s_branch .LBB78_534
.LBB78_551:
	s_mov_b64 s[0:1], -1
                                        ; implicit-def: $vgpr2
	s_branch .LBB78_556
.LBB78_552:
	s_mov_b64 s[0:1], -1
                                        ; implicit-def: $vgpr2
.LBB78_553:
	s_and_b64 vcc, exec, s[0:1]
	s_cbranch_vccz .LBB78_555
; %bb.554:
	global_load_ubyte v2, v[0:1], off
	s_mov_b32 s0, 0x7f800000
	s_waitcnt vmcnt(0)
	v_lshlrev_b32_e32 v2, 24, v2
	v_and_b32_e32 v3, 0x7f000000, v2
	v_ffbh_u32_e32 v8, v3
	v_min_u32_e32 v8, 32, v8
	v_sub_u32_e64 v8, v8, 4 clamp
	v_lshlrev_b32_e32 v10, v8, v3
	v_lshlrev_b32_e32 v8, 23, v8
	v_lshrrev_b32_e32 v10, 4, v10
	v_add_u32_e32 v9, 0x1000000, v3
	v_sub_u32_e32 v8, v10, v8
	v_ashrrev_i32_e32 v9, 8, v9
	v_add_u32_e32 v8, 0x3c000000, v8
	v_and_or_b32 v8, v9, s0, v8
	v_cmp_ne_u32_e32 vcc, 0, v3
	v_cndmask_b32_e32 v3, 0, v8, vcc
	s_brev_b32 s0, 1
	v_and_or_b32 v2, v2, s0, v3
.LBB78_555:
	s_mov_b64 s[0:1], 0
.LBB78_556:
	s_andn2_b64 vcc, exec, s[0:1]
	s_cbranch_vccnz .LBB78_558
; %bb.557:
	global_load_ubyte v2, v[0:1], off
	s_movk_i32 s0, 0x7f00
	s_brev_b32 s1, 16
	s_waitcnt vmcnt(0)
	v_lshlrev_b16_e32 v3, 8, v2
	v_lshlrev_b32_e32 v2, 25, v2
	v_lshrrev_b32_e32 v8, 4, v2
	v_and_or_b32 v9, v3, s0, 0.5
	v_or_b32_e32 v8, 0x70000000, v8
	v_add_f32_e32 v9, -0.5, v9
	v_mul_f32_e32 v8, 0x7800000, v8
	v_cmp_gt_u32_e32 vcc, s1, v2
	v_bfe_i32 v3, v3, 0, 16
	v_cndmask_b32_e32 v2, v8, v9, vcc
	s_brev_b32 s0, 1
	v_and_or_b32 v2, v3, s0, v2
.LBB78_558:
	s_mov_b64 s[48:49], 0
	s_mov_b64 s[0:1], -1
.LBB78_559:
	s_andn2_b64 vcc, exec, s[48:49]
	s_cbranch_vccnz .LBB78_572
; %bb.560:
	v_cmp_lt_i16_e32 vcc, 14, v5
	s_cbranch_vccz .LBB78_563
; %bb.561:
	v_cmp_eq_u16_e32 vcc, 15, v5
	s_cbranch_vccz .LBB78_566
; %bb.562:
	global_load_ushort v2, v[0:1], off
	s_mov_b64 s[0:1], -1
	s_mov_b64 s[46:47], 0
	s_waitcnt vmcnt(0)
	v_lshlrev_b32_e32 v2, 16, v2
	s_branch .LBB78_567
.LBB78_563:
	s_mov_b64 s[48:49], -1
                                        ; implicit-def: $vgpr2
	s_branch .LBB78_568
.LBB78_564:
	s_or_saveexec_b64 s[48:49], s[48:49]
	v_mov_b32_e32 v2, s52
	s_xor_b64 exec, exec, s[48:49]
	s_cbranch_execz .LBB78_545
.LBB78_565:
	v_cmp_ne_u16_e32 vcc, 0, v3
	s_andn2_b64 s[0:1], s[0:1], exec
	s_and_b64 s[50:51], vcc, exec
	v_mov_b32_e32 v2, 0
	s_or_b64 s[0:1], s[0:1], s[50:51]
	s_or_b64 exec, exec, s[48:49]
	s_and_saveexec_b64 s[48:49], s[0:1]
	s_cbranch_execnz .LBB78_546
	s_branch .LBB78_547
.LBB78_566:
	s_mov_b64 s[46:47], -1
                                        ; implicit-def: $vgpr2
.LBB78_567:
	s_mov_b64 s[48:49], 0
.LBB78_568:
	s_and_b64 vcc, exec, s[48:49]
	s_cbranch_vccz .LBB78_572
; %bb.569:
	v_cmp_eq_u16_e32 vcc, 11, v5
	s_cbranch_vccz .LBB78_571
; %bb.570:
	global_load_ubyte v2, v[0:1], off
	s_mov_b64 s[0:1], -1
	s_mov_b64 s[46:47], 0
	s_waitcnt vmcnt(0)
	v_cmp_ne_u16_e32 vcc, 0, v2
	v_cndmask_b32_e64 v2, 0, 1.0, vcc
	s_branch .LBB78_572
.LBB78_571:
	s_mov_b64 s[46:47], -1
                                        ; implicit-def: $vgpr2
.LBB78_572:
	s_mov_b64 s[48:49], 0
.LBB78_573:
	s_and_b64 vcc, exec, s[48:49]
	s_cbranch_vccz .LBB78_622
; %bb.574:
	v_cmp_gt_i16_e32 vcc, 5, v5
	s_cbranch_vccnz .LBB78_579
; %bb.575:
	v_cmp_gt_i16_e32 vcc, 8, v5
	s_cbranch_vccnz .LBB78_580
	;; [unrolled: 3-line block ×3, first 2 shown]
; %bb.577:
	v_cmp_lt_i16_e32 vcc, 9, v5
	s_cbranch_vccz .LBB78_582
; %bb.578:
	global_load_dwordx2 v[2:3], v[0:1], off
	s_mov_b64 s[0:1], 0
	s_waitcnt vmcnt(0)
	v_cvt_f32_f64_e32 v2, v[2:3]
	s_branch .LBB78_583
.LBB78_579:
	s_mov_b64 s[0:1], -1
                                        ; implicit-def: $vgpr2
	s_branch .LBB78_601
.LBB78_580:
	s_mov_b64 s[0:1], -1
                                        ; implicit-def: $vgpr2
	s_branch .LBB78_589
.LBB78_581:
	s_mov_b64 s[0:1], -1
                                        ; implicit-def: $vgpr2
	s_branch .LBB78_586
.LBB78_582:
	s_mov_b64 s[0:1], -1
                                        ; implicit-def: $vgpr2
.LBB78_583:
	s_andn2_b64 vcc, exec, s[0:1]
	s_cbranch_vccnz .LBB78_585
; %bb.584:
	global_load_dword v2, v[0:1], off
.LBB78_585:
	s_mov_b64 s[0:1], 0
.LBB78_586:
	s_andn2_b64 vcc, exec, s[0:1]
	s_cbranch_vccnz .LBB78_588
; %bb.587:
	global_load_dword v2, v[0:1], off
	s_waitcnt vmcnt(0)
	v_cvt_f32_f16_e32 v2, v2
.LBB78_588:
	s_mov_b64 s[0:1], 0
.LBB78_589:
	s_andn2_b64 vcc, exec, s[0:1]
	s_cbranch_vccnz .LBB78_600
; %bb.590:
	v_cmp_gt_i16_e32 vcc, 6, v5
	s_cbranch_vccnz .LBB78_593
; %bb.591:
	v_cmp_lt_i16_e32 vcc, 6, v5
	s_cbranch_vccz .LBB78_594
; %bb.592:
	global_load_dwordx2 v[2:3], v[0:1], off
	s_mov_b64 s[0:1], 0
	s_waitcnt vmcnt(0)
	v_cvt_f32_f64_e32 v2, v[2:3]
	s_branch .LBB78_595
.LBB78_593:
	s_mov_b64 s[0:1], -1
                                        ; implicit-def: $vgpr2
	s_branch .LBB78_598
.LBB78_594:
	s_mov_b64 s[0:1], -1
                                        ; implicit-def: $vgpr2
.LBB78_595:
	s_andn2_b64 vcc, exec, s[0:1]
	s_cbranch_vccnz .LBB78_597
; %bb.596:
	global_load_dword v2, v[0:1], off
.LBB78_597:
	s_mov_b64 s[0:1], 0
.LBB78_598:
	s_andn2_b64 vcc, exec, s[0:1]
	s_cbranch_vccnz .LBB78_600
; %bb.599:
	global_load_ushort v2, v[0:1], off
	s_waitcnt vmcnt(0)
	v_cvt_f32_f16_e32 v2, v2
.LBB78_600:
	s_mov_b64 s[0:1], 0
.LBB78_601:
	s_andn2_b64 vcc, exec, s[0:1]
	s_cbranch_vccnz .LBB78_621
; %bb.602:
	v_cmp_gt_i16_e32 vcc, 2, v5
	s_cbranch_vccnz .LBB78_606
; %bb.603:
	v_cmp_gt_i16_e32 vcc, 3, v5
	s_cbranch_vccnz .LBB78_607
; %bb.604:
	v_cmp_lt_i16_e32 vcc, 3, v5
	s_cbranch_vccz .LBB78_608
; %bb.605:
	global_load_dwordx2 v[2:3], v[0:1], off
	s_mov_b64 s[0:1], 0
	s_waitcnt vmcnt(0)
	v_xor_b32_e32 v9, v2, v3
	v_ffbh_i32_e32 v8, v3
	v_ashrrev_i32_e32 v9, 31, v9
	v_add_u32_e32 v8, -1, v8
	v_add_u32_e32 v9, 32, v9
	v_min_u32_e32 v8, v8, v9
	v_lshlrev_b64 v[2:3], v8, v[2:3]
	v_min_u32_e32 v2, 1, v2
	v_or_b32_e32 v2, v3, v2
	v_cvt_f32_i32_e32 v2, v2
	v_sub_u32_e32 v3, 32, v8
	v_ldexp_f32 v2, v2, v3
	s_branch .LBB78_609
.LBB78_606:
	s_mov_b64 s[0:1], -1
                                        ; implicit-def: $vgpr2
	s_branch .LBB78_615
.LBB78_607:
	s_mov_b64 s[0:1], -1
                                        ; implicit-def: $vgpr2
	s_branch .LBB78_612
.LBB78_608:
	s_mov_b64 s[0:1], -1
                                        ; implicit-def: $vgpr2
.LBB78_609:
	s_andn2_b64 vcc, exec, s[0:1]
	s_cbranch_vccnz .LBB78_611
; %bb.610:
	global_load_dword v2, v[0:1], off
	s_waitcnt vmcnt(0)
	v_cvt_f32_i32_e32 v2, v2
.LBB78_611:
	s_mov_b64 s[0:1], 0
.LBB78_612:
	s_andn2_b64 vcc, exec, s[0:1]
	s_cbranch_vccnz .LBB78_614
; %bb.613:
	global_load_sshort v2, v[0:1], off
	s_waitcnt vmcnt(0)
	v_cvt_f32_i32_e32 v2, v2
.LBB78_614:
	s_mov_b64 s[0:1], 0
.LBB78_615:
	s_andn2_b64 vcc, exec, s[0:1]
	s_cbranch_vccnz .LBB78_621
; %bb.616:
	v_cmp_lt_i16_e32 vcc, 0, v5
	s_cbranch_vccz .LBB78_618
; %bb.617:
	global_load_sbyte v2, v[0:1], off
	s_mov_b64 s[0:1], 0
	s_waitcnt vmcnt(0)
	v_cvt_f32_i32_e32 v2, v2
	s_branch .LBB78_619
.LBB78_618:
	s_mov_b64 s[0:1], -1
                                        ; implicit-def: $vgpr2
.LBB78_619:
	s_andn2_b64 vcc, exec, s[0:1]
	s_cbranch_vccnz .LBB78_621
; %bb.620:
	global_load_ubyte v0, v[0:1], off
	s_waitcnt vmcnt(0)
	v_cvt_f32_ubyte0_e32 v2, v0
.LBB78_621:
	s_mov_b64 s[0:1], -1
.LBB78_622:
	s_andn2_b64 vcc, exec, s[0:1]
	s_cbranch_vccnz .LBB78_630
; %bb.623:
	s_brev_b32 s0, -2
	v_mov_b32_e32 v0, s2
	s_waitcnt vmcnt(0)
	v_bfi_b32 v2, s0, v0, v2
	v_mul_lo_u32 v0, v4, s12
	v_ashrrev_i32_e32 v1, 31, v0
	v_mov_b32_e32 v3, s9
	v_add_co_u32_e32 v0, vcc, s8, v0
	v_addc_co_u32_e32 v1, vcc, v3, v1, vcc
	v_mov_b32_e32 v3, 11
	v_cmp_lt_i16_sdwa s[0:1], s3, v3 src0_sel:BYTE_0 src1_sel:DWORD
	s_and_b64 vcc, exec, s[0:1]
	s_cbranch_vccnz .LBB78_631
; %bb.624:
	v_mov_b32_e32 v3, 25
	v_cmp_gt_i16_sdwa s[0:1], s3, v3 src0_sel:BYTE_0 src1_sel:DWORD
	s_and_b64 vcc, exec, s[0:1]
	s_cbranch_vccz .LBB78_632
; %bb.625:
	v_mov_b32_e32 v3, 28
	v_cmp_gt_i16_sdwa s[0:1], s3, v3 src0_sel:BYTE_0 src1_sel:DWORD
	s_and_b64 vcc, exec, s[0:1]
	s_cbranch_vccz .LBB78_633
; %bb.626:
	v_mov_b32_e32 v3, 43
	v_cmp_gt_i16_sdwa s[0:1], s3, v3 src0_sel:BYTE_0 src1_sel:DWORD
	s_and_b64 vcc, exec, s[0:1]
	s_cbranch_vccz .LBB78_634
; %bb.627:
	v_mov_b32_e32 v3, 45
	v_cmp_gt_i16_sdwa s[0:1], s3, v3 src0_sel:BYTE_0 src1_sel:DWORD
	s_and_b64 vcc, exec, s[0:1]
	s_cbranch_vccz .LBB78_635
; %bb.628:
	v_mov_b32_e32 v3, 46
	v_cmp_eq_u16_sdwa s[48:49], s3, v3 src0_sel:BYTE_0 src1_sel:DWORD
	s_mov_b64 s[50:51], 0
	s_mov_b64 s[0:1], -1
	s_and_b64 vcc, exec, s[48:49]
	s_mov_b64 s[48:49], 0
	s_cbranch_vccz .LBB78_636
; %bb.629:
	v_bfe_u32 v3, v2, 16, 1
	s_movk_i32 s0, 0x7fff
	v_add3_u32 v3, v2, v3, s0
	v_lshrrev_b32_e32 v3, 16, v3
	v_mov_b32_e32 v8, 0x7fc0
	v_cmp_o_f32_e32 vcc, v2, v2
	v_cndmask_b32_e32 v3, v8, v3, vcc
	global_store_dword v[0:1], v3, off
	s_mov_b64 s[48:49], -1
	s_mov_b64 s[0:1], 0
	s_branch .LBB78_636
.LBB78_630:
	s_mov_b64 s[50:51], 0
                                        ; implicit-def: $vgpr4
	s_mov_b64 s[0:1], s[40:41]
	s_branch .LBB78_739
.LBB78_631:
	s_mov_b64 s[50:51], -1
	s_mov_b64 s[48:49], 0
	s_mov_b64 s[0:1], s[40:41]
	s_branch .LBB78_697
.LBB78_632:
	s_mov_b64 s[50:51], -1
	s_mov_b64 s[48:49], 0
	s_mov_b64 s[0:1], s[40:41]
	s_branch .LBB78_665
.LBB78_633:
	s_mov_b64 s[50:51], -1
	s_mov_b64 s[48:49], 0
	s_mov_b64 s[0:1], s[40:41]
	s_branch .LBB78_646
.LBB78_634:
	s_mov_b64 s[50:51], -1
	s_mov_b64 s[48:49], 0
	s_mov_b64 s[0:1], s[40:41]
	s_branch .LBB78_642
.LBB78_635:
	s_mov_b64 s[50:51], -1
	s_mov_b64 s[48:49], 0
	s_mov_b64 s[0:1], s[40:41]
.LBB78_636:
	s_and_b64 vcc, exec, s[50:51]
	s_cbranch_vccz .LBB78_641
; %bb.637:
	v_mov_b32_e32 v3, 44
	v_cmp_eq_u16_sdwa s[50:51], s3, v3 src0_sel:BYTE_0 src1_sel:DWORD
	s_mov_b64 s[0:1], -1
	s_and_b64 vcc, exec, s[50:51]
	s_cbranch_vccz .LBB78_641
; %bb.638:
	v_bfe_u32 v3, v2, 23, 8
	s_movk_i32 s0, 0xff
	v_cmp_ne_u32_e32 vcc, s0, v3
	v_mov_b32_e32 v8, 0xff
	s_and_saveexec_b64 s[48:49], vcc
; %bb.639:
	s_mov_b32 s0, 0x3fffff
	v_and_b32_e32 v9, 0x400000, v2
	v_and_or_b32 v3, v2, s0, v3
	v_cmp_ne_u32_e32 vcc, 0, v9
	v_cmp_ne_u32_e64 s[0:1], 0, v3
	s_and_b64 s[0:1], vcc, s[0:1]
	v_lshrrev_b32_e32 v8, 23, v2
	v_cndmask_b32_e64 v3, 0, 1, s[0:1]
	v_add_u32_e32 v8, v8, v3
; %bb.640:
	s_or_b64 exec, exec, s[48:49]
	s_mov_b64 s[48:49], -1
	s_mov_b64 s[0:1], 0
	global_store_byte v[0:1], v8, off
.LBB78_641:
	s_mov_b64 s[50:51], 0
.LBB78_642:
	s_and_b64 vcc, exec, s[50:51]
	s_cbranch_vccz .LBB78_645
; %bb.643:
	v_mov_b32_e32 v3, 29
	v_cmp_eq_u16_sdwa s[50:51], s3, v3 src0_sel:BYTE_0 src1_sel:DWORD
	s_mov_b64 s[0:1], -1
	s_and_b64 vcc, exec, s[50:51]
	s_cbranch_vccz .LBB78_645
; %bb.644:
	v_trunc_f32_e32 v3, v2
	v_mul_f32_e32 v8, 0x2f800000, v3
	v_floor_f32_e32 v8, v8
	v_fmac_f32_e32 v3, 0xcf800000, v8
	v_cvt_u32_f32_e32 v9, v8
	v_cvt_u32_f32_e32 v8, v3
	s_mov_b64 s[48:49], -1
	s_mov_b64 s[0:1], 0
	s_mov_b64 s[50:51], 0
	global_store_dwordx2 v[0:1], v[8:9], off
	s_branch .LBB78_646
.LBB78_645:
	s_mov_b64 s[50:51], 0
.LBB78_646:
	s_and_b64 vcc, exec, s[50:51]
	s_cbranch_vccz .LBB78_664
; %bb.647:
	v_mov_b32_e32 v3, 27
	v_cmp_lt_i16_sdwa s[50:51], s3, v3 src0_sel:BYTE_0 src1_sel:DWORD
	s_mov_b64 s[48:49], -1
	s_and_b64 vcc, exec, s[50:51]
	s_cbranch_vccnz .LBB78_653
; %bb.648:
	v_cmp_gt_i16_sdwa s[50:51], s3, v3 src0_sel:BYTE_0 src1_sel:DWORD
	v_cvt_u32_f32_e32 v3, v2
	s_and_b64 vcc, exec, s[50:51]
	s_cbranch_vccz .LBB78_650
; %bb.649:
	s_mov_b64 s[48:49], 0
	global_store_dword v[0:1], v3, off
.LBB78_650:
	s_andn2_b64 vcc, exec, s[48:49]
	s_cbranch_vccnz .LBB78_652
; %bb.651:
	global_store_short v[0:1], v3, off
.LBB78_652:
	s_mov_b64 s[48:49], 0
.LBB78_653:
	s_andn2_b64 vcc, exec, s[48:49]
	s_cbranch_vccnz .LBB78_663
; %bb.654:
	s_andn2_b64 vcc, exec, s[28:29]
	v_mov_b32_e32 v8, 0x80
	s_cbranch_vccnz .LBB78_662
; %bb.655:
	s_andn2_b64 vcc, exec, s[26:27]
	s_cbranch_vccnz .LBB78_657
; %bb.656:
	v_bfe_u32 v3, v2, 20, 1
	s_mov_b32 s48, 0x487ffff
	v_add3_u32 v3, v2, v3, s48
	v_lshrrev_b32_e32 v3, 20, v3
	s_mov_b64 s[50:51], 0
	s_mov_b64 s[48:49], -1
	s_branch .LBB78_658
.LBB78_657:
	s_mov_b64 s[50:51], -1
	s_mov_b64 s[48:49], 0
                                        ; implicit-def: $vgpr3
.LBB78_658:
	s_andn2_b64 vcc, exec, s[50:51]
                                        ; implicit-def: $sgpr50
	s_cbranch_vccnz .LBB78_660
; %bb.659:
	s_mov_b32 s50, 0
	v_mov_b32_e32 v3, v7
	s_mov_b64 s[48:49], s[24:25]
.LBB78_660:
	s_andn2_b64 vcc, exec, s[48:49]
	v_mov_b32_e32 v8, s50
	s_cbranch_vccnz .LBB78_662
; %bb.661:
	v_lshrrev_b32_e32 v8, 24, v2
	s_movk_i32 s48, 0x80
	v_and_or_b32 v8, v8, s48, v3
.LBB78_662:
	global_store_byte v[0:1], v8, off
.LBB78_663:
	s_mov_b64 s[48:49], -1
.LBB78_664:
	s_mov_b64 s[50:51], 0
.LBB78_665:
	s_and_b64 vcc, exec, s[50:51]
	s_cbranch_vccz .LBB78_696
; %bb.666:
	v_mov_b32_e32 v3, 22
	v_cmp_gt_i16_sdwa s[52:53], s3, v3 src0_sel:BYTE_0 src1_sel:DWORD
	s_mov_b64 s[50:51], -1
	s_and_b64 vcc, exec, s[52:53]
	s_cbranch_vccz .LBB78_688
; %bb.667:
	v_mov_b32_e32 v3, 24
	v_cmp_lt_i16_sdwa s[50:51], s3, v3 src0_sel:BYTE_0 src1_sel:DWORD
	s_mov_b64 s[48:49], -1
	s_and_b64 vcc, exec, s[50:51]
	s_cbranch_vccnz .LBB78_683
; %bb.668:
	v_cmp_gt_i16_sdwa s[50:51], s3, v3 src0_sel:BYTE_0 src1_sel:DWORD
	s_and_b64 vcc, exec, s[50:51]
	s_cbranch_vccz .LBB78_678
; %bb.669:
	s_andn2_b64 vcc, exec, s[22:23]
	v_mov_b32_e32 v8, 0x80
	s_cbranch_vccnz .LBB78_677
; %bb.670:
	s_andn2_b64 vcc, exec, s[20:21]
	s_cbranch_vccnz .LBB78_672
; %bb.671:
	v_bfe_u32 v3, v2, 21, 1
	s_mov_b32 s48, 0x88fffff
	v_add3_u32 v3, v2, v3, s48
	v_lshrrev_b32_e32 v3, 21, v3
	s_mov_b64 s[50:51], 0
	s_mov_b64 s[48:49], -1
	s_branch .LBB78_673
.LBB78_672:
	s_mov_b64 s[50:51], -1
	s_mov_b64 s[48:49], 0
                                        ; implicit-def: $vgpr3
.LBB78_673:
	s_andn2_b64 vcc, exec, s[50:51]
                                        ; implicit-def: $sgpr50
	s_cbranch_vccnz .LBB78_675
; %bb.674:
	s_mov_b32 s50, 0
	v_mov_b32_e32 v3, v6
	s_mov_b64 s[48:49], s[18:19]
.LBB78_675:
	s_andn2_b64 vcc, exec, s[48:49]
	v_mov_b32_e32 v8, s50
	s_cbranch_vccnz .LBB78_677
; %bb.676:
	v_lshrrev_b32_e32 v8, 24, v2
	s_movk_i32 s48, 0x80
	v_and_or_b32 v8, v8, s48, v3
.LBB78_677:
	s_mov_b64 s[48:49], 0
	global_store_byte v[0:1], v8, off
.LBB78_678:
	s_and_b64 vcc, exec, s[48:49]
	s_cbranch_vccz .LBB78_682
; %bb.679:
	s_add_i32 s50, s33, 0xbc100000
	s_and_b64 s[48:49], s[16:17], exec
	s_cselect_b32 s48, s63, s62
	s_cmp_lt_u32 s50, 0xf8900000
	v_mov_b32_e32 v3, s48
	s_cbranch_scc1 .LBB78_681
; %bb.680:
	v_bfe_u32 v3, v2, 20, 1
	s_mov_b32 s48, 0x407ffff
	v_add3_u32 v3, v2, v3, s48
	v_lshrrev_b32_e32 v8, 20, v3
	v_and_b32_e32 v3, 0xff00000, v3
	s_mov_b32 s48, 0x7f00000
	v_mov_b32_e32 v9, 0x7e
	v_cmp_ne_u32_e32 vcc, s48, v3
	v_cndmask_b32_e32 v3, v9, v8, vcc
.LBB78_681:
	v_lshrrev_b32_e32 v8, 24, v2
	s_movk_i32 s48, 0x80
	v_and_or_b32 v3, v8, s48, v3
	global_store_byte v[0:1], v3, off
.LBB78_682:
	s_mov_b64 s[48:49], 0
.LBB78_683:
	s_andn2_b64 vcc, exec, s[48:49]
	s_cbranch_vccnz .LBB78_687
; %bb.684:
	s_add_i32 s50, s33, 0xb8800000
	s_and_b64 s[48:49], s[14:15], exec
	s_cselect_b32 s48, s61, s60
	s_cmp_lt_u32 s50, 0xf1000000
	v_mov_b32_e32 v3, s48
	s_cbranch_scc1 .LBB78_686
; %bb.685:
	v_bfe_u32 v3, v2, 21, 1
	s_mov_b32 s48, 0x80fffff
	v_add3_u32 v3, v2, v3, s48
	v_lshrrev_b32_e32 v3, 21, v3
.LBB78_686:
	v_lshrrev_b32_e32 v8, 24, v2
	s_movk_i32 s48, 0x80
	v_and_or_b32 v3, v8, s48, v3
	global_store_byte v[0:1], v3, off
.LBB78_687:
	s_mov_b64 s[50:51], 0
	s_mov_b64 s[48:49], -1
.LBB78_688:
	s_andn2_b64 vcc, exec, s[50:51]
	s_cbranch_vccnz .LBB78_696
; %bb.689:
	v_mov_b32_e32 v3, 14
	v_cmp_gt_i16_sdwa s[52:53], s3, v3 src0_sel:BYTE_0 src1_sel:DWORD
	s_mov_b64 s[50:51], -1
	s_and_b64 vcc, exec, s[52:53]
	s_cbranch_vccz .LBB78_693
; %bb.690:
	v_mov_b32_e32 v3, 15
	v_cmp_eq_u16_sdwa s[50:51], s3, v3 src0_sel:BYTE_0 src1_sel:DWORD
	s_mov_b64 s[0:1], -1
	s_and_b64 vcc, exec, s[50:51]
	s_cbranch_vccz .LBB78_692
; %bb.691:
	v_bfe_u32 v3, v2, 16, 1
	s_movk_i32 s0, 0x7fff
	v_add3_u32 v3, v2, v3, s0
	v_lshrrev_b32_e32 v3, 16, v3
	v_mov_b32_e32 v8, 0x7fc0
	v_cmp_o_f32_e32 vcc, v2, v2
	v_cndmask_b32_e32 v3, v8, v3, vcc
	global_store_short v[0:1], v3, off
	s_mov_b64 s[48:49], -1
	s_mov_b64 s[0:1], 0
.LBB78_692:
	s_mov_b64 s[50:51], 0
.LBB78_693:
	s_and_b64 vcc, exec, s[50:51]
	s_cbranch_vccz .LBB78_696
; %bb.694:
	v_mov_b32_e32 v3, 11
	v_cmp_eq_u16_sdwa s[50:51], s3, v3 src0_sel:BYTE_0 src1_sel:DWORD
	s_mov_b64 s[0:1], -1
	s_and_b64 vcc, exec, s[50:51]
	s_cbranch_vccz .LBB78_696
; %bb.695:
	v_cmp_neq_f32_e32 vcc, 0, v2
	v_cndmask_b32_e64 v3, 0, 1, vcc
	global_store_byte v[0:1], v3, off
	s_mov_b64 s[48:49], -1
	s_mov_b64 s[0:1], 0
.LBB78_696:
	s_mov_b64 s[50:51], 0
.LBB78_697:
	s_and_b64 vcc, exec, s[50:51]
	s_cbranch_vccz .LBB78_736
; %bb.698:
	v_mov_b32_e32 v3, 5
	v_cmp_lt_i16_sdwa s[50:51], s3, v3 src0_sel:BYTE_0 src1_sel:DWORD
	s_mov_b64 s[48:49], -1
	s_and_b64 vcc, exec, s[50:51]
	s_cbranch_vccnz .LBB78_719
; %bb.699:
	v_mov_b32_e32 v3, 8
	v_cmp_lt_i16_sdwa s[50:51], s3, v3 src0_sel:BYTE_0 src1_sel:DWORD
	s_and_b64 vcc, exec, s[50:51]
	s_cbranch_vccnz .LBB78_709
; %bb.700:
	v_mov_b32_e32 v3, 9
	v_cmp_lt_i16_sdwa s[50:51], s3, v3 src0_sel:BYTE_0 src1_sel:DWORD
	s_and_b64 vcc, exec, s[50:51]
	s_cbranch_vccnz .LBB78_706
; %bb.701:
	v_cmp_gt_i16_sdwa s[50:51], s3, v3 src0_sel:BYTE_0 src1_sel:DWORD
	s_and_b64 vcc, exec, s[50:51]
	s_cbranch_vccz .LBB78_703
; %bb.702:
	v_mov_b32_e32 v10, 0
	v_cvt_f64_f32_e32 v[8:9], v2
	v_mov_b32_e32 v11, v10
	s_mov_b64 s[48:49], 0
	global_store_dwordx4 v[0:1], v[8:11], off
.LBB78_703:
	s_andn2_b64 vcc, exec, s[48:49]
	s_cbranch_vccnz .LBB78_705
; %bb.704:
	v_mov_b32_e32 v3, 0
	global_store_dwordx2 v[0:1], v[2:3], off
.LBB78_705:
	s_mov_b64 s[48:49], 0
.LBB78_706:
	s_andn2_b64 vcc, exec, s[48:49]
	s_cbranch_vccnz .LBB78_708
; %bb.707:
	v_cvt_f16_f32_e32 v3, v2
	global_store_dword v[0:1], v3, off
.LBB78_708:
	s_mov_b64 s[48:49], 0
.LBB78_709:
	s_andn2_b64 vcc, exec, s[48:49]
	s_cbranch_vccnz .LBB78_718
; %bb.710:
	v_mov_b32_e32 v3, 6
	v_cmp_lt_i16_sdwa s[50:51], s3, v3 src0_sel:BYTE_0 src1_sel:DWORD
	s_mov_b64 s[48:49], -1
	s_and_b64 vcc, exec, s[50:51]
	s_cbranch_vccnz .LBB78_716
; %bb.711:
	v_cmp_gt_i16_sdwa s[50:51], s3, v3 src0_sel:BYTE_0 src1_sel:DWORD
	s_and_b64 vcc, exec, s[50:51]
	s_cbranch_vccz .LBB78_713
; %bb.712:
	v_cvt_f64_f32_e32 v[8:9], v2
	s_mov_b64 s[48:49], 0
	global_store_dwordx2 v[0:1], v[8:9], off
.LBB78_713:
	s_andn2_b64 vcc, exec, s[48:49]
	s_cbranch_vccnz .LBB78_715
; %bb.714:
	global_store_dword v[0:1], v2, off
.LBB78_715:
	s_mov_b64 s[48:49], 0
.LBB78_716:
	s_andn2_b64 vcc, exec, s[48:49]
	s_cbranch_vccnz .LBB78_718
; %bb.717:
	v_cvt_f16_f32_e32 v3, v2
	global_store_short v[0:1], v3, off
.LBB78_718:
	s_mov_b64 s[48:49], 0
.LBB78_719:
	s_andn2_b64 vcc, exec, s[48:49]
	s_cbranch_vccnz .LBB78_735
; %bb.720:
	v_mov_b32_e32 v3, 2
	v_cmp_lt_i16_sdwa s[50:51], s3, v3 src0_sel:BYTE_0 src1_sel:DWORD
	s_mov_b64 s[48:49], -1
	s_and_b64 vcc, exec, s[50:51]
	s_cbranch_vccnz .LBB78_730
; %bb.721:
	v_mov_b32_e32 v3, 3
	v_cmp_lt_i16_sdwa s[50:51], s3, v3 src0_sel:BYTE_0 src1_sel:DWORD
	s_and_b64 vcc, exec, s[50:51]
	s_cbranch_vccnz .LBB78_727
; %bb.722:
	v_cmp_gt_i16_sdwa s[50:51], s3, v3 src0_sel:BYTE_0 src1_sel:DWORD
	s_and_b64 vcc, exec, s[50:51]
	s_cbranch_vccz .LBB78_724
; %bb.723:
	v_trunc_f32_e32 v3, v2
	s_mov_b32 s48, 0x2f800000
	v_mul_f32_e64 v8, |v3|, s48
	v_floor_f32_e32 v8, v8
	s_mov_b32 s48, 0xcf800000
	v_cvt_u32_f32_e32 v9, v8
	v_fma_f32 v8, v8, s48, |v3|
	v_cvt_u32_f32_e32 v8, v8
	v_ashrrev_i32_e32 v3, 31, v3
	v_xor_b32_e32 v9, v9, v3
	s_mov_b64 s[48:49], 0
	v_xor_b32_e32 v8, v8, v3
	v_sub_co_u32_e32 v8, vcc, v8, v3
	v_subb_co_u32_e32 v9, vcc, v9, v3, vcc
	global_store_dwordx2 v[0:1], v[8:9], off
.LBB78_724:
	s_andn2_b64 vcc, exec, s[48:49]
	s_cbranch_vccnz .LBB78_726
; %bb.725:
	v_cvt_i32_f32_e32 v3, v2
	global_store_dword v[0:1], v3, off
.LBB78_726:
	s_mov_b64 s[48:49], 0
.LBB78_727:
	s_andn2_b64 vcc, exec, s[48:49]
	s_cbranch_vccnz .LBB78_729
; %bb.728:
	v_cvt_i32_f32_e32 v3, v2
	global_store_short v[0:1], v3, off
.LBB78_729:
	s_mov_b64 s[48:49], 0
.LBB78_730:
	s_andn2_b64 vcc, exec, s[48:49]
	s_cbranch_vccnz .LBB78_735
; %bb.731:
	v_mov_b32_e32 v3, 0
	v_cmp_gt_i16_sdwa s[50:51], s3, v3 src0_sel:BYTE_0 src1_sel:DWORD
	s_mov_b64 s[48:49], -1
	s_and_b64 vcc, exec, s[50:51]
	s_cbranch_vccz .LBB78_733
; %bb.732:
	v_cvt_i32_f32_e32 v3, v2
	s_mov_b64 s[48:49], 0
	global_store_byte v[0:1], v3, off
.LBB78_733:
	s_andn2_b64 vcc, exec, s[48:49]
	s_cbranch_vccnz .LBB78_735
; %bb.734:
	v_trunc_f32_e32 v2, v2
	s_mov_b32 s48, 0x2f800000
	v_mul_f32_e64 v3, |v2|, s48
	v_floor_f32_e32 v3, v3
	s_mov_b32 s48, 0xcf800000
	v_fma_f32 v3, v3, s48, |v2|
	v_cvt_u32_f32_e32 v3, v3
	v_ashrrev_i32_e32 v2, 31, v2
	v_xor_b32_e32 v3, v3, v2
	v_sub_u32_e32 v2, v3, v2
	global_store_byte v[0:1], v2, off
.LBB78_735:
	s_mov_b64 s[48:49], -1
.LBB78_736:
	s_andn2_b64 vcc, exec, s[48:49]
	s_cbranch_vccnz .LBB78_738
; %bb.737:
	v_add_u32_e32 v4, 0x80, v4
	s_mov_b64 s[50:51], -1
	s_branch .LBB78_739
.LBB78_738:
	s_mov_b64 s[50:51], 0
                                        ; implicit-def: $vgpr4
.LBB78_739:
	s_andn2_b64 s[48:49], s[40:41], exec
	s_and_b64 s[0:1], s[0:1], exec
	s_or_b64 s[48:49], s[48:49], s[0:1]
	s_andn2_b64 s[0:1], s[38:39], exec
	s_and_b64 s[46:47], s[46:47], exec
	s_or_b64 s[0:1], s[0:1], s[46:47]
	s_orn2_b64 s[52:53], s[50:51], exec
.LBB78_740:
	s_or_b64 exec, exec, s[44:45]
	s_mov_b64 s[50:51], 0
	s_mov_b64 s[46:47], 0
	;; [unrolled: 1-line block ×3, first 2 shown]
                                        ; implicit-def: $vgpr0_vgpr1
                                        ; implicit-def: $vgpr3
	s_and_saveexec_b64 s[44:45], s[52:53]
	s_cbranch_execz .LBB78_821
; %bb.741:
	v_cmp_gt_i32_e32 vcc, s56, v4
	s_mov_b64 s[52:53], 0
	s_mov_b64 s[56:57], s[0:1]
	;; [unrolled: 1-line block ×3, first 2 shown]
                                        ; implicit-def: $vgpr0_vgpr1
                                        ; implicit-def: $vgpr3
	s_and_saveexec_b64 s[46:47], vcc
	s_cbranch_execz .LBB78_820
; %bb.742:
	v_mul_lo_u32 v0, v4, s13
	v_ashrrev_i32_e32 v1, 31, v0
	s_waitcnt vmcnt(0)
	v_mov_b32_e32 v2, s11
	v_add_co_u32_e32 v0, vcc, s10, v0
	v_addc_co_u32_e32 v1, vcc, v2, v1, vcc
	v_cmp_gt_i16_e32 vcc, 11, v5
	s_cbranch_vccnz .LBB78_749
; %bb.743:
	v_cmp_lt_i16_e32 vcc, 25, v5
	s_cbranch_vccz .LBB78_750
; %bb.744:
	v_cmp_lt_i16_e32 vcc, 28, v5
	s_cbranch_vccz .LBB78_751
	;; [unrolled: 3-line block ×4, first 2 shown]
; %bb.747:
	v_cmp_eq_u16_e32 vcc, 46, v5
	s_mov_b64 s[56:57], 0
	s_cbranch_vccz .LBB78_754
; %bb.748:
	global_load_dword v2, v[0:1], off
	s_mov_b64 s[54:55], -1
	s_waitcnt vmcnt(0)
	v_lshlrev_b32_e32 v3, 16, v2
	s_branch .LBB78_756
.LBB78_749:
	s_mov_b64 s[56:57], -1
                                        ; implicit-def: $vgpr3
	s_mov_b64 s[50:51], s[0:1]
	s_branch .LBB78_819
.LBB78_750:
	s_mov_b64 s[56:57], -1
	s_mov_b64 s[50:51], s[0:1]
                                        ; implicit-def: $vgpr3
	s_branch .LBB78_785
.LBB78_751:
	s_mov_b64 s[56:57], -1
	s_mov_b64 s[50:51], s[0:1]
                                        ; implicit-def: $vgpr3
	s_branch .LBB78_766
.LBB78_752:
	s_mov_b64 s[56:57], -1
	s_mov_b64 s[50:51], s[0:1]
                                        ; implicit-def: $vgpr3
	s_branch .LBB78_761
.LBB78_753:
	s_mov_b64 s[56:57], -1
	s_mov_b64 s[50:51], s[0:1]
	s_branch .LBB78_755
.LBB78_754:
	s_mov_b64 s[50:51], -1
.LBB78_755:
                                        ; implicit-def: $vgpr3
.LBB78_756:
	s_and_b64 vcc, exec, s[56:57]
	s_cbranch_vccz .LBB78_760
; %bb.757:
	v_cmp_eq_u16_e32 vcc, 44, v5
	s_cbranch_vccz .LBB78_759
; %bb.758:
	global_load_ubyte v2, v[0:1], off
	s_movk_i32 s54, 0xff
	v_mov_b32_e32 v3, 0x7f800001
	v_mov_b32_e32 v8, 0x400000
	s_mov_b64 s[50:51], 0
	s_waitcnt vmcnt(0)
	v_lshlrev_b32_e32 v9, 23, v2
	v_cmp_ne_u32_e32 vcc, s54, v2
	v_cndmask_b32_e32 v3, v3, v9, vcc
	v_cmp_ne_u32_e32 vcc, 0, v2
	v_cndmask_b32_e32 v3, v8, v3, vcc
	s_mov_b64 s[54:55], -1
	s_branch .LBB78_760
.LBB78_759:
	s_mov_b64 s[50:51], -1
                                        ; implicit-def: $vgpr3
.LBB78_760:
	s_mov_b64 s[56:57], 0
.LBB78_761:
	s_and_b64 vcc, exec, s[56:57]
	s_cbranch_vccz .LBB78_765
; %bb.762:
	v_cmp_eq_u16_e32 vcc, 29, v5
	s_cbranch_vccz .LBB78_764
; %bb.763:
	global_load_dwordx2 v[2:3], v[0:1], off
	s_mov_b64 s[50:51], 0
	s_mov_b64 s[54:55], -1
	s_mov_b64 s[56:57], 0
	s_waitcnt vmcnt(0)
	v_ffbh_u32_e32 v8, v3
	v_min_u32_e32 v8, 32, v8
	v_lshlrev_b64 v[2:3], v8, v[2:3]
	v_min_u32_e32 v2, 1, v2
	v_or_b32_e32 v2, v3, v2
	v_cvt_f32_u32_e32 v2, v2
	v_sub_u32_e32 v3, 32, v8
	v_ldexp_f32 v3, v2, v3
	s_branch .LBB78_766
.LBB78_764:
	s_mov_b64 s[50:51], -1
                                        ; implicit-def: $vgpr3
.LBB78_765:
	s_mov_b64 s[56:57], 0
.LBB78_766:
	s_and_b64 vcc, exec, s[56:57]
	s_cbranch_vccz .LBB78_784
; %bb.767:
	v_cmp_gt_i16_e32 vcc, 27, v5
	s_cbranch_vccnz .LBB78_770
; %bb.768:
	v_cmp_lt_i16_e32 vcc, 27, v5
	s_cbranch_vccz .LBB78_771
; %bb.769:
	global_load_dword v2, v[0:1], off
	s_mov_b64 s[54:55], 0
	s_waitcnt vmcnt(0)
	v_cvt_f32_u32_e32 v3, v2
	s_branch .LBB78_772
.LBB78_770:
	s_mov_b64 s[54:55], -1
                                        ; implicit-def: $vgpr3
	s_branch .LBB78_775
.LBB78_771:
	s_mov_b64 s[54:55], -1
                                        ; implicit-def: $vgpr3
.LBB78_772:
	s_andn2_b64 vcc, exec, s[54:55]
	s_cbranch_vccnz .LBB78_774
; %bb.773:
	global_load_ushort v2, v[0:1], off
	s_waitcnt vmcnt(0)
	v_cvt_f32_u32_e32 v3, v2
.LBB78_774:
	s_mov_b64 s[54:55], 0
.LBB78_775:
	s_andn2_b64 vcc, exec, s[54:55]
	s_cbranch_vccnz .LBB78_783
; %bb.776:
	global_load_ubyte v2, v[0:1], off
	s_movk_i32 s54, 0x7f
                                        ; implicit-def: $sgpr64
	s_waitcnt vmcnt(0)
	v_cmp_lt_i16_e32 vcc, s54, v2
	s_mov_b64 s[54:55], 0
	s_and_saveexec_b64 s[56:57], vcc
	s_xor_b64 s[56:57], exec, s[56:57]
	s_cbranch_execz .LBB78_797
; %bb.777:
	s_movk_i32 s54, 0x80
	v_cmp_eq_u16_e32 vcc, s54, v2
	s_mov_b64 s[54:55], -1
                                        ; implicit-def: $sgpr64
	s_and_saveexec_b64 s[58:59], vcc
; %bb.778:
	s_mov_b32 s64, 0x7f800001
	s_xor_b64 s[54:55], exec, -1
; %bb.779:
	s_or_b64 exec, exec, s[58:59]
	s_and_b64 s[54:55], s[54:55], exec
	s_or_saveexec_b64 s[56:57], s[56:57]
	v_mov_b32_e32 v3, s64
	s_xor_b64 exec, exec, s[56:57]
	s_cbranch_execnz .LBB78_798
.LBB78_780:
	s_or_b64 exec, exec, s[56:57]
	s_and_saveexec_b64 s[56:57], s[54:55]
	s_cbranch_execz .LBB78_782
.LBB78_781:
	v_lshlrev_b32_e32 v3, 24, v2
	v_and_b32_e32 v2, 0xffff, v2
	v_and_b32_e32 v8, 7, v2
	v_ffbh_u32_e32 v10, v8
	v_min_u32_e32 v10, 32, v10
	v_subrev_u32_e32 v11, 28, v10
	v_bfe_u32 v9, v2, 3, 4
	v_lshlrev_b32_e32 v2, v11, v2
	v_sub_u32_e32 v10, 29, v10
	v_and_b32_e32 v2, 7, v2
	v_cmp_eq_u32_e32 vcc, 0, v9
	v_cndmask_b32_e32 v9, v9, v10, vcc
	v_cndmask_b32_e32 v2, v8, v2, vcc
	v_mov_b32_e32 v8, 0x3b800000
	v_lshlrev_b32_e32 v2, 20, v2
	v_and_b32_e32 v3, 0x80000000, v3
	v_lshl_add_u32 v8, v9, 23, v8
	v_or3_b32 v3, v3, v8, v2
.LBB78_782:
	s_or_b64 exec, exec, s[56:57]
.LBB78_783:
	s_mov_b64 s[54:55], -1
.LBB78_784:
	s_mov_b64 s[56:57], 0
.LBB78_785:
	s_and_b64 vcc, exec, s[56:57]
	s_cbranch_vccz .LBB78_818
; %bb.786:
	v_cmp_lt_i16_e32 vcc, 22, v5
	s_cbranch_vccz .LBB78_796
; %bb.787:
	v_cmp_gt_i16_e32 vcc, 24, v5
	s_cbranch_vccnz .LBB78_799
; %bb.788:
	v_cmp_lt_i16_e32 vcc, 24, v5
	s_cbranch_vccz .LBB78_800
; %bb.789:
	global_load_ubyte v2, v[0:1], off
	s_movk_i32 s52, 0x7f
                                        ; implicit-def: $sgpr58
	s_waitcnt vmcnt(0)
	v_cmp_lt_i16_e32 vcc, s52, v2
	s_mov_b64 s[52:53], 0
	s_and_saveexec_b64 s[54:55], vcc
	s_xor_b64 s[54:55], exec, s[54:55]
	s_cbranch_execz .LBB78_812
; %bb.790:
	s_movk_i32 s52, 0x80
	v_cmp_eq_u16_e32 vcc, s52, v2
	s_mov_b64 s[52:53], -1
                                        ; implicit-def: $sgpr58
	s_and_saveexec_b64 s[56:57], vcc
; %bb.791:
	s_mov_b32 s58, 0x7f800001
	s_xor_b64 s[52:53], exec, -1
; %bb.792:
	s_or_b64 exec, exec, s[56:57]
	s_and_b64 s[52:53], s[52:53], exec
	s_or_saveexec_b64 s[54:55], s[54:55]
	v_mov_b32_e32 v3, s58
	s_xor_b64 exec, exec, s[54:55]
	s_cbranch_execnz .LBB78_813
.LBB78_793:
	s_or_b64 exec, exec, s[54:55]
	s_and_saveexec_b64 s[54:55], s[52:53]
	s_cbranch_execz .LBB78_795
.LBB78_794:
	v_lshlrev_b32_e32 v3, 24, v2
	v_and_b32_e32 v2, 0xffff, v2
	v_and_b32_e32 v8, 3, v2
	v_ffbh_u32_e32 v10, v8
	v_min_u32_e32 v10, 32, v10
	v_subrev_u32_e32 v11, 29, v10
	v_bfe_u32 v9, v2, 2, 5
	v_lshlrev_b32_e32 v2, v11, v2
	v_sub_u32_e32 v10, 30, v10
	v_and_b32_e32 v2, 3, v2
	v_cmp_eq_u32_e32 vcc, 0, v9
	v_cndmask_b32_e32 v9, v9, v10, vcc
	v_cndmask_b32_e32 v2, v8, v2, vcc
	v_mov_b32_e32 v8, 0x37800000
	v_lshlrev_b32_e32 v2, 21, v2
	v_and_b32_e32 v3, 0x80000000, v3
	v_lshl_add_u32 v8, v9, 23, v8
	v_or3_b32 v3, v3, v8, v2
.LBB78_795:
	s_or_b64 exec, exec, s[54:55]
	s_mov_b64 s[52:53], 0
	s_branch .LBB78_801
.LBB78_796:
	s_mov_b64 s[52:53], -1
                                        ; implicit-def: $vgpr3
	s_branch .LBB78_807
.LBB78_797:
	s_or_saveexec_b64 s[56:57], s[56:57]
	v_mov_b32_e32 v3, s64
	s_xor_b64 exec, exec, s[56:57]
	s_cbranch_execz .LBB78_780
.LBB78_798:
	v_cmp_ne_u16_e32 vcc, 0, v2
	s_andn2_b64 s[54:55], s[54:55], exec
	s_and_b64 s[58:59], vcc, exec
	v_mov_b32_e32 v3, 0
	s_or_b64 s[54:55], s[54:55], s[58:59]
	s_or_b64 exec, exec, s[56:57]
	s_and_saveexec_b64 s[56:57], s[54:55]
	s_cbranch_execnz .LBB78_781
	s_branch .LBB78_782
.LBB78_799:
	s_mov_b64 s[52:53], -1
                                        ; implicit-def: $vgpr3
	s_branch .LBB78_804
.LBB78_800:
	s_mov_b64 s[52:53], -1
                                        ; implicit-def: $vgpr3
.LBB78_801:
	s_and_b64 vcc, exec, s[52:53]
	s_cbranch_vccz .LBB78_803
; %bb.802:
	global_load_ubyte v2, v[0:1], off
	s_mov_b32 s52, 0x7f800000
	s_waitcnt vmcnt(0)
	v_lshlrev_b32_e32 v2, 24, v2
	v_and_b32_e32 v3, 0x7f000000, v2
	v_ffbh_u32_e32 v8, v3
	v_min_u32_e32 v8, 32, v8
	v_sub_u32_e64 v8, v8, 4 clamp
	v_lshlrev_b32_e32 v10, v8, v3
	v_lshlrev_b32_e32 v8, 23, v8
	v_lshrrev_b32_e32 v10, 4, v10
	v_add_u32_e32 v9, 0x1000000, v3
	v_sub_u32_e32 v8, v10, v8
	v_ashrrev_i32_e32 v9, 8, v9
	v_add_u32_e32 v8, 0x3c000000, v8
	v_and_or_b32 v8, v9, s52, v8
	v_cmp_ne_u32_e32 vcc, 0, v3
	v_cndmask_b32_e32 v3, 0, v8, vcc
	s_brev_b32 s52, 1
	v_and_or_b32 v3, v2, s52, v3
.LBB78_803:
	s_mov_b64 s[52:53], 0
.LBB78_804:
	s_andn2_b64 vcc, exec, s[52:53]
	s_cbranch_vccnz .LBB78_806
; %bb.805:
	global_load_ubyte v2, v[0:1], off
	s_movk_i32 s52, 0x7f00
	s_brev_b32 s53, 16
	s_waitcnt vmcnt(0)
	v_lshlrev_b16_e32 v3, 8, v2
	v_lshlrev_b32_e32 v2, 25, v2
	v_lshrrev_b32_e32 v8, 4, v2
	v_and_or_b32 v9, v3, s52, 0.5
	v_or_b32_e32 v8, 0x70000000, v8
	v_add_f32_e32 v9, -0.5, v9
	v_mul_f32_e32 v8, 0x7800000, v8
	v_cmp_gt_u32_e32 vcc, s53, v2
	v_bfe_i32 v3, v3, 0, 16
	v_cndmask_b32_e32 v2, v8, v9, vcc
	s_brev_b32 s52, 1
	v_and_or_b32 v3, v3, s52, v2
.LBB78_806:
	s_mov_b64 s[52:53], 0
	s_mov_b64 s[54:55], -1
.LBB78_807:
	s_andn2_b64 vcc, exec, s[52:53]
	s_mov_b64 s[52:53], 0
	s_cbranch_vccnz .LBB78_818
; %bb.808:
	v_cmp_lt_i16_e32 vcc, 14, v5
	s_cbranch_vccz .LBB78_811
; %bb.809:
	v_cmp_eq_u16_e32 vcc, 15, v5
	s_cbranch_vccz .LBB78_814
; %bb.810:
	global_load_ushort v2, v[0:1], off
	s_mov_b64 s[50:51], 0
	s_mov_b64 s[54:55], -1
	s_waitcnt vmcnt(0)
	v_lshlrev_b32_e32 v3, 16, v2
	s_branch .LBB78_815
.LBB78_811:
	s_mov_b64 s[56:57], -1
                                        ; implicit-def: $vgpr3
	s_branch .LBB78_816
.LBB78_812:
	s_or_saveexec_b64 s[54:55], s[54:55]
	v_mov_b32_e32 v3, s58
	s_xor_b64 exec, exec, s[54:55]
	s_cbranch_execz .LBB78_793
.LBB78_813:
	v_cmp_ne_u16_e32 vcc, 0, v2
	s_andn2_b64 s[52:53], s[52:53], exec
	s_and_b64 s[56:57], vcc, exec
	v_mov_b32_e32 v3, 0
	s_or_b64 s[52:53], s[52:53], s[56:57]
	s_or_b64 exec, exec, s[54:55]
	s_and_saveexec_b64 s[54:55], s[52:53]
	s_cbranch_execnz .LBB78_794
	s_branch .LBB78_795
.LBB78_814:
	s_mov_b64 s[50:51], -1
                                        ; implicit-def: $vgpr3
.LBB78_815:
	s_mov_b64 s[56:57], 0
.LBB78_816:
	s_and_b64 vcc, exec, s[56:57]
	s_cbranch_vccz .LBB78_818
; %bb.817:
	v_cmp_ne_u16_e32 vcc, 11, v5
	s_andn2_b64 s[50:51], s[50:51], exec
	s_and_b64 s[56:57], vcc, exec
	s_mov_b64 s[52:53], -1
	s_or_b64 s[50:51], s[50:51], s[56:57]
                                        ; implicit-def: $vgpr3
.LBB78_818:
	s_mov_b64 s[56:57], 0
.LBB78_819:
	s_and_b64 s[58:59], s[56:57], exec
	s_andn2_b64 s[56:57], s[0:1], exec
	s_and_b64 s[50:51], s[50:51], exec
	s_and_b64 s[54:55], s[54:55], exec
	;; [unrolled: 1-line block ×3, first 2 shown]
	s_or_b64 s[56:57], s[56:57], s[50:51]
.LBB78_820:
	s_or_b64 exec, exec, s[46:47]
	s_and_b64 s[50:51], s[52:53], exec
	s_andn2_b64 s[0:1], s[0:1], exec
	s_and_b64 s[52:53], s[56:57], exec
	s_and_b64 s[54:55], s[54:55], exec
	;; [unrolled: 1-line block ×3, first 2 shown]
	s_or_b64 s[0:1], s[0:1], s[52:53]
.LBB78_821:
	s_or_b64 exec, exec, s[44:45]
	s_andn2_b64 s[40:41], s[40:41], exec
	s_and_b64 s[44:45], s[48:49], exec
	s_andn2_b64 s[38:39], s[38:39], exec
	s_and_b64 s[0:1], s[0:1], exec
	s_or_b64 s[40:41], s[40:41], s[44:45]
	s_and_b64 s[48:49], s[54:55], exec
	s_and_b64 s[46:47], s[46:47], exec
	;; [unrolled: 1-line block ×3, first 2 shown]
	s_or_b64 s[38:39], s[38:39], s[0:1]
.LBB78_822:
	s_or_b64 exec, exec, s[42:43]
	s_andn2_b64 s[0:1], s[30:31], exec
	s_and_b64 s[30:31], s[40:41], exec
	s_andn2_b64 s[34:35], s[34:35], exec
	s_and_b64 s[38:39], s[38:39], exec
	s_or_b64 s[30:31], s[0:1], s[30:31]
	s_and_b64 s[0:1], s[48:49], exec
	s_and_b64 s[42:43], s[46:47], exec
	;; [unrolled: 1-line block ×3, first 2 shown]
	s_or_b64 s[34:35], s[34:35], s[38:39]
	s_or_b64 exec, exec, s[36:37]
	s_mov_b64 s[36:37], 0
	s_and_saveexec_b64 s[38:39], s[34:35]
	s_cbranch_execz .LBB78_254
.LBB78_823:
	s_mov_b64 s[36:37], exec
	s_andn2_b64 s[40:41], s[40:41], exec
	s_trap 2
                                        ; implicit-def: $vgpr3
	s_or_b64 exec, exec, s[38:39]
	s_and_saveexec_b64 s[34:35], s[40:41]
	s_xor_b64 s[34:35], exec, s[34:35]
	s_cbranch_execnz .LBB78_255
.LBB78_824:
	s_or_b64 exec, exec, s[34:35]
	s_and_saveexec_b64 s[34:35], s[42:43]
	s_cbranch_execz .LBB78_870
.LBB78_825:
	v_cmp_gt_i16_e32 vcc, 5, v5
	s_cbranch_vccnz .LBB78_830
; %bb.826:
	v_cmp_gt_i16_e32 vcc, 8, v5
	s_cbranch_vccnz .LBB78_831
; %bb.827:
	;; [unrolled: 3-line block ×3, first 2 shown]
	v_cmp_lt_i16_e32 vcc, 9, v5
	s_cbranch_vccz .LBB78_833
; %bb.829:
	global_load_dwordx2 v[2:3], v[0:1], off
	s_mov_b64 s[38:39], 0
	s_waitcnt vmcnt(0)
	v_cvt_f32_f64_e32 v3, v[2:3]
	s_branch .LBB78_834
.LBB78_830:
                                        ; implicit-def: $vgpr3
	s_branch .LBB78_851
.LBB78_831:
                                        ; implicit-def: $vgpr3
	s_branch .LBB78_840
.LBB78_832:
	s_mov_b64 s[38:39], -1
                                        ; implicit-def: $vgpr3
	s_branch .LBB78_837
.LBB78_833:
	s_mov_b64 s[38:39], -1
                                        ; implicit-def: $vgpr3
.LBB78_834:
	s_andn2_b64 vcc, exec, s[38:39]
	s_cbranch_vccnz .LBB78_836
; %bb.835:
	global_load_dword v3, v[0:1], off
.LBB78_836:
	s_mov_b64 s[38:39], 0
.LBB78_837:
	s_andn2_b64 vcc, exec, s[38:39]
	s_cbranch_vccnz .LBB78_839
; %bb.838:
	global_load_dword v2, v[0:1], off
	s_waitcnt vmcnt(0)
	v_cvt_f32_f16_e32 v3, v2
.LBB78_839:
	s_cbranch_execnz .LBB78_850
.LBB78_840:
	v_cmp_gt_i16_e32 vcc, 6, v5
	s_cbranch_vccnz .LBB78_843
; %bb.841:
	v_cmp_lt_i16_e32 vcc, 6, v5
	s_cbranch_vccz .LBB78_844
; %bb.842:
	global_load_dwordx2 v[2:3], v[0:1], off
	s_mov_b64 s[38:39], 0
	s_waitcnt vmcnt(0)
	v_cvt_f32_f64_e32 v3, v[2:3]
	s_branch .LBB78_845
.LBB78_843:
	s_mov_b64 s[38:39], -1
                                        ; implicit-def: $vgpr3
	s_branch .LBB78_848
.LBB78_844:
	s_mov_b64 s[38:39], -1
                                        ; implicit-def: $vgpr3
.LBB78_845:
	s_andn2_b64 vcc, exec, s[38:39]
	s_cbranch_vccnz .LBB78_847
; %bb.846:
	global_load_dword v3, v[0:1], off
.LBB78_847:
	s_mov_b64 s[38:39], 0
.LBB78_848:
	s_andn2_b64 vcc, exec, s[38:39]
	s_cbranch_vccnz .LBB78_850
; %bb.849:
	global_load_ushort v2, v[0:1], off
	s_waitcnt vmcnt(0)
	v_cvt_f32_f16_e32 v3, v2
.LBB78_850:
	s_cbranch_execnz .LBB78_869
.LBB78_851:
	v_cmp_gt_i16_e32 vcc, 2, v5
	s_cbranch_vccnz .LBB78_855
; %bb.852:
	v_cmp_gt_i16_e32 vcc, 3, v5
	s_cbranch_vccnz .LBB78_856
; %bb.853:
	v_cmp_lt_i16_e32 vcc, 3, v5
	s_cbranch_vccz .LBB78_857
; %bb.854:
	global_load_dwordx2 v[2:3], v[0:1], off
	s_mov_b64 s[38:39], 0
	s_waitcnt vmcnt(0)
	v_xor_b32_e32 v9, v2, v3
	v_ffbh_i32_e32 v8, v3
	v_ashrrev_i32_e32 v9, 31, v9
	v_add_u32_e32 v8, -1, v8
	v_add_u32_e32 v9, 32, v9
	v_min_u32_e32 v8, v8, v9
	v_lshlrev_b64 v[2:3], v8, v[2:3]
	v_min_u32_e32 v2, 1, v2
	v_or_b32_e32 v2, v3, v2
	v_cvt_f32_i32_e32 v2, v2
	v_sub_u32_e32 v3, 32, v8
	v_ldexp_f32 v3, v2, v3
	s_branch .LBB78_858
.LBB78_855:
                                        ; implicit-def: $vgpr3
	s_branch .LBB78_864
.LBB78_856:
	s_mov_b64 s[38:39], -1
                                        ; implicit-def: $vgpr3
	s_branch .LBB78_861
.LBB78_857:
	s_mov_b64 s[38:39], -1
                                        ; implicit-def: $vgpr3
.LBB78_858:
	s_andn2_b64 vcc, exec, s[38:39]
	s_cbranch_vccnz .LBB78_860
; %bb.859:
	global_load_dword v2, v[0:1], off
	s_waitcnt vmcnt(0)
	v_cvt_f32_i32_e32 v3, v2
.LBB78_860:
	s_mov_b64 s[38:39], 0
.LBB78_861:
	s_andn2_b64 vcc, exec, s[38:39]
	s_cbranch_vccnz .LBB78_863
; %bb.862:
	global_load_sshort v2, v[0:1], off
	s_waitcnt vmcnt(0)
	v_cvt_f32_i32_e32 v3, v2
.LBB78_863:
	s_cbranch_execnz .LBB78_869
.LBB78_864:
	v_cmp_lt_i16_e32 vcc, 0, v5
	s_cbranch_vccz .LBB78_866
; %bb.865:
	global_load_sbyte v2, v[0:1], off
	s_mov_b64 s[38:39], 0
	s_waitcnt vmcnt(0)
	v_cvt_f32_i32_e32 v3, v2
	s_branch .LBB78_867
.LBB78_866:
	s_mov_b64 s[38:39], -1
                                        ; implicit-def: $vgpr3
.LBB78_867:
	s_andn2_b64 vcc, exec, s[38:39]
	s_cbranch_vccnz .LBB78_869
; %bb.868:
	global_load_ubyte v0, v[0:1], off
	s_waitcnt vmcnt(0)
	v_cvt_f32_ubyte0_e32 v3, v0
.LBB78_869:
	s_or_b64 s[0:1], s[0:1], exec
.LBB78_870:
	s_or_b64 exec, exec, s[34:35]
	s_mov_b64 s[40:41], 0
	s_mov_b64 s[38:39], 0
                                        ; implicit-def: $vgpr5
                                        ; implicit-def: $vgpr0_vgpr1
                                        ; implicit-def: $vgpr2
	s_and_saveexec_b64 s[34:35], s[0:1]
	s_cbranch_execz .LBB78_888
; %bb.871:
	s_brev_b32 s0, -2
	v_mov_b32_e32 v0, s2
	s_waitcnt vmcnt(0)
	v_bfi_b32 v2, s0, v0, v3
	v_mul_lo_u32 v0, v4, s12
	v_ashrrev_i32_e32 v1, 31, v0
	v_mov_b32_e32 v3, s9
	v_add_co_u32_e32 v0, vcc, s8, v0
	v_addc_co_u32_e32 v1, vcc, v3, v1, vcc
	v_mov_b32_e32 v3, 0xff
	v_and_b32_e32 v5, s3, v3
	v_cmp_gt_i16_e32 vcc, 11, v5
	s_cbranch_vccnz .LBB78_891
; %bb.872:
	v_cmp_lt_i16_e32 vcc, 25, v5
	s_mov_b64 s[38:39], -1
	s_mov_b64 s[0:1], s[30:31]
	s_cbranch_vccz .LBB78_911
; %bb.873:
	v_cmp_lt_i16_e32 vcc, 28, v5
	s_mov_b64 s[0:1], s[30:31]
	s_cbranch_vccz .LBB78_893
; %bb.874:
	v_cmp_lt_i16_e32 vcc, 43, v5
	;; [unrolled: 4-line block ×3, first 2 shown]
	s_mov_b64 s[0:1], s[30:31]
	s_cbranch_vccz .LBB78_879
; %bb.876:
	v_cmp_eq_u16_e32 vcc, 46, v5
	s_mov_b64 s[0:1], -1
	s_cbranch_vccz .LBB78_878
; %bb.877:
	v_bfe_u32 v3, v2, 16, 1
	s_movk_i32 s0, 0x7fff
	v_add3_u32 v3, v2, v3, s0
	v_lshrrev_b32_e32 v3, 16, v3
	v_mov_b32_e32 v4, 0x7fc0
	v_cmp_o_f32_e32 vcc, v2, v2
	v_cndmask_b32_e32 v3, v4, v3, vcc
	global_store_dword v[0:1], v3, off
	s_mov_b64 s[0:1], 0
.LBB78_878:
	s_mov_b64 s[38:39], 0
.LBB78_879:
	s_and_b64 vcc, exec, s[38:39]
	s_cbranch_vccz .LBB78_884
; %bb.880:
	v_cmp_eq_u16_e32 vcc, 44, v5
	s_mov_b64 s[0:1], -1
	s_cbranch_vccz .LBB78_884
; %bb.881:
	v_bfe_u32 v3, v2, 23, 8
	s_movk_i32 s0, 0xff
	v_cmp_ne_u32_e32 vcc, s0, v3
	v_mov_b32_e32 v4, 0xff
	s_and_saveexec_b64 s[38:39], vcc
; %bb.882:
	s_mov_b32 s0, 0x3fffff
	v_and_b32_e32 v8, 0x400000, v2
	v_and_or_b32 v3, v2, s0, v3
	v_cmp_ne_u32_e32 vcc, 0, v8
	v_cmp_ne_u32_e64 s[0:1], 0, v3
	s_and_b64 s[0:1], vcc, s[0:1]
	v_lshrrev_b32_e32 v4, 23, v2
	v_cndmask_b32_e64 v3, 0, 1, s[0:1]
	v_add_u32_e32 v4, v4, v3
; %bb.883:
	s_or_b64 exec, exec, s[38:39]
	s_mov_b64 s[0:1], 0
	global_store_byte v[0:1], v4, off
.LBB78_884:
	s_mov_b64 s[38:39], 0
.LBB78_885:
	s_and_b64 vcc, exec, s[38:39]
	s_cbranch_vccz .LBB78_892
; %bb.886:
	v_cmp_eq_u16_e32 vcc, 29, v5
	s_mov_b64 s[0:1], -1
	s_cbranch_vccz .LBB78_892
; %bb.887:
	v_trunc_f32_e32 v3, v2
	v_mul_f32_e32 v4, 0x2f800000, v3
	v_floor_f32_e32 v4, v4
	v_fmac_f32_e32 v3, 0xcf800000, v4
	v_cvt_u32_f32_e32 v9, v4
	v_cvt_u32_f32_e32 v8, v3
	s_mov_b64 s[0:1], 0
	s_mov_b64 s[38:39], 0
	global_store_dwordx2 v[0:1], v[8:9], off
	s_branch .LBB78_893
.LBB78_888:
	s_or_b64 exec, exec, s[34:35]
	s_and_saveexec_b64 s[0:1], s[30:31]
	s_cbranch_execnz .LBB78_943
.LBB78_889:
	s_or_b64 exec, exec, s[0:1]
	s_and_saveexec_b64 s[0:1], s[40:41]
	s_xor_b64 s[0:1], exec, s[0:1]
	s_cbranch_execz .LBB78_944
.LBB78_890:
	s_waitcnt vmcnt(0)
	v_cmp_neq_f32_e32 vcc, 0, v2
	v_cndmask_b32_e64 v3, 0, 1, vcc
	global_store_byte v[0:1], v3, off
	s_or_b64 exec, exec, s[0:1]
	s_and_saveexec_b64 s[0:1], s[38:39]
	s_xor_b64 s[0:1], exec, s[0:1]
	s_cbranch_execz .LBB78_982
	s_branch .LBB78_945
.LBB78_891:
	s_mov_b64 s[14:15], 0
	s_mov_b64 s[24:25], -1
	s_mov_b64 s[0:1], s[30:31]
	s_branch .LBB78_942
.LBB78_892:
	s_mov_b64 s[38:39], 0
.LBB78_893:
	s_and_b64 vcc, exec, s[38:39]
	s_cbranch_vccz .LBB78_910
; %bb.894:
	v_cmp_gt_i16_e32 vcc, 27, v5
	s_mov_b64 s[38:39], -1
	s_cbranch_vccnz .LBB78_900
; %bb.895:
	v_cvt_u32_f32_e32 v3, v2
	v_cmp_lt_i16_e32 vcc, 27, v5
	s_cbranch_vccz .LBB78_897
; %bb.896:
	s_mov_b64 s[38:39], 0
	global_store_dword v[0:1], v3, off
.LBB78_897:
	s_andn2_b64 vcc, exec, s[38:39]
	s_cbranch_vccnz .LBB78_899
; %bb.898:
	global_store_short v[0:1], v3, off
.LBB78_899:
	s_mov_b64 s[38:39], 0
.LBB78_900:
	s_andn2_b64 vcc, exec, s[38:39]
	s_cbranch_vccnz .LBB78_910
; %bb.901:
	s_andn2_b64 vcc, exec, s[28:29]
	v_mov_b32_e32 v4, 0x80
	s_cbranch_vccnz .LBB78_909
; %bb.902:
	s_andn2_b64 vcc, exec, s[26:27]
	s_cbranch_vccnz .LBB78_904
; %bb.903:
	v_bfe_u32 v3, v2, 20, 1
	s_mov_b32 s26, 0x487ffff
	v_add3_u32 v3, v2, v3, s26
	v_lshrrev_b32_e32 v3, 20, v3
	s_mov_b64 s[28:29], 0
	s_mov_b64 s[26:27], -1
	s_branch .LBB78_905
.LBB78_904:
	s_mov_b64 s[28:29], -1
	s_mov_b64 s[26:27], 0
                                        ; implicit-def: $vgpr3
.LBB78_905:
	s_andn2_b64 vcc, exec, s[28:29]
                                        ; implicit-def: $sgpr28
	s_cbranch_vccnz .LBB78_907
; %bb.906:
	s_mov_b32 s28, 0
	v_mov_b32_e32 v3, v7
	s_mov_b64 s[26:27], s[24:25]
.LBB78_907:
	s_andn2_b64 vcc, exec, s[26:27]
	v_mov_b32_e32 v4, s28
	s_cbranch_vccnz .LBB78_909
; %bb.908:
	v_lshrrev_b32_e32 v4, 24, v2
	s_movk_i32 s24, 0x80
	v_and_or_b32 v4, v4, s24, v3
.LBB78_909:
	global_store_byte v[0:1], v4, off
.LBB78_910:
	s_mov_b64 s[38:39], 0
.LBB78_911:
	s_mov_b64 s[24:25], 0
	s_and_b64 vcc, exec, s[38:39]
	s_cbranch_vccz .LBB78_918
; %bb.912:
	v_cmp_lt_i16_e32 vcc, 22, v5
	s_mov_b64 s[26:27], -1
	s_cbranch_vccz .LBB78_935
; %bb.913:
	v_cmp_gt_i16_e32 vcc, 24, v5
	s_cbranch_vccnz .LBB78_930
; %bb.914:
	v_cmp_lt_i16_e32 vcc, 24, v5
	s_cbranch_vccz .LBB78_925
; %bb.915:
	s_andn2_b64 vcc, exec, s[22:23]
	v_mov_b32_e32 v4, 0x80
	s_cbranch_vccnz .LBB78_924
; %bb.916:
	s_andn2_b64 vcc, exec, s[20:21]
	s_cbranch_vccnz .LBB78_919
; %bb.917:
	v_bfe_u32 v3, v2, 21, 1
	s_mov_b32 s20, 0x88fffff
	v_add3_u32 v3, v2, v3, s20
	v_lshrrev_b32_e32 v3, 21, v3
	s_mov_b64 s[22:23], 0
	s_mov_b64 s[20:21], -1
	s_branch .LBB78_920
.LBB78_918:
	s_mov_b64 s[14:15], 0
	s_branch .LBB78_942
.LBB78_919:
	s_mov_b64 s[22:23], -1
	s_mov_b64 s[20:21], 0
                                        ; implicit-def: $vgpr3
.LBB78_920:
	s_andn2_b64 vcc, exec, s[22:23]
                                        ; implicit-def: $sgpr22
	s_cbranch_vccnz .LBB78_922
; %bb.921:
	s_mov_b32 s22, 0
	v_mov_b32_e32 v3, v6
	s_mov_b64 s[20:21], s[18:19]
.LBB78_922:
	s_andn2_b64 vcc, exec, s[20:21]
	v_mov_b32_e32 v4, s22
	s_cbranch_vccnz .LBB78_924
; %bb.923:
	v_lshrrev_b32_e32 v4, 24, v2
	s_movk_i32 s18, 0x80
	v_and_or_b32 v4, v4, s18, v3
.LBB78_924:
	s_mov_b64 s[26:27], 0
	global_store_byte v[0:1], v4, off
.LBB78_925:
	s_and_b64 vcc, exec, s[26:27]
	s_cbranch_vccz .LBB78_929
; %bb.926:
	s_add_i32 s18, s33, 0xbc100000
	s_and_b64 s[16:17], s[16:17], exec
	s_cselect_b32 s16, s63, s62
	s_cmp_lt_u32 s18, 0xf8900000
	v_mov_b32_e32 v3, s16
	s_cbranch_scc1 .LBB78_928
; %bb.927:
	v_bfe_u32 v3, v2, 20, 1
	s_mov_b32 s16, 0x407ffff
	v_add3_u32 v3, v2, v3, s16
	v_lshrrev_b32_e32 v4, 20, v3
	v_and_b32_e32 v3, 0xff00000, v3
	s_mov_b32 s16, 0x7f00000
	v_mov_b32_e32 v6, 0x7e
	v_cmp_ne_u32_e32 vcc, s16, v3
	v_cndmask_b32_e32 v3, v6, v4, vcc
.LBB78_928:
	v_lshrrev_b32_e32 v4, 24, v2
	s_movk_i32 s16, 0x80
	v_and_or_b32 v3, v4, s16, v3
	global_store_byte v[0:1], v3, off
.LBB78_929:
	s_mov_b64 s[26:27], 0
.LBB78_930:
	s_andn2_b64 vcc, exec, s[26:27]
	s_cbranch_vccnz .LBB78_934
; %bb.931:
	s_add_i32 s33, s33, 0xb8800000
	s_and_b64 s[14:15], s[14:15], exec
	s_cselect_b32 s14, s61, s60
	s_cmp_lt_u32 s33, 0xf1000000
	v_mov_b32_e32 v3, s14
	s_cbranch_scc1 .LBB78_933
; %bb.932:
	v_bfe_u32 v3, v2, 21, 1
	s_mov_b32 s14, 0x80fffff
	v_add3_u32 v3, v2, v3, s14
	v_lshrrev_b32_e32 v3, 21, v3
.LBB78_933:
	v_lshrrev_b32_e32 v4, 24, v2
	s_movk_i32 s14, 0x80
	v_and_or_b32 v3, v4, s14, v3
	global_store_byte v[0:1], v3, off
.LBB78_934:
	s_mov_b64 s[26:27], 0
.LBB78_935:
	s_andn2_b64 vcc, exec, s[26:27]
	s_mov_b64 s[14:15], 0
	s_cbranch_vccnz .LBB78_942
; %bb.936:
	v_cmp_lt_i16_e32 vcc, 14, v5
	s_mov_b64 s[16:17], -1
	s_cbranch_vccz .LBB78_940
; %bb.937:
	v_cmp_eq_u16_e32 vcc, 15, v5
	s_mov_b64 s[0:1], -1
	s_cbranch_vccz .LBB78_939
; %bb.938:
	v_bfe_u32 v3, v2, 16, 1
	s_movk_i32 s0, 0x7fff
	v_add3_u32 v3, v2, v3, s0
	v_lshrrev_b32_e32 v3, 16, v3
	v_mov_b32_e32 v4, 0x7fc0
	v_cmp_o_f32_e32 vcc, v2, v2
	v_cndmask_b32_e32 v3, v4, v3, vcc
	global_store_short v[0:1], v3, off
	s_mov_b64 s[0:1], 0
.LBB78_939:
	s_mov_b64 s[16:17], 0
.LBB78_940:
	s_and_b64 vcc, exec, s[16:17]
	s_cbranch_vccz .LBB78_942
; %bb.941:
	v_cmp_ne_u16_e32 vcc, 11, v5
	s_andn2_b64 s[0:1], s[0:1], exec
	s_and_b64 s[16:17], vcc, exec
	s_mov_b64 s[14:15], -1
	s_or_b64 s[0:1], s[0:1], s[16:17]
.LBB78_942:
	s_and_b64 s[40:41], s[14:15], exec
	s_andn2_b64 s[14:15], s[30:31], exec
	s_and_b64 s[0:1], s[0:1], exec
	s_and_b64 s[38:39], s[24:25], exec
	s_or_b64 s[30:31], s[14:15], s[0:1]
	s_or_b64 exec, exec, s[34:35]
	s_and_saveexec_b64 s[0:1], s[30:31]
	s_cbranch_execz .LBB78_889
.LBB78_943:
	s_or_b64 s[36:37], s[36:37], exec
	s_andn2_b64 s[40:41], s[40:41], exec
	s_trap 2
	s_or_b64 exec, exec, s[0:1]
	s_and_saveexec_b64 s[0:1], s[40:41]
	s_xor_b64 s[0:1], exec, s[0:1]
	s_cbranch_execnz .LBB78_890
.LBB78_944:
	s_or_b64 exec, exec, s[0:1]
	s_and_saveexec_b64 s[0:1], s[38:39]
	s_xor_b64 s[0:1], exec, s[0:1]
	s_cbranch_execz .LBB78_982
.LBB78_945:
	v_cmp_gt_i16_e32 vcc, 5, v5
	s_mov_b64 s[14:15], -1
	s_cbranch_vccnz .LBB78_966
; %bb.946:
	v_cmp_gt_i16_e32 vcc, 8, v5
	s_cbranch_vccnz .LBB78_956
; %bb.947:
	v_cmp_gt_i16_e32 vcc, 9, v5
	s_cbranch_vccnz .LBB78_953
; %bb.948:
	v_cmp_lt_i16_e32 vcc, 9, v5
	s_cbranch_vccz .LBB78_950
; %bb.949:
	v_mov_b32_e32 v8, 0
	s_waitcnt vmcnt(0)
	v_cvt_f64_f32_e32 v[6:7], v2
	v_mov_b32_e32 v9, v8
	s_mov_b64 s[14:15], 0
	global_store_dwordx4 v[0:1], v[6:9], off
.LBB78_950:
	s_andn2_b64 vcc, exec, s[14:15]
	s_cbranch_vccnz .LBB78_952
; %bb.951:
	s_waitcnt vmcnt(0)
	v_mov_b32_e32 v3, 0
	global_store_dwordx2 v[0:1], v[2:3], off
.LBB78_952:
	s_mov_b64 s[14:15], 0
.LBB78_953:
	s_andn2_b64 vcc, exec, s[14:15]
	s_cbranch_vccnz .LBB78_955
; %bb.954:
	s_waitcnt vmcnt(0)
	v_cvt_f16_f32_e32 v3, v2
	global_store_dword v[0:1], v3, off
.LBB78_955:
	s_mov_b64 s[14:15], 0
.LBB78_956:
	s_andn2_b64 vcc, exec, s[14:15]
	s_cbranch_vccnz .LBB78_965
; %bb.957:
	v_cmp_gt_i16_e32 vcc, 6, v5
	s_mov_b64 s[14:15], -1
	s_cbranch_vccnz .LBB78_963
; %bb.958:
	v_cmp_lt_i16_e32 vcc, 6, v5
	s_cbranch_vccz .LBB78_960
; %bb.959:
	s_waitcnt vmcnt(0)
	v_cvt_f64_f32_e32 v[6:7], v2
	s_mov_b64 s[14:15], 0
	global_store_dwordx2 v[0:1], v[6:7], off
.LBB78_960:
	s_andn2_b64 vcc, exec, s[14:15]
	s_cbranch_vccnz .LBB78_962
; %bb.961:
	s_waitcnt vmcnt(0)
	global_store_dword v[0:1], v2, off
.LBB78_962:
	s_mov_b64 s[14:15], 0
.LBB78_963:
	s_andn2_b64 vcc, exec, s[14:15]
	s_cbranch_vccnz .LBB78_965
; %bb.964:
	s_waitcnt vmcnt(0)
	v_cvt_f16_f32_e32 v3, v2
	global_store_short v[0:1], v3, off
.LBB78_965:
	s_mov_b64 s[14:15], 0
.LBB78_966:
	s_andn2_b64 vcc, exec, s[14:15]
	s_cbranch_vccnz .LBB78_982
; %bb.967:
	v_cmp_gt_i16_e32 vcc, 2, v5
	s_mov_b64 s[14:15], -1
	s_cbranch_vccnz .LBB78_977
; %bb.968:
	v_cmp_gt_i16_e32 vcc, 3, v5
	s_cbranch_vccnz .LBB78_974
; %bb.969:
	v_cmp_lt_i16_e32 vcc, 3, v5
	s_cbranch_vccz .LBB78_971
; %bb.970:
	s_waitcnt vmcnt(0)
	v_trunc_f32_e32 v3, v2
	s_mov_b32 s14, 0x2f800000
	v_mul_f32_e64 v4, |v3|, s14
	v_floor_f32_e32 v4, v4
	s_mov_b32 s14, 0xcf800000
	v_cvt_u32_f32_e32 v6, v4
	v_fma_f32 v4, v4, s14, |v3|
	v_cvt_u32_f32_e32 v4, v4
	v_ashrrev_i32_e32 v3, 31, v3
	v_xor_b32_e32 v7, v6, v3
	s_mov_b64 s[14:15], 0
	v_xor_b32_e32 v4, v4, v3
	v_sub_co_u32_e32 v6, vcc, v4, v3
	v_subb_co_u32_e32 v7, vcc, v7, v3, vcc
	global_store_dwordx2 v[0:1], v[6:7], off
.LBB78_971:
	s_andn2_b64 vcc, exec, s[14:15]
	s_cbranch_vccnz .LBB78_973
; %bb.972:
	s_waitcnt vmcnt(0)
	v_cvt_i32_f32_e32 v3, v2
	global_store_dword v[0:1], v3, off
.LBB78_973:
	s_mov_b64 s[14:15], 0
.LBB78_974:
	s_andn2_b64 vcc, exec, s[14:15]
	s_cbranch_vccnz .LBB78_976
; %bb.975:
	s_waitcnt vmcnt(0)
	v_cvt_i32_f32_e32 v3, v2
	global_store_short v[0:1], v3, off
.LBB78_976:
	s_mov_b64 s[14:15], 0
.LBB78_977:
	s_andn2_b64 vcc, exec, s[14:15]
	s_cbranch_vccnz .LBB78_982
; %bb.978:
	v_cmp_lt_i16_e32 vcc, 0, v5
	s_mov_b64 s[14:15], -1
	s_cbranch_vccz .LBB78_980
; %bb.979:
	s_waitcnt vmcnt(0)
	v_cvt_i32_f32_e32 v3, v2
	s_mov_b64 s[14:15], 0
	global_store_byte v[0:1], v3, off
.LBB78_980:
	s_andn2_b64 vcc, exec, s[14:15]
	s_cbranch_vccnz .LBB78_982
; %bb.981:
	s_waitcnt vmcnt(0)
	v_trunc_f32_e32 v2, v2
	s_mov_b32 s14, 0x2f800000
	v_mul_f32_e64 v3, |v2|, s14
	v_floor_f32_e32 v3, v3
	s_mov_b32 s14, 0xcf800000
	v_fma_f32 v3, v3, s14, |v2|
	v_cvt_u32_f32_e32 v3, v3
	v_ashrrev_i32_e32 v2, 31, v2
	v_xor_b32_e32 v3, v3, v2
	v_sub_u32_e32 v2, v3, v2
	global_store_byte v[0:1], v2, off
.LBB78_982:
	s_or_b64 exec, exec, s[0:1]
	s_and_b64 s[14:15], s[36:37], exec
                                        ; implicit-def: $vgpr4
                                        ; implicit-def: $vgpr5
.LBB78_983:
	s_or_saveexec_b64 s[6:7], s[6:7]
	s_mov_b64 s[0:1], 0
                                        ; implicit-def: $vgpr6
                                        ; implicit-def: $vgpr0_vgpr1
                                        ; implicit-def: $vgpr2
	s_xor_b64 exec, exec, s[6:7]
	s_cbranch_execz .LBB78_1916
; %bb.984:
	s_waitcnt vmcnt(0)
	v_mul_lo_u32 v3, s13, v4
	v_ashrrev_i32_e32 v1, 31, v3
	v_mov_b32_e32 v2, s11
	v_add_co_u32_e32 v0, vcc, s10, v3
	v_addc_co_u32_e32 v1, vcc, v2, v1, vcc
	v_cmp_gt_i16_e64 s[0:1], 11, v5
	s_and_b64 vcc, exec, s[0:1]
	s_cbranch_vccnz .LBB78_991
; %bb.985:
	v_cmp_lt_i16_e32 vcc, 25, v5
	s_mov_b64 s[18:19], 0
	s_cbranch_vccz .LBB78_993
; %bb.986:
	v_cmp_lt_i16_e32 vcc, 28, v5
	s_cbranch_vccz .LBB78_994
; %bb.987:
	v_cmp_lt_i16_e32 vcc, 43, v5
	;; [unrolled: 3-line block ×3, first 2 shown]
	s_cbranch_vccz .LBB78_996
; %bb.989:
	v_cmp_eq_u16_e32 vcc, 46, v5
	s_mov_b64 s[16:17], 0
	s_cbranch_vccz .LBB78_997
; %bb.990:
	global_load_dword v2, v[0:1], off
	s_mov_b64 s[20:21], -1
	s_waitcnt vmcnt(0)
	v_lshlrev_b32_e32 v2, 16, v2
	s_branch .LBB78_998
.LBB78_991:
	s_mov_b64 s[20:21], 0
                                        ; implicit-def: $vgpr2
	s_mov_b64 s[16:17], s[14:15]
	s_cbranch_execnz .LBB78_1061
.LBB78_992:
	s_andn2_b64 vcc, exec, s[20:21]
	s_cbranch_vccz .LBB78_1106
	s_branch .LBB78_1914
.LBB78_993:
	s_mov_b64 s[20:21], 0
                                        ; implicit-def: $vgpr2
	s_cbranch_execnz .LBB78_1026
	s_branch .LBB78_1057
.LBB78_994:
	s_mov_b64 s[16:17], -1
	s_mov_b64 s[20:21], 0
                                        ; implicit-def: $vgpr2
	s_branch .LBB78_1007
.LBB78_995:
	s_mov_b64 s[20:21], 0
                                        ; implicit-def: $vgpr2
	s_cbranch_execnz .LBB78_1003
	s_branch .LBB78_1006
.LBB78_996:
	s_mov_b64 s[16:17], -1
	s_mov_b64 s[20:21], 0
                                        ; implicit-def: $vgpr2
	s_branch .LBB78_998
.LBB78_997:
	s_mov_b64 s[4:5], -1
                                        ; implicit-def: $vgpr2
	s_mov_b64 s[20:21], 0
.LBB78_998:
	s_and_b64 vcc, exec, s[16:17]
	s_cbranch_vccz .LBB78_1001
; %bb.999:
	v_cmp_eq_u16_e32 vcc, 44, v5
	s_cbranch_vccz .LBB78_1002
; %bb.1000:
	global_load_ubyte v2, v[0:1], off
	s_movk_i32 s16, 0xff
	v_mov_b32_e32 v6, 0x7f800001
	v_mov_b32_e32 v7, 0x400000
	s_mov_b64 s[4:5], 0
	s_mov_b64 s[20:21], -1
	s_waitcnt vmcnt(0)
	v_lshlrev_b32_e32 v8, 23, v2
	v_cmp_ne_u32_e32 vcc, s16, v2
	v_cndmask_b32_e32 v6, v6, v8, vcc
	v_cmp_ne_u32_e32 vcc, 0, v2
	v_cndmask_b32_e32 v2, v7, v6, vcc
.LBB78_1001:
	s_branch .LBB78_1006
.LBB78_1002:
	s_mov_b64 s[4:5], -1
                                        ; implicit-def: $vgpr2
	s_branch .LBB78_1006
.LBB78_1003:
	v_cmp_eq_u16_e32 vcc, 29, v5
	s_cbranch_vccz .LBB78_1005
; %bb.1004:
	global_load_dwordx2 v[6:7], v[0:1], off
	s_mov_b64 s[4:5], 0
	s_mov_b64 s[20:21], -1
	s_mov_b64 s[16:17], 0
	s_waitcnt vmcnt(0)
	v_ffbh_u32_e32 v2, v7
	v_min_u32_e32 v2, 32, v2
	v_lshlrev_b64 v[6:7], v2, v[6:7]
	v_min_u32_e32 v6, 1, v6
	v_or_b32_e32 v6, v7, v6
	v_cvt_f32_u32_e32 v6, v6
	v_sub_u32_e32 v2, 32, v2
	v_ldexp_f32 v2, v6, v2
	s_branch .LBB78_1007
.LBB78_1005:
	s_mov_b64 s[4:5], -1
                                        ; implicit-def: $vgpr2
.LBB78_1006:
	s_mov_b64 s[16:17], 0
.LBB78_1007:
	s_and_b64 vcc, exec, s[16:17]
	s_cbranch_vccz .LBB78_1025
; %bb.1008:
	v_cmp_gt_i16_e32 vcc, 27, v5
	s_cbranch_vccnz .LBB78_1011
; %bb.1009:
	v_cmp_lt_i16_e32 vcc, 27, v5
	s_cbranch_vccz .LBB78_1012
; %bb.1010:
	global_load_dword v2, v[0:1], off
	s_mov_b64 s[16:17], 0
	s_waitcnt vmcnt(0)
	v_cvt_f32_u32_e32 v2, v2
	s_branch .LBB78_1013
.LBB78_1011:
	s_mov_b64 s[16:17], -1
                                        ; implicit-def: $vgpr2
	s_branch .LBB78_1016
.LBB78_1012:
	s_mov_b64 s[16:17], -1
                                        ; implicit-def: $vgpr2
.LBB78_1013:
	s_andn2_b64 vcc, exec, s[16:17]
	s_cbranch_vccnz .LBB78_1015
; %bb.1014:
	global_load_ushort v2, v[0:1], off
	s_waitcnt vmcnt(0)
	v_cvt_f32_u32_e32 v2, v2
.LBB78_1015:
	s_mov_b64 s[16:17], 0
.LBB78_1016:
	s_andn2_b64 vcc, exec, s[16:17]
	s_cbranch_vccnz .LBB78_1024
; %bb.1017:
	global_load_ubyte v6, v[0:1], off
	s_movk_i32 s16, 0x7f
                                        ; implicit-def: $sgpr24
	s_waitcnt vmcnt(0)
	v_cmp_lt_i16_e32 vcc, s16, v6
	s_mov_b64 s[16:17], 0
	s_and_saveexec_b64 s[20:21], vcc
	s_xor_b64 s[20:21], exec, s[20:21]
	s_cbranch_execz .LBB78_1037
; %bb.1018:
	s_movk_i32 s16, 0x80
	v_cmp_eq_u16_e32 vcc, s16, v6
	s_mov_b64 s[16:17], -1
                                        ; implicit-def: $sgpr24
	s_and_saveexec_b64 s[22:23], vcc
; %bb.1019:
	s_mov_b32 s24, 0x7f800001
	s_xor_b64 s[16:17], exec, -1
; %bb.1020:
	s_or_b64 exec, exec, s[22:23]
	s_and_b64 s[16:17], s[16:17], exec
	s_or_saveexec_b64 s[20:21], s[20:21]
	v_mov_b32_e32 v2, s24
	s_xor_b64 exec, exec, s[20:21]
	s_cbranch_execnz .LBB78_1038
.LBB78_1021:
	s_or_b64 exec, exec, s[20:21]
	s_and_saveexec_b64 s[20:21], s[16:17]
	s_cbranch_execz .LBB78_1023
.LBB78_1022:
	v_lshlrev_b32_e32 v2, 24, v6
	v_and_b32_e32 v6, 0xffff, v6
	v_and_b32_e32 v7, 7, v6
	v_ffbh_u32_e32 v9, v7
	v_min_u32_e32 v9, 32, v9
	v_subrev_u32_e32 v10, 28, v9
	v_bfe_u32 v8, v6, 3, 4
	v_lshlrev_b32_e32 v6, v10, v6
	v_sub_u32_e32 v9, 29, v9
	v_and_b32_e32 v6, 7, v6
	v_cmp_eq_u32_e32 vcc, 0, v8
	v_cndmask_b32_e32 v8, v8, v9, vcc
	v_cndmask_b32_e32 v6, v7, v6, vcc
	v_mov_b32_e32 v7, 0x3b800000
	v_lshlrev_b32_e32 v6, 20, v6
	v_and_b32_e32 v2, 0x80000000, v2
	v_lshl_add_u32 v7, v8, 23, v7
	v_or3_b32 v2, v2, v7, v6
.LBB78_1023:
	s_or_b64 exec, exec, s[20:21]
.LBB78_1024:
	s_mov_b64 s[20:21], -1
.LBB78_1025:
	s_branch .LBB78_1057
.LBB78_1026:
	v_cmp_lt_i16_e32 vcc, 22, v5
	s_cbranch_vccz .LBB78_1036
; %bb.1027:
	v_cmp_gt_i16_e32 vcc, 24, v5
	s_cbranch_vccnz .LBB78_1039
; %bb.1028:
	v_cmp_lt_i16_e32 vcc, 24, v5
	s_cbranch_vccz .LBB78_1040
; %bb.1029:
	global_load_ubyte v6, v[0:1], off
	s_movk_i32 s16, 0x7f
                                        ; implicit-def: $sgpr22
	s_waitcnt vmcnt(0)
	v_cmp_lt_i16_e32 vcc, s16, v6
	s_mov_b64 s[16:17], 0
	s_and_saveexec_b64 s[18:19], vcc
	s_xor_b64 s[18:19], exec, s[18:19]
	s_cbranch_execz .LBB78_1051
; %bb.1030:
	s_movk_i32 s16, 0x80
	v_cmp_eq_u16_e32 vcc, s16, v6
	s_mov_b64 s[16:17], -1
                                        ; implicit-def: $sgpr22
	s_and_saveexec_b64 s[20:21], vcc
; %bb.1031:
	s_mov_b32 s22, 0x7f800001
	s_xor_b64 s[16:17], exec, -1
; %bb.1032:
	s_or_b64 exec, exec, s[20:21]
	s_and_b64 s[16:17], s[16:17], exec
	s_or_saveexec_b64 s[18:19], s[18:19]
	v_mov_b32_e32 v2, s22
	s_xor_b64 exec, exec, s[18:19]
	s_cbranch_execnz .LBB78_1052
.LBB78_1033:
	s_or_b64 exec, exec, s[18:19]
	s_and_saveexec_b64 s[18:19], s[16:17]
	s_cbranch_execz .LBB78_1035
.LBB78_1034:
	v_lshlrev_b32_e32 v2, 24, v6
	v_and_b32_e32 v6, 0xffff, v6
	v_and_b32_e32 v7, 3, v6
	v_ffbh_u32_e32 v9, v7
	v_min_u32_e32 v9, 32, v9
	v_subrev_u32_e32 v10, 29, v9
	v_bfe_u32 v8, v6, 2, 5
	v_lshlrev_b32_e32 v6, v10, v6
	v_sub_u32_e32 v9, 30, v9
	v_and_b32_e32 v6, 3, v6
	v_cmp_eq_u32_e32 vcc, 0, v8
	v_cndmask_b32_e32 v8, v8, v9, vcc
	v_cndmask_b32_e32 v6, v7, v6, vcc
	v_mov_b32_e32 v7, 0x37800000
	v_lshlrev_b32_e32 v6, 21, v6
	v_and_b32_e32 v2, 0x80000000, v2
	v_lshl_add_u32 v7, v8, 23, v7
	v_or3_b32 v2, v2, v7, v6
.LBB78_1035:
	s_or_b64 exec, exec, s[18:19]
	s_mov_b64 s[16:17], 0
	s_branch .LBB78_1041
.LBB78_1036:
                                        ; implicit-def: $vgpr2
	s_mov_b64 s[18:19], 0
	s_branch .LBB78_1047
.LBB78_1037:
	s_or_saveexec_b64 s[20:21], s[20:21]
	v_mov_b32_e32 v2, s24
	s_xor_b64 exec, exec, s[20:21]
	s_cbranch_execz .LBB78_1021
.LBB78_1038:
	v_cmp_ne_u16_e32 vcc, 0, v6
	s_andn2_b64 s[16:17], s[16:17], exec
	s_and_b64 s[22:23], vcc, exec
	v_mov_b32_e32 v2, 0
	s_or_b64 s[16:17], s[16:17], s[22:23]
	s_or_b64 exec, exec, s[20:21]
	s_and_saveexec_b64 s[20:21], s[16:17]
	s_cbranch_execnz .LBB78_1022
	s_branch .LBB78_1023
.LBB78_1039:
	s_mov_b64 s[16:17], -1
                                        ; implicit-def: $vgpr2
	s_branch .LBB78_1044
.LBB78_1040:
	s_mov_b64 s[16:17], -1
                                        ; implicit-def: $vgpr2
.LBB78_1041:
	s_and_b64 vcc, exec, s[16:17]
	s_cbranch_vccz .LBB78_1043
; %bb.1042:
	global_load_ubyte v2, v[0:1], off
	s_mov_b32 s16, 0x7f800000
	s_waitcnt vmcnt(0)
	v_lshlrev_b32_e32 v2, 24, v2
	v_and_b32_e32 v6, 0x7f000000, v2
	v_ffbh_u32_e32 v7, v6
	v_min_u32_e32 v7, 32, v7
	v_sub_u32_e64 v7, v7, 4 clamp
	v_lshlrev_b32_e32 v9, v7, v6
	v_lshlrev_b32_e32 v7, 23, v7
	v_lshrrev_b32_e32 v9, 4, v9
	v_add_u32_e32 v8, 0x1000000, v6
	v_sub_u32_e32 v7, v9, v7
	v_ashrrev_i32_e32 v8, 8, v8
	v_add_u32_e32 v7, 0x3c000000, v7
	v_and_or_b32 v7, v8, s16, v7
	v_cmp_ne_u32_e32 vcc, 0, v6
	v_cndmask_b32_e32 v6, 0, v7, vcc
	s_brev_b32 s16, 1
	v_and_or_b32 v2, v2, s16, v6
.LBB78_1043:
	s_mov_b64 s[16:17], 0
.LBB78_1044:
	s_andn2_b64 vcc, exec, s[16:17]
	s_cbranch_vccnz .LBB78_1046
; %bb.1045:
	global_load_ubyte v2, v[0:1], off
	s_movk_i32 s16, 0x7f00
	s_brev_b32 s17, 16
	s_waitcnt vmcnt(0)
	v_lshlrev_b16_e32 v6, 8, v2
	v_lshlrev_b32_e32 v2, 25, v2
	v_lshrrev_b32_e32 v7, 4, v2
	v_and_or_b32 v8, v6, s16, 0.5
	v_or_b32_e32 v7, 0x70000000, v7
	v_add_f32_e32 v8, -0.5, v8
	v_mul_f32_e32 v7, 0x7800000, v7
	v_cmp_gt_u32_e32 vcc, s17, v2
	v_bfe_i32 v6, v6, 0, 16
	v_cndmask_b32_e32 v2, v7, v8, vcc
	s_brev_b32 s16, 1
	v_and_or_b32 v2, v6, s16, v2
.LBB78_1046:
	s_mov_b64 s[20:21], -1
	s_mov_b64 s[18:19], 0
	s_cbranch_execnz .LBB78_1057
.LBB78_1047:
	v_cmp_lt_i16_e32 vcc, 14, v5
	s_cbranch_vccz .LBB78_1050
; %bb.1048:
	v_cmp_eq_u16_e32 vcc, 15, v5
	s_cbranch_vccz .LBB78_1053
; %bb.1049:
	global_load_ushort v2, v[0:1], off
	s_mov_b64 s[4:5], 0
	s_mov_b64 s[20:21], -1
	s_waitcnt vmcnt(0)
	v_lshlrev_b32_e32 v2, 16, v2
	s_branch .LBB78_1054
.LBB78_1050:
	s_mov_b64 s[16:17], -1
                                        ; implicit-def: $vgpr2
	s_branch .LBB78_1055
.LBB78_1051:
	s_or_saveexec_b64 s[18:19], s[18:19]
	v_mov_b32_e32 v2, s22
	s_xor_b64 exec, exec, s[18:19]
	s_cbranch_execz .LBB78_1033
.LBB78_1052:
	v_cmp_ne_u16_e32 vcc, 0, v6
	s_andn2_b64 s[16:17], s[16:17], exec
	s_and_b64 s[20:21], vcc, exec
	v_mov_b32_e32 v2, 0
	s_or_b64 s[16:17], s[16:17], s[20:21]
	s_or_b64 exec, exec, s[18:19]
	s_and_saveexec_b64 s[18:19], s[16:17]
	s_cbranch_execnz .LBB78_1034
	s_branch .LBB78_1035
.LBB78_1053:
	s_mov_b64 s[4:5], -1
                                        ; implicit-def: $vgpr2
.LBB78_1054:
	s_mov_b64 s[16:17], 0
.LBB78_1055:
	s_and_b64 vcc, exec, s[16:17]
	s_cbranch_vccz .LBB78_1057
; %bb.1056:
	v_cmp_ne_u16_e64 s[4:5], 11, v5
	s_mov_b64 s[18:19], -1
                                        ; implicit-def: $vgpr2
.LBB78_1057:
	s_and_b64 vcc, exec, s[4:5]
	s_mov_b64 s[16:17], s[14:15]
	s_cbranch_vccnz .LBB78_1118
; %bb.1058:
	s_andn2_b64 vcc, exec, s[18:19]
	s_cbranch_vccnz .LBB78_1060
.LBB78_1059:
	global_load_ubyte v2, v[0:1], off
	s_mov_b64 s[20:21], -1
	s_waitcnt vmcnt(0)
	v_cmp_ne_u16_e32 vcc, 0, v2
	v_cndmask_b32_e64 v2, 0, 1.0, vcc
.LBB78_1060:
	s_branch .LBB78_992
.LBB78_1061:
	v_cmp_gt_i16_e32 vcc, 5, v5
	s_cbranch_vccnz .LBB78_1066
; %bb.1062:
	v_cmp_gt_i16_e32 vcc, 8, v5
	s_cbranch_vccnz .LBB78_1067
; %bb.1063:
	v_cmp_gt_i16_e32 vcc, 9, v5
	s_cbranch_vccnz .LBB78_1068
; %bb.1064:
	v_cmp_lt_i16_e32 vcc, 9, v5
	s_cbranch_vccz .LBB78_1069
; %bb.1065:
	global_load_dwordx2 v[6:7], v[0:1], off
	s_mov_b64 s[4:5], 0
	s_waitcnt vmcnt(0)
	v_cvt_f32_f64_e32 v2, v[6:7]
	s_branch .LBB78_1070
.LBB78_1066:
                                        ; implicit-def: $vgpr2
	s_branch .LBB78_1087
.LBB78_1067:
                                        ; implicit-def: $vgpr2
	s_branch .LBB78_1076
.LBB78_1068:
	s_mov_b64 s[4:5], -1
                                        ; implicit-def: $vgpr2
	s_branch .LBB78_1073
.LBB78_1069:
	s_mov_b64 s[4:5], -1
                                        ; implicit-def: $vgpr2
.LBB78_1070:
	s_andn2_b64 vcc, exec, s[4:5]
	s_cbranch_vccnz .LBB78_1072
; %bb.1071:
	global_load_dword v2, v[0:1], off
.LBB78_1072:
	s_mov_b64 s[4:5], 0
.LBB78_1073:
	s_andn2_b64 vcc, exec, s[4:5]
	s_cbranch_vccnz .LBB78_1075
; %bb.1074:
	global_load_dword v2, v[0:1], off
	s_waitcnt vmcnt(0)
	v_cvt_f32_f16_e32 v2, v2
.LBB78_1075:
	s_cbranch_execnz .LBB78_1086
.LBB78_1076:
	v_cmp_gt_i16_e32 vcc, 6, v5
	s_cbranch_vccnz .LBB78_1079
; %bb.1077:
	v_cmp_lt_i16_e32 vcc, 6, v5
	s_cbranch_vccz .LBB78_1080
; %bb.1078:
	global_load_dwordx2 v[6:7], v[0:1], off
	s_mov_b64 s[4:5], 0
	s_waitcnt vmcnt(0)
	v_cvt_f32_f64_e32 v2, v[6:7]
	s_branch .LBB78_1081
.LBB78_1079:
	s_mov_b64 s[4:5], -1
                                        ; implicit-def: $vgpr2
	s_branch .LBB78_1084
.LBB78_1080:
	s_mov_b64 s[4:5], -1
                                        ; implicit-def: $vgpr2
.LBB78_1081:
	s_andn2_b64 vcc, exec, s[4:5]
	s_cbranch_vccnz .LBB78_1083
; %bb.1082:
	global_load_dword v2, v[0:1], off
.LBB78_1083:
	s_mov_b64 s[4:5], 0
.LBB78_1084:
	s_andn2_b64 vcc, exec, s[4:5]
	s_cbranch_vccnz .LBB78_1086
; %bb.1085:
	global_load_ushort v2, v[0:1], off
	s_waitcnt vmcnt(0)
	v_cvt_f32_f16_e32 v2, v2
.LBB78_1086:
	s_cbranch_execnz .LBB78_1105
.LBB78_1087:
	v_cmp_gt_i16_e32 vcc, 2, v5
	s_cbranch_vccnz .LBB78_1091
; %bb.1088:
	v_cmp_gt_i16_e32 vcc, 3, v5
	s_cbranch_vccnz .LBB78_1092
; %bb.1089:
	v_cmp_lt_i16_e32 vcc, 3, v5
	s_cbranch_vccz .LBB78_1093
; %bb.1090:
	global_load_dwordx2 v[6:7], v[0:1], off
	s_mov_b64 s[4:5], 0
	s_waitcnt vmcnt(0)
	v_xor_b32_e32 v8, v6, v7
	v_ffbh_i32_e32 v2, v7
	v_ashrrev_i32_e32 v8, 31, v8
	v_add_u32_e32 v2, -1, v2
	v_add_u32_e32 v8, 32, v8
	v_min_u32_e32 v2, v2, v8
	v_lshlrev_b64 v[6:7], v2, v[6:7]
	v_min_u32_e32 v6, 1, v6
	v_or_b32_e32 v6, v7, v6
	v_cvt_f32_i32_e32 v6, v6
	v_sub_u32_e32 v2, 32, v2
	v_ldexp_f32 v2, v6, v2
	s_branch .LBB78_1094
.LBB78_1091:
                                        ; implicit-def: $vgpr2
	s_branch .LBB78_1100
.LBB78_1092:
	s_mov_b64 s[4:5], -1
                                        ; implicit-def: $vgpr2
	s_branch .LBB78_1097
.LBB78_1093:
	s_mov_b64 s[4:5], -1
                                        ; implicit-def: $vgpr2
.LBB78_1094:
	s_andn2_b64 vcc, exec, s[4:5]
	s_cbranch_vccnz .LBB78_1096
; %bb.1095:
	global_load_dword v2, v[0:1], off
	s_waitcnt vmcnt(0)
	v_cvt_f32_i32_e32 v2, v2
.LBB78_1096:
	s_mov_b64 s[4:5], 0
.LBB78_1097:
	s_andn2_b64 vcc, exec, s[4:5]
	s_cbranch_vccnz .LBB78_1099
; %bb.1098:
	global_load_sshort v2, v[0:1], off
	s_waitcnt vmcnt(0)
	v_cvt_f32_i32_e32 v2, v2
.LBB78_1099:
	s_cbranch_execnz .LBB78_1105
.LBB78_1100:
	v_cmp_lt_i16_e32 vcc, 0, v5
	s_cbranch_vccz .LBB78_1102
; %bb.1101:
	global_load_sbyte v2, v[0:1], off
	s_mov_b64 s[4:5], 0
	s_waitcnt vmcnt(0)
	v_cvt_f32_i32_e32 v2, v2
	s_branch .LBB78_1103
.LBB78_1102:
	s_mov_b64 s[4:5], -1
                                        ; implicit-def: $vgpr2
.LBB78_1103:
	s_andn2_b64 vcc, exec, s[4:5]
	s_cbranch_vccnz .LBB78_1105
; %bb.1104:
	global_load_ubyte v0, v[0:1], off
	s_waitcnt vmcnt(0)
	v_cvt_f32_ubyte0_e32 v2, v0
.LBB78_1105:
.LBB78_1106:
	s_lshl_b32 s13, s13, 7
	v_add_u32_e32 v3, s13, v3
	v_ashrrev_i32_e32 v1, 31, v3
	v_mov_b32_e32 v6, s11
	v_add_co_u32_e32 v0, vcc, s10, v3
	v_addc_co_u32_e32 v1, vcc, v6, v1, vcc
	s_and_b64 vcc, exec, s[0:1]
	s_cbranch_vccnz .LBB78_1113
; %bb.1107:
	v_cmp_lt_i16_e32 vcc, 25, v5
	s_mov_b64 s[18:19], 0
	s_cbranch_vccz .LBB78_1115
; %bb.1108:
	v_cmp_lt_i16_e32 vcc, 28, v5
	s_cbranch_vccz .LBB78_1116
; %bb.1109:
	v_cmp_lt_i16_e32 vcc, 43, v5
	;; [unrolled: 3-line block ×3, first 2 shown]
	s_cbranch_vccz .LBB78_1119
; %bb.1111:
	v_cmp_eq_u16_e32 vcc, 46, v5
	s_mov_b64 s[22:23], 0
	s_cbranch_vccz .LBB78_1120
; %bb.1112:
	global_load_dword v6, v[0:1], off
	s_mov_b64 s[4:5], 0
	s_mov_b64 s[20:21], -1
	s_waitcnt vmcnt(0)
	v_lshlrev_b32_e32 v6, 16, v6
	s_branch .LBB78_1121
.LBB78_1113:
	s_mov_b64 s[20:21], 0
                                        ; implicit-def: $vgpr6
	s_cbranch_execnz .LBB78_1186
.LBB78_1114:
	s_andn2_b64 vcc, exec, s[20:21]
	s_cbranch_vccnz .LBB78_1914
	s_branch .LBB78_1233
.LBB78_1115:
	s_mov_b64 s[20:21], 0
	s_mov_b64 s[4:5], 0
                                        ; implicit-def: $vgpr6
	s_cbranch_execnz .LBB78_1150
	s_branch .LBB78_1182
.LBB78_1116:
	s_mov_b64 s[22:23], -1
	s_mov_b64 s[20:21], 0
	s_mov_b64 s[4:5], 0
                                        ; implicit-def: $vgpr6
	s_branch .LBB78_1131
.LBB78_1117:
	s_mov_b64 s[22:23], -1
	s_mov_b64 s[20:21], 0
	s_mov_b64 s[4:5], 0
                                        ; implicit-def: $vgpr6
	s_branch .LBB78_1126
.LBB78_1118:
	s_or_b64 s[16:17], s[14:15], exec
	s_trap 2
                                        ; implicit-def: $vgpr2
	s_cbranch_execz .LBB78_1059
	s_branch .LBB78_1060
.LBB78_1119:
	s_mov_b64 s[22:23], -1
	s_mov_b64 s[20:21], 0
	s_mov_b64 s[4:5], 0
                                        ; implicit-def: $vgpr6
	s_branch .LBB78_1121
.LBB78_1120:
	s_mov_b64 s[4:5], -1
                                        ; implicit-def: $vgpr6
	s_mov_b64 s[20:21], 0
.LBB78_1121:
	s_and_b64 vcc, exec, s[22:23]
	s_cbranch_vccz .LBB78_1125
; %bb.1122:
	v_cmp_eq_u16_e32 vcc, 44, v5
	s_cbranch_vccz .LBB78_1124
; %bb.1123:
	global_load_ubyte v6, v[0:1], off
	s_movk_i32 s20, 0xff
	v_mov_b32_e32 v7, 0x7f800001
	v_mov_b32_e32 v8, 0x400000
	s_mov_b64 s[4:5], 0
	s_waitcnt vmcnt(0)
	v_lshlrev_b32_e32 v9, 23, v6
	v_cmp_ne_u32_e32 vcc, s20, v6
	v_cndmask_b32_e32 v7, v7, v9, vcc
	v_cmp_ne_u32_e32 vcc, 0, v6
	v_cndmask_b32_e32 v6, v8, v7, vcc
	s_mov_b64 s[20:21], -1
	s_branch .LBB78_1125
.LBB78_1124:
	s_mov_b64 s[4:5], -1
                                        ; implicit-def: $vgpr6
.LBB78_1125:
	s_mov_b64 s[22:23], 0
.LBB78_1126:
	s_and_b64 vcc, exec, s[22:23]
	s_cbranch_vccz .LBB78_1130
; %bb.1127:
	v_cmp_eq_u16_e32 vcc, 29, v5
	s_cbranch_vccz .LBB78_1129
; %bb.1128:
	global_load_dwordx2 v[6:7], v[0:1], off
	s_mov_b64 s[4:5], 0
	s_mov_b64 s[20:21], -1
	s_mov_b64 s[22:23], 0
	s_waitcnt vmcnt(0)
	v_ffbh_u32_e32 v8, v7
	v_min_u32_e32 v8, 32, v8
	v_lshlrev_b64 v[6:7], v8, v[6:7]
	v_min_u32_e32 v6, 1, v6
	v_or_b32_e32 v6, v7, v6
	v_cvt_f32_u32_e32 v6, v6
	v_sub_u32_e32 v7, 32, v8
	v_ldexp_f32 v6, v6, v7
	s_branch .LBB78_1131
.LBB78_1129:
	s_mov_b64 s[4:5], -1
                                        ; implicit-def: $vgpr6
.LBB78_1130:
	s_mov_b64 s[22:23], 0
.LBB78_1131:
	s_and_b64 vcc, exec, s[22:23]
	s_cbranch_vccz .LBB78_1149
; %bb.1132:
	v_cmp_gt_i16_e32 vcc, 27, v5
	s_cbranch_vccnz .LBB78_1135
; %bb.1133:
	v_cmp_lt_i16_e32 vcc, 27, v5
	s_cbranch_vccz .LBB78_1136
; %bb.1134:
	global_load_dword v6, v[0:1], off
	s_mov_b64 s[20:21], 0
	s_waitcnt vmcnt(0)
	v_cvt_f32_u32_e32 v6, v6
	s_branch .LBB78_1137
.LBB78_1135:
	s_mov_b64 s[20:21], -1
                                        ; implicit-def: $vgpr6
	s_branch .LBB78_1140
.LBB78_1136:
	s_mov_b64 s[20:21], -1
                                        ; implicit-def: $vgpr6
.LBB78_1137:
	s_andn2_b64 vcc, exec, s[20:21]
	s_cbranch_vccnz .LBB78_1139
; %bb.1138:
	global_load_ushort v6, v[0:1], off
	s_waitcnt vmcnt(0)
	v_cvt_f32_u32_e32 v6, v6
.LBB78_1139:
	s_mov_b64 s[20:21], 0
.LBB78_1140:
	s_andn2_b64 vcc, exec, s[20:21]
	s_cbranch_vccnz .LBB78_1148
; %bb.1141:
	global_load_ubyte v7, v[0:1], off
	s_movk_i32 s20, 0x7f
                                        ; implicit-def: $sgpr26
	s_waitcnt vmcnt(0)
	v_cmp_lt_i16_e32 vcc, s20, v7
	s_mov_b64 s[20:21], 0
	s_and_saveexec_b64 s[22:23], vcc
	s_xor_b64 s[22:23], exec, s[22:23]
	s_cbranch_execz .LBB78_1161
; %bb.1142:
	s_movk_i32 s20, 0x80
	v_cmp_eq_u16_e32 vcc, s20, v7
	s_mov_b64 s[20:21], -1
                                        ; implicit-def: $sgpr26
	s_and_saveexec_b64 s[24:25], vcc
; %bb.1143:
	s_mov_b32 s26, 0x7f800001
	s_xor_b64 s[20:21], exec, -1
; %bb.1144:
	s_or_b64 exec, exec, s[24:25]
	s_and_b64 s[20:21], s[20:21], exec
	s_or_saveexec_b64 s[22:23], s[22:23]
	v_mov_b32_e32 v6, s26
	s_xor_b64 exec, exec, s[22:23]
	s_cbranch_execnz .LBB78_1162
.LBB78_1145:
	s_or_b64 exec, exec, s[22:23]
	s_and_saveexec_b64 s[22:23], s[20:21]
	s_cbranch_execz .LBB78_1147
.LBB78_1146:
	v_lshlrev_b32_e32 v6, 24, v7
	v_and_b32_e32 v7, 0xffff, v7
	v_and_b32_e32 v8, 7, v7
	v_ffbh_u32_e32 v10, v8
	v_min_u32_e32 v10, 32, v10
	v_subrev_u32_e32 v11, 28, v10
	v_bfe_u32 v9, v7, 3, 4
	v_lshlrev_b32_e32 v7, v11, v7
	v_sub_u32_e32 v10, 29, v10
	v_and_b32_e32 v7, 7, v7
	v_cmp_eq_u32_e32 vcc, 0, v9
	v_cndmask_b32_e32 v9, v9, v10, vcc
	v_cndmask_b32_e32 v7, v8, v7, vcc
	v_mov_b32_e32 v8, 0x3b800000
	v_lshlrev_b32_e32 v7, 20, v7
	v_and_b32_e32 v6, 0x80000000, v6
	v_lshl_add_u32 v8, v9, 23, v8
	v_or3_b32 v6, v6, v8, v7
.LBB78_1147:
	s_or_b64 exec, exec, s[22:23]
.LBB78_1148:
	s_mov_b64 s[20:21], -1
.LBB78_1149:
	s_branch .LBB78_1182
.LBB78_1150:
	v_cmp_lt_i16_e32 vcc, 22, v5
	s_cbranch_vccz .LBB78_1160
; %bb.1151:
	v_cmp_gt_i16_e32 vcc, 24, v5
	s_cbranch_vccnz .LBB78_1163
; %bb.1152:
	v_cmp_lt_i16_e32 vcc, 24, v5
	s_cbranch_vccz .LBB78_1164
; %bb.1153:
	global_load_ubyte v7, v[0:1], off
	s_movk_i32 s18, 0x7f
                                        ; implicit-def: $sgpr24
	s_waitcnt vmcnt(0)
	v_cmp_lt_i16_e32 vcc, s18, v7
	s_mov_b64 s[18:19], 0
	s_and_saveexec_b64 s[20:21], vcc
	s_xor_b64 s[20:21], exec, s[20:21]
	s_cbranch_execz .LBB78_1176
; %bb.1154:
	s_movk_i32 s18, 0x80
	v_cmp_eq_u16_e32 vcc, s18, v7
	s_mov_b64 s[18:19], -1
                                        ; implicit-def: $sgpr24
	s_and_saveexec_b64 s[22:23], vcc
; %bb.1155:
	s_mov_b32 s24, 0x7f800001
	s_xor_b64 s[18:19], exec, -1
; %bb.1156:
	s_or_b64 exec, exec, s[22:23]
	s_and_b64 s[18:19], s[18:19], exec
	s_or_saveexec_b64 s[20:21], s[20:21]
	v_mov_b32_e32 v6, s24
	s_xor_b64 exec, exec, s[20:21]
	s_cbranch_execnz .LBB78_1177
.LBB78_1157:
	s_or_b64 exec, exec, s[20:21]
	s_and_saveexec_b64 s[20:21], s[18:19]
	s_cbranch_execz .LBB78_1159
.LBB78_1158:
	v_lshlrev_b32_e32 v6, 24, v7
	v_and_b32_e32 v7, 0xffff, v7
	v_and_b32_e32 v8, 3, v7
	v_ffbh_u32_e32 v10, v8
	v_min_u32_e32 v10, 32, v10
	v_subrev_u32_e32 v11, 29, v10
	v_bfe_u32 v9, v7, 2, 5
	v_lshlrev_b32_e32 v7, v11, v7
	v_sub_u32_e32 v10, 30, v10
	v_and_b32_e32 v7, 3, v7
	v_cmp_eq_u32_e32 vcc, 0, v9
	v_cndmask_b32_e32 v9, v9, v10, vcc
	v_cndmask_b32_e32 v7, v8, v7, vcc
	v_mov_b32_e32 v8, 0x37800000
	v_lshlrev_b32_e32 v7, 21, v7
	v_and_b32_e32 v6, 0x80000000, v6
	v_lshl_add_u32 v8, v9, 23, v8
	v_or3_b32 v6, v6, v8, v7
.LBB78_1159:
	s_or_b64 exec, exec, s[20:21]
	s_mov_b64 s[18:19], 0
	s_branch .LBB78_1165
.LBB78_1160:
	s_mov_b64 s[18:19], -1
                                        ; implicit-def: $vgpr6
	s_branch .LBB78_1171
.LBB78_1161:
	s_or_saveexec_b64 s[22:23], s[22:23]
	v_mov_b32_e32 v6, s26
	s_xor_b64 exec, exec, s[22:23]
	s_cbranch_execz .LBB78_1145
.LBB78_1162:
	v_cmp_ne_u16_e32 vcc, 0, v7
	s_andn2_b64 s[20:21], s[20:21], exec
	s_and_b64 s[24:25], vcc, exec
	v_mov_b32_e32 v6, 0
	s_or_b64 s[20:21], s[20:21], s[24:25]
	s_or_b64 exec, exec, s[22:23]
	s_and_saveexec_b64 s[22:23], s[20:21]
	s_cbranch_execnz .LBB78_1146
	s_branch .LBB78_1147
.LBB78_1163:
	s_mov_b64 s[18:19], -1
                                        ; implicit-def: $vgpr6
	s_branch .LBB78_1168
.LBB78_1164:
	s_mov_b64 s[18:19], -1
                                        ; implicit-def: $vgpr6
.LBB78_1165:
	s_and_b64 vcc, exec, s[18:19]
	s_cbranch_vccz .LBB78_1167
; %bb.1166:
	global_load_ubyte v6, v[0:1], off
	s_mov_b32 s18, 0x7f800000
	s_waitcnt vmcnt(0)
	v_lshlrev_b32_e32 v6, 24, v6
	v_and_b32_e32 v7, 0x7f000000, v6
	v_ffbh_u32_e32 v8, v7
	v_min_u32_e32 v8, 32, v8
	v_sub_u32_e64 v8, v8, 4 clamp
	v_lshlrev_b32_e32 v10, v8, v7
	v_lshlrev_b32_e32 v8, 23, v8
	v_lshrrev_b32_e32 v10, 4, v10
	v_add_u32_e32 v9, 0x1000000, v7
	v_sub_u32_e32 v8, v10, v8
	v_ashrrev_i32_e32 v9, 8, v9
	v_add_u32_e32 v8, 0x3c000000, v8
	v_and_or_b32 v8, v9, s18, v8
	v_cmp_ne_u32_e32 vcc, 0, v7
	v_cndmask_b32_e32 v7, 0, v8, vcc
	s_brev_b32 s18, 1
	v_and_or_b32 v6, v6, s18, v7
.LBB78_1167:
	s_mov_b64 s[18:19], 0
.LBB78_1168:
	s_andn2_b64 vcc, exec, s[18:19]
	s_cbranch_vccnz .LBB78_1170
; %bb.1169:
	global_load_ubyte v6, v[0:1], off
	s_movk_i32 s18, 0x7f00
	s_brev_b32 s19, 16
	s_waitcnt vmcnt(0)
	v_lshlrev_b16_e32 v7, 8, v6
	v_lshlrev_b32_e32 v6, 25, v6
	v_lshrrev_b32_e32 v8, 4, v6
	v_and_or_b32 v9, v7, s18, 0.5
	v_or_b32_e32 v8, 0x70000000, v8
	v_add_f32_e32 v9, -0.5, v9
	v_mul_f32_e32 v8, 0x7800000, v8
	v_cmp_gt_u32_e32 vcc, s19, v6
	v_bfe_i32 v7, v7, 0, 16
	v_cndmask_b32_e32 v6, v8, v9, vcc
	s_brev_b32 s18, 1
	v_and_or_b32 v6, v7, s18, v6
.LBB78_1170:
	s_mov_b64 s[18:19], 0
	s_mov_b64 s[20:21], -1
.LBB78_1171:
	s_andn2_b64 vcc, exec, s[18:19]
	s_mov_b64 s[18:19], 0
	s_cbranch_vccnz .LBB78_1182
; %bb.1172:
	v_cmp_lt_i16_e32 vcc, 14, v5
	s_cbranch_vccz .LBB78_1175
; %bb.1173:
	v_cmp_eq_u16_e32 vcc, 15, v5
	s_cbranch_vccz .LBB78_1178
; %bb.1174:
	global_load_ushort v6, v[0:1], off
	s_mov_b64 s[4:5], 0
	s_mov_b64 s[20:21], -1
	s_waitcnt vmcnt(0)
	v_lshlrev_b32_e32 v6, 16, v6
	s_branch .LBB78_1179
.LBB78_1175:
	s_mov_b64 s[22:23], -1
                                        ; implicit-def: $vgpr6
	s_branch .LBB78_1180
.LBB78_1176:
	s_or_saveexec_b64 s[20:21], s[20:21]
	v_mov_b32_e32 v6, s24
	s_xor_b64 exec, exec, s[20:21]
	s_cbranch_execz .LBB78_1157
.LBB78_1177:
	v_cmp_ne_u16_e32 vcc, 0, v7
	s_andn2_b64 s[18:19], s[18:19], exec
	s_and_b64 s[22:23], vcc, exec
	v_mov_b32_e32 v6, 0
	s_or_b64 s[18:19], s[18:19], s[22:23]
	s_or_b64 exec, exec, s[20:21]
	s_and_saveexec_b64 s[20:21], s[18:19]
	s_cbranch_execnz .LBB78_1158
	s_branch .LBB78_1159
.LBB78_1178:
	s_mov_b64 s[4:5], -1
                                        ; implicit-def: $vgpr6
.LBB78_1179:
	s_mov_b64 s[22:23], 0
.LBB78_1180:
	s_and_b64 vcc, exec, s[22:23]
	s_cbranch_vccz .LBB78_1182
; %bb.1181:
	v_cmp_ne_u16_e64 s[4:5], 11, v5
	s_mov_b64 s[18:19], -1
                                        ; implicit-def: $vgpr6
.LBB78_1182:
	s_and_b64 vcc, exec, s[4:5]
	s_cbranch_vccnz .LBB78_1245
; %bb.1183:
	s_andn2_b64 vcc, exec, s[18:19]
	s_cbranch_vccnz .LBB78_1185
.LBB78_1184:
	global_load_ubyte v6, v[0:1], off
	s_mov_b64 s[20:21], -1
	s_waitcnt vmcnt(0)
	v_cmp_ne_u16_e32 vcc, 0, v6
	v_cndmask_b32_e64 v6, 0, 1.0, vcc
.LBB78_1185:
	s_branch .LBB78_1114
.LBB78_1186:
	v_cmp_gt_i16_e32 vcc, 5, v5
	s_cbranch_vccnz .LBB78_1191
; %bb.1187:
	v_cmp_gt_i16_e32 vcc, 8, v5
	s_cbranch_vccnz .LBB78_1192
; %bb.1188:
	;; [unrolled: 3-line block ×3, first 2 shown]
	v_cmp_lt_i16_e32 vcc, 9, v5
	s_cbranch_vccz .LBB78_1194
; %bb.1190:
	global_load_dwordx2 v[6:7], v[0:1], off
	s_mov_b64 s[4:5], 0
	s_waitcnt vmcnt(0)
	v_cvt_f32_f64_e32 v6, v[6:7]
	s_branch .LBB78_1195
.LBB78_1191:
                                        ; implicit-def: $vgpr6
	s_branch .LBB78_1213
.LBB78_1192:
	s_mov_b64 s[4:5], -1
                                        ; implicit-def: $vgpr6
	s_branch .LBB78_1201
.LBB78_1193:
	s_mov_b64 s[4:5], -1
                                        ; implicit-def: $vgpr6
	s_branch .LBB78_1198
.LBB78_1194:
	s_mov_b64 s[4:5], -1
                                        ; implicit-def: $vgpr6
.LBB78_1195:
	s_andn2_b64 vcc, exec, s[4:5]
	s_cbranch_vccnz .LBB78_1197
; %bb.1196:
	global_load_dword v6, v[0:1], off
.LBB78_1197:
	s_mov_b64 s[4:5], 0
.LBB78_1198:
	s_andn2_b64 vcc, exec, s[4:5]
	s_cbranch_vccnz .LBB78_1200
; %bb.1199:
	global_load_dword v6, v[0:1], off
	s_waitcnt vmcnt(0)
	v_cvt_f32_f16_e32 v6, v6
.LBB78_1200:
	s_mov_b64 s[4:5], 0
.LBB78_1201:
	s_andn2_b64 vcc, exec, s[4:5]
	s_cbranch_vccnz .LBB78_1212
; %bb.1202:
	v_cmp_gt_i16_e32 vcc, 6, v5
	s_cbranch_vccnz .LBB78_1205
; %bb.1203:
	v_cmp_lt_i16_e32 vcc, 6, v5
	s_cbranch_vccz .LBB78_1206
; %bb.1204:
	global_load_dwordx2 v[6:7], v[0:1], off
	s_mov_b64 s[4:5], 0
	s_waitcnt vmcnt(0)
	v_cvt_f32_f64_e32 v6, v[6:7]
	s_branch .LBB78_1207
.LBB78_1205:
	s_mov_b64 s[4:5], -1
                                        ; implicit-def: $vgpr6
	s_branch .LBB78_1210
.LBB78_1206:
	s_mov_b64 s[4:5], -1
                                        ; implicit-def: $vgpr6
.LBB78_1207:
	s_andn2_b64 vcc, exec, s[4:5]
	s_cbranch_vccnz .LBB78_1209
; %bb.1208:
	global_load_dword v6, v[0:1], off
.LBB78_1209:
	s_mov_b64 s[4:5], 0
.LBB78_1210:
	s_andn2_b64 vcc, exec, s[4:5]
	s_cbranch_vccnz .LBB78_1212
; %bb.1211:
	global_load_ushort v6, v[0:1], off
	s_waitcnt vmcnt(0)
	v_cvt_f32_f16_e32 v6, v6
.LBB78_1212:
	s_cbranch_execnz .LBB78_1232
.LBB78_1213:
	v_cmp_gt_i16_e32 vcc, 2, v5
	s_cbranch_vccnz .LBB78_1217
; %bb.1214:
	v_cmp_gt_i16_e32 vcc, 3, v5
	s_cbranch_vccnz .LBB78_1218
; %bb.1215:
	v_cmp_lt_i16_e32 vcc, 3, v5
	s_cbranch_vccz .LBB78_1219
; %bb.1216:
	global_load_dwordx2 v[6:7], v[0:1], off
	s_mov_b64 s[4:5], 0
	s_waitcnt vmcnt(0)
	v_xor_b32_e32 v9, v6, v7
	v_ffbh_i32_e32 v8, v7
	v_ashrrev_i32_e32 v9, 31, v9
	v_add_u32_e32 v8, -1, v8
	v_add_u32_e32 v9, 32, v9
	v_min_u32_e32 v8, v8, v9
	v_lshlrev_b64 v[6:7], v8, v[6:7]
	v_min_u32_e32 v6, 1, v6
	v_or_b32_e32 v6, v7, v6
	v_cvt_f32_i32_e32 v6, v6
	v_sub_u32_e32 v7, 32, v8
	v_ldexp_f32 v6, v6, v7
	s_branch .LBB78_1220
.LBB78_1217:
	s_mov_b64 s[4:5], -1
                                        ; implicit-def: $vgpr6
	s_branch .LBB78_1226
.LBB78_1218:
	s_mov_b64 s[4:5], -1
                                        ; implicit-def: $vgpr6
	s_branch .LBB78_1223
.LBB78_1219:
	s_mov_b64 s[4:5], -1
                                        ; implicit-def: $vgpr6
.LBB78_1220:
	s_andn2_b64 vcc, exec, s[4:5]
	s_cbranch_vccnz .LBB78_1222
; %bb.1221:
	global_load_dword v6, v[0:1], off
	s_waitcnt vmcnt(0)
	v_cvt_f32_i32_e32 v6, v6
.LBB78_1222:
	s_mov_b64 s[4:5], 0
.LBB78_1223:
	s_andn2_b64 vcc, exec, s[4:5]
	s_cbranch_vccnz .LBB78_1225
; %bb.1224:
	global_load_sshort v6, v[0:1], off
	s_waitcnt vmcnt(0)
	v_cvt_f32_i32_e32 v6, v6
.LBB78_1225:
	s_mov_b64 s[4:5], 0
.LBB78_1226:
	s_andn2_b64 vcc, exec, s[4:5]
	s_cbranch_vccnz .LBB78_1232
; %bb.1227:
	v_cmp_lt_i16_e32 vcc, 0, v5
	s_cbranch_vccz .LBB78_1229
; %bb.1228:
	global_load_sbyte v6, v[0:1], off
	s_mov_b64 s[4:5], 0
	s_waitcnt vmcnt(0)
	v_cvt_f32_i32_e32 v6, v6
	s_branch .LBB78_1230
.LBB78_1229:
	s_mov_b64 s[4:5], -1
                                        ; implicit-def: $vgpr6
.LBB78_1230:
	s_andn2_b64 vcc, exec, s[4:5]
	s_cbranch_vccnz .LBB78_1232
; %bb.1231:
	global_load_ubyte v0, v[0:1], off
	s_waitcnt vmcnt(0)
	v_cvt_f32_ubyte0_e32 v6, v0
.LBB78_1232:
.LBB78_1233:
	v_add_u32_e32 v3, s13, v3
	v_ashrrev_i32_e32 v1, 31, v3
	v_mov_b32_e32 v7, s11
	v_add_co_u32_e32 v0, vcc, s10, v3
	v_addc_co_u32_e32 v1, vcc, v7, v1, vcc
	s_and_b64 vcc, exec, s[0:1]
	s_cbranch_vccnz .LBB78_1240
; %bb.1234:
	v_cmp_lt_i16_e32 vcc, 25, v5
	s_mov_b64 s[18:19], 0
	s_cbranch_vccz .LBB78_1242
; %bb.1235:
	v_cmp_lt_i16_e32 vcc, 28, v5
	s_cbranch_vccz .LBB78_1243
; %bb.1236:
	v_cmp_lt_i16_e32 vcc, 43, v5
	;; [unrolled: 3-line block ×3, first 2 shown]
	s_cbranch_vccz .LBB78_1246
; %bb.1238:
	v_cmp_eq_u16_e32 vcc, 46, v5
	s_mov_b64 s[22:23], 0
	s_cbranch_vccz .LBB78_1247
; %bb.1239:
	global_load_dword v7, v[0:1], off
	s_mov_b64 s[4:5], 0
	s_mov_b64 s[20:21], -1
	s_waitcnt vmcnt(0)
	v_lshlrev_b32_e32 v7, 16, v7
	s_branch .LBB78_1248
.LBB78_1240:
	s_mov_b64 s[20:21], 0
                                        ; implicit-def: $vgpr7
	s_cbranch_execnz .LBB78_1314
.LBB78_1241:
	s_andn2_b64 vcc, exec, s[20:21]
	s_cbranch_vccnz .LBB78_1914
	s_branch .LBB78_1362
.LBB78_1242:
	s_mov_b64 s[22:23], -1
	s_mov_b64 s[20:21], 0
	s_mov_b64 s[4:5], 0
                                        ; implicit-def: $vgpr7
	s_branch .LBB78_1277
.LBB78_1243:
	s_mov_b64 s[22:23], -1
	s_mov_b64 s[20:21], 0
	s_mov_b64 s[4:5], 0
                                        ; implicit-def: $vgpr7
	s_branch .LBB78_1258
.LBB78_1244:
	s_mov_b64 s[22:23], -1
	s_mov_b64 s[20:21], 0
	s_mov_b64 s[4:5], 0
                                        ; implicit-def: $vgpr7
	s_branch .LBB78_1253
.LBB78_1245:
	s_trap 2
	s_or_b64 s[16:17], s[16:17], exec
                                        ; implicit-def: $vgpr6
	s_cbranch_execz .LBB78_1184
	s_branch .LBB78_1185
.LBB78_1246:
	s_mov_b64 s[22:23], -1
	s_mov_b64 s[20:21], 0
	s_mov_b64 s[4:5], 0
                                        ; implicit-def: $vgpr7
	s_branch .LBB78_1248
.LBB78_1247:
	s_mov_b64 s[4:5], -1
                                        ; implicit-def: $vgpr7
	s_mov_b64 s[20:21], 0
.LBB78_1248:
	s_and_b64 vcc, exec, s[22:23]
	s_cbranch_vccz .LBB78_1252
; %bb.1249:
	v_cmp_eq_u16_e32 vcc, 44, v5
	s_cbranch_vccz .LBB78_1251
; %bb.1250:
	global_load_ubyte v7, v[0:1], off
	s_movk_i32 s20, 0xff
	v_mov_b32_e32 v8, 0x7f800001
	v_mov_b32_e32 v9, 0x400000
	s_mov_b64 s[4:5], 0
	s_waitcnt vmcnt(0)
	v_lshlrev_b32_e32 v10, 23, v7
	v_cmp_ne_u32_e32 vcc, s20, v7
	v_cndmask_b32_e32 v8, v8, v10, vcc
	v_cmp_ne_u32_e32 vcc, 0, v7
	v_cndmask_b32_e32 v7, v9, v8, vcc
	s_mov_b64 s[20:21], -1
	s_branch .LBB78_1252
.LBB78_1251:
	s_mov_b64 s[4:5], -1
                                        ; implicit-def: $vgpr7
.LBB78_1252:
	s_mov_b64 s[22:23], 0
.LBB78_1253:
	s_and_b64 vcc, exec, s[22:23]
	s_cbranch_vccz .LBB78_1257
; %bb.1254:
	v_cmp_eq_u16_e32 vcc, 29, v5
	s_cbranch_vccz .LBB78_1256
; %bb.1255:
	global_load_dwordx2 v[8:9], v[0:1], off
	s_mov_b64 s[4:5], 0
	s_mov_b64 s[20:21], -1
	s_mov_b64 s[22:23], 0
	s_waitcnt vmcnt(0)
	v_ffbh_u32_e32 v7, v9
	v_min_u32_e32 v7, 32, v7
	v_lshlrev_b64 v[8:9], v7, v[8:9]
	v_min_u32_e32 v8, 1, v8
	v_or_b32_e32 v8, v9, v8
	v_cvt_f32_u32_e32 v8, v8
	v_sub_u32_e32 v7, 32, v7
	v_ldexp_f32 v7, v8, v7
	s_branch .LBB78_1258
.LBB78_1256:
	s_mov_b64 s[4:5], -1
                                        ; implicit-def: $vgpr7
.LBB78_1257:
	s_mov_b64 s[22:23], 0
.LBB78_1258:
	s_and_b64 vcc, exec, s[22:23]
	s_cbranch_vccz .LBB78_1276
; %bb.1259:
	v_cmp_gt_i16_e32 vcc, 27, v5
	s_cbranch_vccnz .LBB78_1262
; %bb.1260:
	v_cmp_lt_i16_e32 vcc, 27, v5
	s_cbranch_vccz .LBB78_1263
; %bb.1261:
	global_load_dword v7, v[0:1], off
	s_mov_b64 s[20:21], 0
	s_waitcnt vmcnt(0)
	v_cvt_f32_u32_e32 v7, v7
	s_branch .LBB78_1264
.LBB78_1262:
	s_mov_b64 s[20:21], -1
                                        ; implicit-def: $vgpr7
	s_branch .LBB78_1267
.LBB78_1263:
	s_mov_b64 s[20:21], -1
                                        ; implicit-def: $vgpr7
.LBB78_1264:
	s_andn2_b64 vcc, exec, s[20:21]
	s_cbranch_vccnz .LBB78_1266
; %bb.1265:
	global_load_ushort v7, v[0:1], off
	s_waitcnt vmcnt(0)
	v_cvt_f32_u32_e32 v7, v7
.LBB78_1266:
	s_mov_b64 s[20:21], 0
.LBB78_1267:
	s_andn2_b64 vcc, exec, s[20:21]
	s_cbranch_vccnz .LBB78_1275
; %bb.1268:
	global_load_ubyte v8, v[0:1], off
	s_movk_i32 s20, 0x7f
                                        ; implicit-def: $sgpr26
	s_waitcnt vmcnt(0)
	v_cmp_lt_i16_e32 vcc, s20, v8
	s_mov_b64 s[20:21], 0
	s_and_saveexec_b64 s[22:23], vcc
	s_xor_b64 s[22:23], exec, s[22:23]
	s_cbranch_execz .LBB78_1289
; %bb.1269:
	s_movk_i32 s20, 0x80
	v_cmp_eq_u16_e32 vcc, s20, v8
	s_mov_b64 s[20:21], -1
                                        ; implicit-def: $sgpr26
	s_and_saveexec_b64 s[24:25], vcc
; %bb.1270:
	s_mov_b32 s26, 0x7f800001
	s_xor_b64 s[20:21], exec, -1
; %bb.1271:
	s_or_b64 exec, exec, s[24:25]
	s_and_b64 s[20:21], s[20:21], exec
	s_or_saveexec_b64 s[22:23], s[22:23]
	v_mov_b32_e32 v7, s26
	s_xor_b64 exec, exec, s[22:23]
	s_cbranch_execnz .LBB78_1290
.LBB78_1272:
	s_or_b64 exec, exec, s[22:23]
	s_and_saveexec_b64 s[22:23], s[20:21]
	s_cbranch_execz .LBB78_1274
.LBB78_1273:
	v_lshlrev_b32_e32 v7, 24, v8
	v_and_b32_e32 v8, 0xffff, v8
	v_and_b32_e32 v9, 7, v8
	v_ffbh_u32_e32 v11, v9
	v_min_u32_e32 v11, 32, v11
	v_subrev_u32_e32 v12, 28, v11
	v_bfe_u32 v10, v8, 3, 4
	v_lshlrev_b32_e32 v8, v12, v8
	v_sub_u32_e32 v11, 29, v11
	v_and_b32_e32 v8, 7, v8
	v_cmp_eq_u32_e32 vcc, 0, v10
	v_cndmask_b32_e32 v10, v10, v11, vcc
	v_cndmask_b32_e32 v8, v9, v8, vcc
	v_mov_b32_e32 v9, 0x3b800000
	v_lshlrev_b32_e32 v8, 20, v8
	v_and_b32_e32 v7, 0x80000000, v7
	v_lshl_add_u32 v9, v10, 23, v9
	v_or3_b32 v7, v7, v9, v8
.LBB78_1274:
	s_or_b64 exec, exec, s[22:23]
.LBB78_1275:
	s_mov_b64 s[20:21], -1
.LBB78_1276:
	s_mov_b64 s[22:23], 0
.LBB78_1277:
	s_and_b64 vcc, exec, s[22:23]
	s_cbranch_vccz .LBB78_1310
; %bb.1278:
	v_cmp_lt_i16_e32 vcc, 22, v5
	s_cbranch_vccz .LBB78_1288
; %bb.1279:
	v_cmp_gt_i16_e32 vcc, 24, v5
	s_cbranch_vccnz .LBB78_1291
; %bb.1280:
	v_cmp_lt_i16_e32 vcc, 24, v5
	s_cbranch_vccz .LBB78_1292
; %bb.1281:
	global_load_ubyte v8, v[0:1], off
	s_movk_i32 s18, 0x7f
                                        ; implicit-def: $sgpr24
	s_waitcnt vmcnt(0)
	v_cmp_lt_i16_e32 vcc, s18, v8
	s_mov_b64 s[18:19], 0
	s_and_saveexec_b64 s[20:21], vcc
	s_xor_b64 s[20:21], exec, s[20:21]
	s_cbranch_execz .LBB78_1304
; %bb.1282:
	s_movk_i32 s18, 0x80
	v_cmp_eq_u16_e32 vcc, s18, v8
	s_mov_b64 s[18:19], -1
                                        ; implicit-def: $sgpr24
	s_and_saveexec_b64 s[22:23], vcc
; %bb.1283:
	s_mov_b32 s24, 0x7f800001
	s_xor_b64 s[18:19], exec, -1
; %bb.1284:
	s_or_b64 exec, exec, s[22:23]
	s_and_b64 s[18:19], s[18:19], exec
	s_or_saveexec_b64 s[20:21], s[20:21]
	v_mov_b32_e32 v7, s24
	s_xor_b64 exec, exec, s[20:21]
	s_cbranch_execnz .LBB78_1305
.LBB78_1285:
	s_or_b64 exec, exec, s[20:21]
	s_and_saveexec_b64 s[20:21], s[18:19]
	s_cbranch_execz .LBB78_1287
.LBB78_1286:
	v_lshlrev_b32_e32 v7, 24, v8
	v_and_b32_e32 v8, 0xffff, v8
	v_and_b32_e32 v9, 3, v8
	v_ffbh_u32_e32 v11, v9
	v_min_u32_e32 v11, 32, v11
	v_subrev_u32_e32 v12, 29, v11
	v_bfe_u32 v10, v8, 2, 5
	v_lshlrev_b32_e32 v8, v12, v8
	v_sub_u32_e32 v11, 30, v11
	v_and_b32_e32 v8, 3, v8
	v_cmp_eq_u32_e32 vcc, 0, v10
	v_cndmask_b32_e32 v10, v10, v11, vcc
	v_cndmask_b32_e32 v8, v9, v8, vcc
	v_mov_b32_e32 v9, 0x37800000
	v_lshlrev_b32_e32 v8, 21, v8
	v_and_b32_e32 v7, 0x80000000, v7
	v_lshl_add_u32 v9, v10, 23, v9
	v_or3_b32 v7, v7, v9, v8
.LBB78_1287:
	s_or_b64 exec, exec, s[20:21]
	s_mov_b64 s[18:19], 0
	s_branch .LBB78_1293
.LBB78_1288:
	s_mov_b64 s[18:19], -1
                                        ; implicit-def: $vgpr7
	s_branch .LBB78_1299
.LBB78_1289:
	s_or_saveexec_b64 s[22:23], s[22:23]
	v_mov_b32_e32 v7, s26
	s_xor_b64 exec, exec, s[22:23]
	s_cbranch_execz .LBB78_1272
.LBB78_1290:
	v_cmp_ne_u16_e32 vcc, 0, v8
	s_andn2_b64 s[20:21], s[20:21], exec
	s_and_b64 s[24:25], vcc, exec
	v_mov_b32_e32 v7, 0
	s_or_b64 s[20:21], s[20:21], s[24:25]
	s_or_b64 exec, exec, s[22:23]
	s_and_saveexec_b64 s[22:23], s[20:21]
	s_cbranch_execnz .LBB78_1273
	s_branch .LBB78_1274
.LBB78_1291:
	s_mov_b64 s[18:19], -1
                                        ; implicit-def: $vgpr7
	s_branch .LBB78_1296
.LBB78_1292:
	s_mov_b64 s[18:19], -1
                                        ; implicit-def: $vgpr7
.LBB78_1293:
	s_and_b64 vcc, exec, s[18:19]
	s_cbranch_vccz .LBB78_1295
; %bb.1294:
	global_load_ubyte v7, v[0:1], off
	s_mov_b32 s18, 0x7f800000
	s_waitcnt vmcnt(0)
	v_lshlrev_b32_e32 v7, 24, v7
	v_and_b32_e32 v8, 0x7f000000, v7
	v_ffbh_u32_e32 v9, v8
	v_min_u32_e32 v9, 32, v9
	v_sub_u32_e64 v9, v9, 4 clamp
	v_lshlrev_b32_e32 v11, v9, v8
	v_lshlrev_b32_e32 v9, 23, v9
	v_lshrrev_b32_e32 v11, 4, v11
	v_add_u32_e32 v10, 0x1000000, v8
	v_sub_u32_e32 v9, v11, v9
	v_ashrrev_i32_e32 v10, 8, v10
	v_add_u32_e32 v9, 0x3c000000, v9
	v_and_or_b32 v9, v10, s18, v9
	v_cmp_ne_u32_e32 vcc, 0, v8
	v_cndmask_b32_e32 v8, 0, v9, vcc
	s_brev_b32 s18, 1
	v_and_or_b32 v7, v7, s18, v8
.LBB78_1295:
	s_mov_b64 s[18:19], 0
.LBB78_1296:
	s_andn2_b64 vcc, exec, s[18:19]
	s_cbranch_vccnz .LBB78_1298
; %bb.1297:
	global_load_ubyte v7, v[0:1], off
	s_movk_i32 s18, 0x7f00
	s_brev_b32 s19, 16
	s_waitcnt vmcnt(0)
	v_lshlrev_b16_e32 v8, 8, v7
	v_lshlrev_b32_e32 v7, 25, v7
	v_lshrrev_b32_e32 v9, 4, v7
	v_and_or_b32 v10, v8, s18, 0.5
	v_or_b32_e32 v9, 0x70000000, v9
	v_add_f32_e32 v10, -0.5, v10
	v_mul_f32_e32 v9, 0x7800000, v9
	v_cmp_gt_u32_e32 vcc, s19, v7
	v_bfe_i32 v8, v8, 0, 16
	v_cndmask_b32_e32 v7, v9, v10, vcc
	s_brev_b32 s18, 1
	v_and_or_b32 v7, v8, s18, v7
.LBB78_1298:
	s_mov_b64 s[18:19], 0
	s_mov_b64 s[20:21], -1
.LBB78_1299:
	s_andn2_b64 vcc, exec, s[18:19]
	s_mov_b64 s[18:19], 0
	s_cbranch_vccnz .LBB78_1310
; %bb.1300:
	v_cmp_lt_i16_e32 vcc, 14, v5
	s_cbranch_vccz .LBB78_1303
; %bb.1301:
	v_cmp_eq_u16_e32 vcc, 15, v5
	s_cbranch_vccz .LBB78_1306
; %bb.1302:
	global_load_ushort v7, v[0:1], off
	s_mov_b64 s[4:5], 0
	s_mov_b64 s[20:21], -1
	s_waitcnt vmcnt(0)
	v_lshlrev_b32_e32 v7, 16, v7
	s_branch .LBB78_1307
.LBB78_1303:
	s_mov_b64 s[22:23], -1
                                        ; implicit-def: $vgpr7
	s_branch .LBB78_1308
.LBB78_1304:
	s_or_saveexec_b64 s[20:21], s[20:21]
	v_mov_b32_e32 v7, s24
	s_xor_b64 exec, exec, s[20:21]
	s_cbranch_execz .LBB78_1285
.LBB78_1305:
	v_cmp_ne_u16_e32 vcc, 0, v8
	s_andn2_b64 s[18:19], s[18:19], exec
	s_and_b64 s[22:23], vcc, exec
	v_mov_b32_e32 v7, 0
	s_or_b64 s[18:19], s[18:19], s[22:23]
	s_or_b64 exec, exec, s[20:21]
	s_and_saveexec_b64 s[20:21], s[18:19]
	s_cbranch_execnz .LBB78_1286
	s_branch .LBB78_1287
.LBB78_1306:
	s_mov_b64 s[4:5], -1
                                        ; implicit-def: $vgpr7
.LBB78_1307:
	s_mov_b64 s[22:23], 0
.LBB78_1308:
	s_and_b64 vcc, exec, s[22:23]
	s_cbranch_vccz .LBB78_1310
; %bb.1309:
	v_cmp_ne_u16_e64 s[4:5], 11, v5
	s_mov_b64 s[18:19], -1
                                        ; implicit-def: $vgpr7
.LBB78_1310:
	s_and_b64 vcc, exec, s[4:5]
	s_cbranch_vccnz .LBB78_1373
; %bb.1311:
	s_andn2_b64 vcc, exec, s[18:19]
	s_cbranch_vccnz .LBB78_1313
.LBB78_1312:
	global_load_ubyte v7, v[0:1], off
	s_mov_b64 s[20:21], -1
	s_waitcnt vmcnt(0)
	v_cmp_ne_u16_e32 vcc, 0, v7
	v_cndmask_b32_e64 v7, 0, 1.0, vcc
.LBB78_1313:
	s_branch .LBB78_1241
.LBB78_1314:
	v_cmp_gt_i16_e32 vcc, 5, v5
	s_cbranch_vccnz .LBB78_1319
; %bb.1315:
	v_cmp_gt_i16_e32 vcc, 8, v5
	s_cbranch_vccnz .LBB78_1320
; %bb.1316:
	;; [unrolled: 3-line block ×3, first 2 shown]
	v_cmp_lt_i16_e32 vcc, 9, v5
	s_cbranch_vccz .LBB78_1322
; %bb.1318:
	global_load_dwordx2 v[8:9], v[0:1], off
	s_mov_b64 s[4:5], 0
	s_waitcnt vmcnt(0)
	v_cvt_f32_f64_e32 v7, v[8:9]
	s_branch .LBB78_1323
.LBB78_1319:
	s_mov_b64 s[4:5], -1
                                        ; implicit-def: $vgpr7
	s_branch .LBB78_1341
.LBB78_1320:
	s_mov_b64 s[4:5], -1
                                        ; implicit-def: $vgpr7
	s_branch .LBB78_1329
.LBB78_1321:
	s_mov_b64 s[4:5], -1
                                        ; implicit-def: $vgpr7
	s_branch .LBB78_1326
.LBB78_1322:
	s_mov_b64 s[4:5], -1
                                        ; implicit-def: $vgpr7
.LBB78_1323:
	s_andn2_b64 vcc, exec, s[4:5]
	s_cbranch_vccnz .LBB78_1325
; %bb.1324:
	global_load_dword v7, v[0:1], off
.LBB78_1325:
	s_mov_b64 s[4:5], 0
.LBB78_1326:
	s_andn2_b64 vcc, exec, s[4:5]
	s_cbranch_vccnz .LBB78_1328
; %bb.1327:
	global_load_dword v7, v[0:1], off
	s_waitcnt vmcnt(0)
	v_cvt_f32_f16_e32 v7, v7
.LBB78_1328:
	s_mov_b64 s[4:5], 0
.LBB78_1329:
	s_andn2_b64 vcc, exec, s[4:5]
	s_cbranch_vccnz .LBB78_1340
; %bb.1330:
	v_cmp_gt_i16_e32 vcc, 6, v5
	s_cbranch_vccnz .LBB78_1333
; %bb.1331:
	v_cmp_lt_i16_e32 vcc, 6, v5
	s_cbranch_vccz .LBB78_1334
; %bb.1332:
	global_load_dwordx2 v[8:9], v[0:1], off
	s_mov_b64 s[4:5], 0
	s_waitcnt vmcnt(0)
	v_cvt_f32_f64_e32 v7, v[8:9]
	s_branch .LBB78_1335
.LBB78_1333:
	s_mov_b64 s[4:5], -1
                                        ; implicit-def: $vgpr7
	s_branch .LBB78_1338
.LBB78_1334:
	s_mov_b64 s[4:5], -1
                                        ; implicit-def: $vgpr7
.LBB78_1335:
	s_andn2_b64 vcc, exec, s[4:5]
	s_cbranch_vccnz .LBB78_1337
; %bb.1336:
	global_load_dword v7, v[0:1], off
.LBB78_1337:
	s_mov_b64 s[4:5], 0
.LBB78_1338:
	s_andn2_b64 vcc, exec, s[4:5]
	s_cbranch_vccnz .LBB78_1340
; %bb.1339:
	global_load_ushort v7, v[0:1], off
	s_waitcnt vmcnt(0)
	v_cvt_f32_f16_e32 v7, v7
.LBB78_1340:
	s_mov_b64 s[4:5], 0
.LBB78_1341:
	s_andn2_b64 vcc, exec, s[4:5]
	s_cbranch_vccnz .LBB78_1361
; %bb.1342:
	v_cmp_gt_i16_e32 vcc, 2, v5
	s_cbranch_vccnz .LBB78_1346
; %bb.1343:
	v_cmp_gt_i16_e32 vcc, 3, v5
	s_cbranch_vccnz .LBB78_1347
; %bb.1344:
	v_cmp_lt_i16_e32 vcc, 3, v5
	s_cbranch_vccz .LBB78_1348
; %bb.1345:
	global_load_dwordx2 v[8:9], v[0:1], off
	s_mov_b64 s[4:5], 0
	s_waitcnt vmcnt(0)
	v_xor_b32_e32 v10, v8, v9
	v_ffbh_i32_e32 v7, v9
	v_ashrrev_i32_e32 v10, 31, v10
	v_add_u32_e32 v7, -1, v7
	v_add_u32_e32 v10, 32, v10
	v_min_u32_e32 v7, v7, v10
	v_lshlrev_b64 v[8:9], v7, v[8:9]
	v_min_u32_e32 v8, 1, v8
	v_or_b32_e32 v8, v9, v8
	v_cvt_f32_i32_e32 v8, v8
	v_sub_u32_e32 v7, 32, v7
	v_ldexp_f32 v7, v8, v7
	s_branch .LBB78_1349
.LBB78_1346:
	s_mov_b64 s[4:5], -1
                                        ; implicit-def: $vgpr7
	s_branch .LBB78_1355
.LBB78_1347:
	s_mov_b64 s[4:5], -1
                                        ; implicit-def: $vgpr7
	s_branch .LBB78_1352
.LBB78_1348:
	s_mov_b64 s[4:5], -1
                                        ; implicit-def: $vgpr7
.LBB78_1349:
	s_andn2_b64 vcc, exec, s[4:5]
	s_cbranch_vccnz .LBB78_1351
; %bb.1350:
	global_load_dword v7, v[0:1], off
	s_waitcnt vmcnt(0)
	v_cvt_f32_i32_e32 v7, v7
.LBB78_1351:
	s_mov_b64 s[4:5], 0
.LBB78_1352:
	s_andn2_b64 vcc, exec, s[4:5]
	s_cbranch_vccnz .LBB78_1354
; %bb.1353:
	global_load_sshort v7, v[0:1], off
	s_waitcnt vmcnt(0)
	v_cvt_f32_i32_e32 v7, v7
.LBB78_1354:
	s_mov_b64 s[4:5], 0
.LBB78_1355:
	s_andn2_b64 vcc, exec, s[4:5]
	s_cbranch_vccnz .LBB78_1361
; %bb.1356:
	v_cmp_lt_i16_e32 vcc, 0, v5
	s_cbranch_vccz .LBB78_1358
; %bb.1357:
	global_load_sbyte v7, v[0:1], off
	s_mov_b64 s[4:5], 0
	s_waitcnt vmcnt(0)
	v_cvt_f32_i32_e32 v7, v7
	s_branch .LBB78_1359
.LBB78_1358:
	s_mov_b64 s[4:5], -1
                                        ; implicit-def: $vgpr7
.LBB78_1359:
	s_andn2_b64 vcc, exec, s[4:5]
	s_cbranch_vccnz .LBB78_1361
; %bb.1360:
	global_load_ubyte v0, v[0:1], off
	s_waitcnt vmcnt(0)
	v_cvt_f32_ubyte0_e32 v7, v0
.LBB78_1361:
.LBB78_1362:
	v_add_u32_e32 v0, s13, v3
	v_ashrrev_i32_e32 v1, 31, v0
	v_mov_b32_e32 v3, s11
	v_add_co_u32_e32 v0, vcc, s10, v0
	v_addc_co_u32_e32 v1, vcc, v3, v1, vcc
	s_and_b64 vcc, exec, s[0:1]
	s_cbranch_vccnz .LBB78_1369
; %bb.1363:
	v_cmp_lt_i16_e32 vcc, 25, v5
	s_mov_b64 s[4:5], 0
	s_cbranch_vccz .LBB78_1370
; %bb.1364:
	v_cmp_lt_i16_e32 vcc, 28, v5
	s_cbranch_vccz .LBB78_1371
; %bb.1365:
	v_cmp_lt_i16_e32 vcc, 43, v5
	;; [unrolled: 3-line block ×3, first 2 shown]
	s_cbranch_vccz .LBB78_1374
; %bb.1367:
	v_cmp_eq_u16_e32 vcc, 46, v5
	s_mov_b64 s[18:19], 0
	s_cbranch_vccz .LBB78_1375
; %bb.1368:
	global_load_dword v3, v[0:1], off
	s_mov_b64 s[0:1], 0
	s_mov_b64 s[10:11], -1
	s_waitcnt vmcnt(0)
	v_lshlrev_b32_e32 v8, 16, v3
	s_branch .LBB78_1376
.LBB78_1369:
	s_mov_b64 s[0:1], -1
	s_mov_b64 s[10:11], 0
                                        ; implicit-def: $vgpr8
	s_branch .LBB78_1442
.LBB78_1370:
	s_mov_b64 s[18:19], -1
	s_mov_b64 s[10:11], 0
	s_mov_b64 s[0:1], 0
                                        ; implicit-def: $vgpr8
	s_branch .LBB78_1405
.LBB78_1371:
	s_mov_b64 s[18:19], -1
	s_mov_b64 s[10:11], 0
	s_mov_b64 s[0:1], 0
                                        ; implicit-def: $vgpr8
	s_branch .LBB78_1386
.LBB78_1372:
	s_mov_b64 s[18:19], -1
	s_mov_b64 s[10:11], 0
	s_mov_b64 s[0:1], 0
                                        ; implicit-def: $vgpr8
	s_branch .LBB78_1381
.LBB78_1373:
	s_trap 2
	s_or_b64 s[16:17], s[16:17], exec
                                        ; implicit-def: $vgpr7
	s_cbranch_execz .LBB78_1312
	s_branch .LBB78_1313
.LBB78_1374:
	s_mov_b64 s[18:19], -1
	s_mov_b64 s[10:11], 0
	s_mov_b64 s[0:1], 0
                                        ; implicit-def: $vgpr8
	s_branch .LBB78_1376
.LBB78_1375:
	s_mov_b64 s[0:1], -1
                                        ; implicit-def: $vgpr8
	s_mov_b64 s[10:11], 0
.LBB78_1376:
	s_and_b64 vcc, exec, s[18:19]
	s_cbranch_vccz .LBB78_1380
; %bb.1377:
	v_cmp_eq_u16_e32 vcc, 44, v5
	s_cbranch_vccz .LBB78_1379
; %bb.1378:
	global_load_ubyte v3, v[0:1], off
	s_movk_i32 s10, 0xff
	v_mov_b32_e32 v8, 0x7f800001
	v_mov_b32_e32 v9, 0x400000
	s_mov_b64 s[0:1], 0
	s_waitcnt vmcnt(0)
	v_lshlrev_b32_e32 v10, 23, v3
	v_cmp_ne_u32_e32 vcc, s10, v3
	v_cndmask_b32_e32 v8, v8, v10, vcc
	v_cmp_ne_u32_e32 vcc, 0, v3
	v_cndmask_b32_e32 v8, v9, v8, vcc
	s_mov_b64 s[10:11], -1
	s_branch .LBB78_1380
.LBB78_1379:
	s_mov_b64 s[0:1], -1
                                        ; implicit-def: $vgpr8
.LBB78_1380:
	s_mov_b64 s[18:19], 0
.LBB78_1381:
	s_and_b64 vcc, exec, s[18:19]
	s_cbranch_vccz .LBB78_1385
; %bb.1382:
	v_cmp_eq_u16_e32 vcc, 29, v5
	s_cbranch_vccz .LBB78_1384
; %bb.1383:
	global_load_dwordx2 v[8:9], v[0:1], off
	s_mov_b64 s[0:1], 0
	s_mov_b64 s[10:11], -1
	s_mov_b64 s[18:19], 0
	s_waitcnt vmcnt(0)
	v_ffbh_u32_e32 v3, v9
	v_min_u32_e32 v3, 32, v3
	v_lshlrev_b64 v[8:9], v3, v[8:9]
	v_min_u32_e32 v8, 1, v8
	v_or_b32_e32 v8, v9, v8
	v_cvt_f32_u32_e32 v8, v8
	v_sub_u32_e32 v3, 32, v3
	v_ldexp_f32 v8, v8, v3
	s_branch .LBB78_1386
.LBB78_1384:
	s_mov_b64 s[0:1], -1
                                        ; implicit-def: $vgpr8
.LBB78_1385:
	s_mov_b64 s[18:19], 0
.LBB78_1386:
	s_and_b64 vcc, exec, s[18:19]
	s_cbranch_vccz .LBB78_1404
; %bb.1387:
	v_cmp_gt_i16_e32 vcc, 27, v5
	s_cbranch_vccnz .LBB78_1390
; %bb.1388:
	v_cmp_lt_i16_e32 vcc, 27, v5
	s_cbranch_vccz .LBB78_1391
; %bb.1389:
	global_load_dword v3, v[0:1], off
	s_mov_b64 s[10:11], 0
	s_waitcnt vmcnt(0)
	v_cvt_f32_u32_e32 v8, v3
	s_branch .LBB78_1392
.LBB78_1390:
	s_mov_b64 s[10:11], -1
                                        ; implicit-def: $vgpr8
	s_branch .LBB78_1395
.LBB78_1391:
	s_mov_b64 s[10:11], -1
                                        ; implicit-def: $vgpr8
.LBB78_1392:
	s_andn2_b64 vcc, exec, s[10:11]
	s_cbranch_vccnz .LBB78_1394
; %bb.1393:
	global_load_ushort v3, v[0:1], off
	s_waitcnt vmcnt(0)
	v_cvt_f32_u32_e32 v8, v3
.LBB78_1394:
	s_mov_b64 s[10:11], 0
.LBB78_1395:
	s_andn2_b64 vcc, exec, s[10:11]
	s_cbranch_vccnz .LBB78_1403
; %bb.1396:
	global_load_ubyte v3, v[0:1], off
	s_movk_i32 s10, 0x7f
                                        ; implicit-def: $sgpr13
	s_waitcnt vmcnt(0)
	v_cmp_lt_i16_e32 vcc, s10, v3
	s_mov_b64 s[10:11], 0
	s_and_saveexec_b64 s[18:19], vcc
	s_xor_b64 s[18:19], exec, s[18:19]
	s_cbranch_execz .LBB78_1417
; %bb.1397:
	s_movk_i32 s10, 0x80
	v_cmp_eq_u16_e32 vcc, s10, v3
	s_mov_b64 s[10:11], -1
                                        ; implicit-def: $sgpr13
	s_and_saveexec_b64 s[20:21], vcc
; %bb.1398:
	s_mov_b32 s13, 0x7f800001
	s_xor_b64 s[10:11], exec, -1
; %bb.1399:
	s_or_b64 exec, exec, s[20:21]
	s_and_b64 s[10:11], s[10:11], exec
	s_or_saveexec_b64 s[18:19], s[18:19]
	v_mov_b32_e32 v8, s13
	s_xor_b64 exec, exec, s[18:19]
	s_cbranch_execnz .LBB78_1418
.LBB78_1400:
	s_or_b64 exec, exec, s[18:19]
	s_and_saveexec_b64 s[18:19], s[10:11]
	s_cbranch_execz .LBB78_1402
.LBB78_1401:
	v_lshlrev_b32_e32 v8, 24, v3
	v_and_b32_e32 v3, 0xffff, v3
	v_and_b32_e32 v9, 7, v3
	v_ffbh_u32_e32 v11, v9
	v_min_u32_e32 v11, 32, v11
	v_subrev_u32_e32 v12, 28, v11
	v_bfe_u32 v10, v3, 3, 4
	v_lshlrev_b32_e32 v3, v12, v3
	v_sub_u32_e32 v11, 29, v11
	v_and_b32_e32 v3, 7, v3
	v_cmp_eq_u32_e32 vcc, 0, v10
	v_cndmask_b32_e32 v10, v10, v11, vcc
	v_cndmask_b32_e32 v3, v9, v3, vcc
	v_mov_b32_e32 v9, 0x3b800000
	v_lshlrev_b32_e32 v3, 20, v3
	v_and_b32_e32 v8, 0x80000000, v8
	v_lshl_add_u32 v9, v10, 23, v9
	v_or3_b32 v8, v8, v9, v3
.LBB78_1402:
	s_or_b64 exec, exec, s[18:19]
.LBB78_1403:
	s_mov_b64 s[10:11], -1
.LBB78_1404:
	s_mov_b64 s[18:19], 0
.LBB78_1405:
	s_and_b64 vcc, exec, s[18:19]
	s_cbranch_vccz .LBB78_1438
; %bb.1406:
	v_cmp_lt_i16_e32 vcc, 22, v5
	s_cbranch_vccz .LBB78_1416
; %bb.1407:
	v_cmp_gt_i16_e32 vcc, 24, v5
	s_cbranch_vccnz .LBB78_1419
; %bb.1408:
	v_cmp_lt_i16_e32 vcc, 24, v5
	s_cbranch_vccz .LBB78_1420
; %bb.1409:
	global_load_ubyte v3, v[0:1], off
	s_movk_i32 s4, 0x7f
                                        ; implicit-def: $sgpr13
	s_waitcnt vmcnt(0)
	v_cmp_lt_i16_e32 vcc, s4, v3
	s_mov_b64 s[4:5], 0
	s_and_saveexec_b64 s[10:11], vcc
	s_xor_b64 s[10:11], exec, s[10:11]
	s_cbranch_execz .LBB78_1432
; %bb.1410:
	s_movk_i32 s4, 0x80
	v_cmp_eq_u16_e32 vcc, s4, v3
	s_mov_b64 s[4:5], -1
                                        ; implicit-def: $sgpr13
	s_and_saveexec_b64 s[18:19], vcc
; %bb.1411:
	s_mov_b32 s13, 0x7f800001
	s_xor_b64 s[4:5], exec, -1
; %bb.1412:
	s_or_b64 exec, exec, s[18:19]
	s_and_b64 s[4:5], s[4:5], exec
	s_or_saveexec_b64 s[10:11], s[10:11]
	v_mov_b32_e32 v8, s13
	s_xor_b64 exec, exec, s[10:11]
	s_cbranch_execnz .LBB78_1433
.LBB78_1413:
	s_or_b64 exec, exec, s[10:11]
	s_and_saveexec_b64 s[10:11], s[4:5]
	s_cbranch_execz .LBB78_1415
.LBB78_1414:
	v_lshlrev_b32_e32 v8, 24, v3
	v_and_b32_e32 v3, 0xffff, v3
	v_and_b32_e32 v9, 3, v3
	v_ffbh_u32_e32 v11, v9
	v_min_u32_e32 v11, 32, v11
	v_subrev_u32_e32 v12, 29, v11
	v_bfe_u32 v10, v3, 2, 5
	v_lshlrev_b32_e32 v3, v12, v3
	v_sub_u32_e32 v11, 30, v11
	v_and_b32_e32 v3, 3, v3
	v_cmp_eq_u32_e32 vcc, 0, v10
	v_cndmask_b32_e32 v10, v10, v11, vcc
	v_cndmask_b32_e32 v3, v9, v3, vcc
	v_mov_b32_e32 v9, 0x37800000
	v_lshlrev_b32_e32 v3, 21, v3
	v_and_b32_e32 v8, 0x80000000, v8
	v_lshl_add_u32 v9, v10, 23, v9
	v_or3_b32 v8, v8, v9, v3
.LBB78_1415:
	s_or_b64 exec, exec, s[10:11]
	s_mov_b64 s[4:5], 0
	s_branch .LBB78_1421
.LBB78_1416:
	s_mov_b64 s[4:5], -1
                                        ; implicit-def: $vgpr8
	s_branch .LBB78_1427
.LBB78_1417:
	s_or_saveexec_b64 s[18:19], s[18:19]
	v_mov_b32_e32 v8, s13
	s_xor_b64 exec, exec, s[18:19]
	s_cbranch_execz .LBB78_1400
.LBB78_1418:
	v_cmp_ne_u16_e32 vcc, 0, v3
	s_andn2_b64 s[10:11], s[10:11], exec
	s_and_b64 s[20:21], vcc, exec
	v_mov_b32_e32 v8, 0
	s_or_b64 s[10:11], s[10:11], s[20:21]
	s_or_b64 exec, exec, s[18:19]
	s_and_saveexec_b64 s[18:19], s[10:11]
	s_cbranch_execnz .LBB78_1401
	s_branch .LBB78_1402
.LBB78_1419:
	s_mov_b64 s[4:5], -1
                                        ; implicit-def: $vgpr8
	s_branch .LBB78_1424
.LBB78_1420:
	s_mov_b64 s[4:5], -1
                                        ; implicit-def: $vgpr8
.LBB78_1421:
	s_and_b64 vcc, exec, s[4:5]
	s_cbranch_vccz .LBB78_1423
; %bb.1422:
	global_load_ubyte v3, v[0:1], off
	s_mov_b32 s4, 0x7f800000
	s_waitcnt vmcnt(0)
	v_lshlrev_b32_e32 v3, 24, v3
	v_and_b32_e32 v8, 0x7f000000, v3
	v_ffbh_u32_e32 v9, v8
	v_min_u32_e32 v9, 32, v9
	v_sub_u32_e64 v9, v9, 4 clamp
	v_lshlrev_b32_e32 v11, v9, v8
	v_lshlrev_b32_e32 v9, 23, v9
	v_lshrrev_b32_e32 v11, 4, v11
	v_add_u32_e32 v10, 0x1000000, v8
	v_sub_u32_e32 v9, v11, v9
	v_ashrrev_i32_e32 v10, 8, v10
	v_add_u32_e32 v9, 0x3c000000, v9
	v_and_or_b32 v9, v10, s4, v9
	v_cmp_ne_u32_e32 vcc, 0, v8
	v_cndmask_b32_e32 v8, 0, v9, vcc
	s_brev_b32 s4, 1
	v_and_or_b32 v8, v3, s4, v8
.LBB78_1423:
	s_mov_b64 s[4:5], 0
.LBB78_1424:
	s_andn2_b64 vcc, exec, s[4:5]
	s_cbranch_vccnz .LBB78_1426
; %bb.1425:
	global_load_ubyte v3, v[0:1], off
	s_movk_i32 s4, 0x7f00
	s_brev_b32 s5, 16
	s_waitcnt vmcnt(0)
	v_lshlrev_b16_e32 v8, 8, v3
	v_lshlrev_b32_e32 v3, 25, v3
	v_lshrrev_b32_e32 v9, 4, v3
	v_and_or_b32 v10, v8, s4, 0.5
	v_or_b32_e32 v9, 0x70000000, v9
	v_add_f32_e32 v10, -0.5, v10
	v_mul_f32_e32 v9, 0x7800000, v9
	v_cmp_gt_u32_e32 vcc, s5, v3
	v_bfe_i32 v8, v8, 0, 16
	v_cndmask_b32_e32 v3, v9, v10, vcc
	s_brev_b32 s4, 1
	v_and_or_b32 v8, v8, s4, v3
.LBB78_1426:
	s_mov_b64 s[4:5], 0
	s_mov_b64 s[10:11], -1
.LBB78_1427:
	s_andn2_b64 vcc, exec, s[4:5]
	s_mov_b64 s[4:5], 0
	s_cbranch_vccnz .LBB78_1438
; %bb.1428:
	v_cmp_lt_i16_e32 vcc, 14, v5
	s_cbranch_vccz .LBB78_1431
; %bb.1429:
	v_cmp_eq_u16_e32 vcc, 15, v5
	s_cbranch_vccz .LBB78_1434
; %bb.1430:
	global_load_ushort v3, v[0:1], off
	s_mov_b64 s[0:1], 0
	s_mov_b64 s[10:11], -1
	s_waitcnt vmcnt(0)
	v_lshlrev_b32_e32 v8, 16, v3
	s_branch .LBB78_1435
.LBB78_1431:
	s_mov_b64 s[18:19], -1
                                        ; implicit-def: $vgpr8
	s_branch .LBB78_1436
.LBB78_1432:
	s_or_saveexec_b64 s[10:11], s[10:11]
	v_mov_b32_e32 v8, s13
	s_xor_b64 exec, exec, s[10:11]
	s_cbranch_execz .LBB78_1413
.LBB78_1433:
	v_cmp_ne_u16_e32 vcc, 0, v3
	s_andn2_b64 s[4:5], s[4:5], exec
	s_and_b64 s[18:19], vcc, exec
	v_mov_b32_e32 v8, 0
	s_or_b64 s[4:5], s[4:5], s[18:19]
	s_or_b64 exec, exec, s[10:11]
	s_and_saveexec_b64 s[10:11], s[4:5]
	s_cbranch_execnz .LBB78_1414
	s_branch .LBB78_1415
.LBB78_1434:
	s_mov_b64 s[0:1], -1
                                        ; implicit-def: $vgpr8
.LBB78_1435:
	s_mov_b64 s[18:19], 0
.LBB78_1436:
	s_and_b64 vcc, exec, s[18:19]
	s_cbranch_vccz .LBB78_1438
; %bb.1437:
	v_cmp_ne_u16_e64 s[0:1], 11, v5
	s_mov_b64 s[4:5], -1
                                        ; implicit-def: $vgpr8
.LBB78_1438:
	s_and_b64 vcc, exec, s[0:1]
	s_cbranch_vccnz .LBB78_1502
; %bb.1439:
	s_andn2_b64 vcc, exec, s[4:5]
	s_cbranch_vccnz .LBB78_1441
.LBB78_1440:
	global_load_ubyte v3, v[0:1], off
	s_mov_b64 s[10:11], -1
	s_waitcnt vmcnt(0)
	v_cmp_ne_u16_e32 vcc, 0, v3
	v_cndmask_b32_e64 v8, 0, 1.0, vcc
.LBB78_1441:
	s_mov_b64 s[0:1], 0
.LBB78_1442:
	s_and_b64 vcc, exec, s[0:1]
	s_cbranch_vccz .LBB78_1491
; %bb.1443:
	v_cmp_gt_i16_e32 vcc, 5, v5
	s_cbranch_vccnz .LBB78_1448
; %bb.1444:
	v_cmp_gt_i16_e32 vcc, 8, v5
	s_cbranch_vccnz .LBB78_1449
	;; [unrolled: 3-line block ×3, first 2 shown]
; %bb.1446:
	v_cmp_lt_i16_e32 vcc, 9, v5
	s_cbranch_vccz .LBB78_1451
; %bb.1447:
	global_load_dwordx2 v[8:9], v[0:1], off
	s_mov_b64 s[0:1], 0
	s_waitcnt vmcnt(0)
	v_cvt_f32_f64_e32 v8, v[8:9]
	s_branch .LBB78_1452
.LBB78_1448:
	s_mov_b64 s[0:1], -1
                                        ; implicit-def: $vgpr8
	s_branch .LBB78_1470
.LBB78_1449:
	s_mov_b64 s[0:1], -1
                                        ; implicit-def: $vgpr8
	s_branch .LBB78_1458
.LBB78_1450:
	s_mov_b64 s[0:1], -1
                                        ; implicit-def: $vgpr8
	s_branch .LBB78_1455
.LBB78_1451:
	s_mov_b64 s[0:1], -1
                                        ; implicit-def: $vgpr8
.LBB78_1452:
	s_andn2_b64 vcc, exec, s[0:1]
	s_cbranch_vccnz .LBB78_1454
; %bb.1453:
	global_load_dword v8, v[0:1], off
.LBB78_1454:
	s_mov_b64 s[0:1], 0
.LBB78_1455:
	s_andn2_b64 vcc, exec, s[0:1]
	s_cbranch_vccnz .LBB78_1457
; %bb.1456:
	global_load_dword v3, v[0:1], off
	s_waitcnt vmcnt(0)
	v_cvt_f32_f16_e32 v8, v3
.LBB78_1457:
	s_mov_b64 s[0:1], 0
.LBB78_1458:
	s_andn2_b64 vcc, exec, s[0:1]
	s_cbranch_vccnz .LBB78_1469
; %bb.1459:
	v_cmp_gt_i16_e32 vcc, 6, v5
	s_cbranch_vccnz .LBB78_1462
; %bb.1460:
	v_cmp_lt_i16_e32 vcc, 6, v5
	s_cbranch_vccz .LBB78_1463
; %bb.1461:
	global_load_dwordx2 v[8:9], v[0:1], off
	s_mov_b64 s[0:1], 0
	s_waitcnt vmcnt(0)
	v_cvt_f32_f64_e32 v8, v[8:9]
	s_branch .LBB78_1464
.LBB78_1462:
	s_mov_b64 s[0:1], -1
                                        ; implicit-def: $vgpr8
	s_branch .LBB78_1467
.LBB78_1463:
	s_mov_b64 s[0:1], -1
                                        ; implicit-def: $vgpr8
.LBB78_1464:
	s_andn2_b64 vcc, exec, s[0:1]
	s_cbranch_vccnz .LBB78_1466
; %bb.1465:
	global_load_dword v8, v[0:1], off
.LBB78_1466:
	s_mov_b64 s[0:1], 0
.LBB78_1467:
	s_andn2_b64 vcc, exec, s[0:1]
	s_cbranch_vccnz .LBB78_1469
; %bb.1468:
	global_load_ushort v3, v[0:1], off
	s_waitcnt vmcnt(0)
	v_cvt_f32_f16_e32 v8, v3
.LBB78_1469:
	s_mov_b64 s[0:1], 0
.LBB78_1470:
	s_andn2_b64 vcc, exec, s[0:1]
	s_cbranch_vccnz .LBB78_1490
; %bb.1471:
	v_cmp_gt_i16_e32 vcc, 2, v5
	s_cbranch_vccnz .LBB78_1475
; %bb.1472:
	v_cmp_gt_i16_e32 vcc, 3, v5
	s_cbranch_vccnz .LBB78_1476
; %bb.1473:
	v_cmp_lt_i16_e32 vcc, 3, v5
	s_cbranch_vccz .LBB78_1477
; %bb.1474:
	global_load_dwordx2 v[8:9], v[0:1], off
	s_mov_b64 s[0:1], 0
	s_waitcnt vmcnt(0)
	v_xor_b32_e32 v10, v8, v9
	v_ffbh_i32_e32 v3, v9
	v_ashrrev_i32_e32 v10, 31, v10
	v_add_u32_e32 v3, -1, v3
	v_add_u32_e32 v10, 32, v10
	v_min_u32_e32 v3, v3, v10
	v_lshlrev_b64 v[8:9], v3, v[8:9]
	v_min_u32_e32 v8, 1, v8
	v_or_b32_e32 v8, v9, v8
	v_cvt_f32_i32_e32 v8, v8
	v_sub_u32_e32 v3, 32, v3
	v_ldexp_f32 v8, v8, v3
	s_branch .LBB78_1478
.LBB78_1475:
	s_mov_b64 s[0:1], -1
                                        ; implicit-def: $vgpr8
	s_branch .LBB78_1484
.LBB78_1476:
	s_mov_b64 s[0:1], -1
                                        ; implicit-def: $vgpr8
	s_branch .LBB78_1481
.LBB78_1477:
	s_mov_b64 s[0:1], -1
                                        ; implicit-def: $vgpr8
.LBB78_1478:
	s_andn2_b64 vcc, exec, s[0:1]
	s_cbranch_vccnz .LBB78_1480
; %bb.1479:
	global_load_dword v3, v[0:1], off
	s_waitcnt vmcnt(0)
	v_cvt_f32_i32_e32 v8, v3
.LBB78_1480:
	s_mov_b64 s[0:1], 0
.LBB78_1481:
	s_andn2_b64 vcc, exec, s[0:1]
	s_cbranch_vccnz .LBB78_1483
; %bb.1482:
	global_load_sshort v3, v[0:1], off
	s_waitcnt vmcnt(0)
	v_cvt_f32_i32_e32 v8, v3
.LBB78_1483:
	s_mov_b64 s[0:1], 0
.LBB78_1484:
	s_andn2_b64 vcc, exec, s[0:1]
	s_cbranch_vccnz .LBB78_1490
; %bb.1485:
	v_cmp_lt_i16_e32 vcc, 0, v5
	s_cbranch_vccz .LBB78_1487
; %bb.1486:
	global_load_sbyte v3, v[0:1], off
	s_mov_b64 s[0:1], 0
	s_waitcnt vmcnt(0)
	v_cvt_f32_i32_e32 v8, v3
	s_branch .LBB78_1488
.LBB78_1487:
	s_mov_b64 s[0:1], -1
                                        ; implicit-def: $vgpr8
.LBB78_1488:
	s_andn2_b64 vcc, exec, s[0:1]
	s_cbranch_vccnz .LBB78_1490
; %bb.1489:
	global_load_ubyte v0, v[0:1], off
	s_waitcnt vmcnt(0)
	v_cvt_f32_ubyte0_e32 v8, v0
.LBB78_1490:
	s_mov_b64 s[10:11], -1
.LBB78_1491:
	s_andn2_b64 vcc, exec, s[10:11]
	s_cbranch_vccnz .LBB78_1914
; %bb.1492:
	s_brev_b32 s0, -2
	v_mov_b32_e32 v0, s2
	v_mul_lo_u32 v4, s12, v4
	s_waitcnt vmcnt(0)
	v_bfi_b32 v2, s0, v0, v2
	v_ashrrev_i32_e32 v1, 31, v4
	v_mov_b32_e32 v3, s9
	v_add_co_u32_e32 v0, vcc, s8, v4
	v_addc_co_u32_e32 v1, vcc, v3, v1, vcc
	v_mov_b32_e32 v3, 11
	v_cmp_lt_i16_sdwa s[0:1], s3, v3 src0_sel:BYTE_0 src1_sel:DWORD
	s_and_b64 vcc, exec, s[0:1]
	s_cbranch_vccnz .LBB78_1499
; %bb.1493:
	v_mov_b32_e32 v3, 25
	v_cmp_gt_i16_sdwa s[0:1], s3, v3 src0_sel:BYTE_0 src1_sel:DWORD
	s_mov_b64 s[18:19], -1
	s_mov_b64 s[4:5], 0
	s_and_b64 vcc, exec, s[0:1]
	s_mov_b64 s[10:11], 0
	s_mov_b64 s[0:1], 0
	s_cbranch_vccz .LBB78_1533
; %bb.1494:
	v_mov_b32_e32 v3, 28
	v_cmp_gt_i16_sdwa s[0:1], s3, v3 src0_sel:BYTE_0 src1_sel:DWORD
	s_and_b64 vcc, exec, s[0:1]
	s_cbranch_vccz .LBB78_1500
; %bb.1495:
	v_mov_b32_e32 v3, 43
	v_cmp_gt_i16_sdwa s[0:1], s3, v3 src0_sel:BYTE_0 src1_sel:DWORD
	s_and_b64 vcc, exec, s[0:1]
	;; [unrolled: 5-line block ×3, first 2 shown]
	s_cbranch_vccz .LBB78_1503
; %bb.1497:
	v_mov_b32_e32 v3, 46
	v_cmp_eq_u16_sdwa s[10:11], s3, v3 src0_sel:BYTE_0 src1_sel:DWORD
	s_mov_b64 s[0:1], -1
	s_mov_b64 s[18:19], 0
	s_and_b64 vcc, exec, s[10:11]
	s_mov_b64 s[10:11], 0
	s_cbranch_vccz .LBB78_1504
; %bb.1498:
	v_bfe_u32 v3, v2, 16, 1
	s_movk_i32 s0, 0x7fff
	v_add3_u32 v3, v2, v3, s0
	v_lshrrev_b32_e32 v3, 16, v3
	v_mov_b32_e32 v5, 0x7fc0
	v_cmp_o_f32_e32 vcc, v2, v2
	v_cndmask_b32_e32 v3, v5, v3, vcc
	global_store_dword v[0:1], v3, off
	s_mov_b64 s[0:1], 0
	s_mov_b64 s[10:11], -1
	s_branch .LBB78_1504
.LBB78_1499:
	s_mov_b64 s[0:1], -1
	s_mov_b64 s[10:11], 0
	s_branch .LBB78_1583
.LBB78_1500:
	s_mov_b64 s[0:1], 0
	s_branch .LBB78_1514
.LBB78_1501:
	s_mov_b64 s[0:1], 0
	s_branch .LBB78_1510
.LBB78_1502:
	s_trap 2
	s_or_b64 s[16:17], s[16:17], exec
                                        ; implicit-def: $vgpr8
	s_cbranch_execz .LBB78_1440
	s_branch .LBB78_1441
.LBB78_1503:
	s_mov_b64 s[0:1], 0
.LBB78_1504:
	s_and_b64 vcc, exec, s[18:19]
	s_cbranch_vccz .LBB78_1509
; %bb.1505:
	v_mov_b32_e32 v3, 44
	v_cmp_eq_u16_sdwa s[18:19], s3, v3 src0_sel:BYTE_0 src1_sel:DWORD
	s_mov_b64 s[0:1], -1
	s_and_b64 vcc, exec, s[18:19]
	s_cbranch_vccz .LBB78_1509
; %bb.1506:
	v_bfe_u32 v3, v2, 23, 8
	s_movk_i32 s0, 0xff
	v_cmp_ne_u32_e32 vcc, s0, v3
	v_mov_b32_e32 v5, 0xff
	s_and_saveexec_b64 s[10:11], vcc
; %bb.1507:
	s_mov_b32 s0, 0x3fffff
	v_and_b32_e32 v9, 0x400000, v2
	v_and_or_b32 v3, v2, s0, v3
	v_cmp_ne_u32_e32 vcc, 0, v9
	v_cmp_ne_u32_e64 s[0:1], 0, v3
	s_and_b64 s[0:1], vcc, s[0:1]
	v_lshrrev_b32_e32 v5, 23, v2
	v_cndmask_b32_e64 v3, 0, 1, s[0:1]
	v_add_u32_e32 v5, v5, v3
; %bb.1508:
	s_or_b64 exec, exec, s[10:11]
	s_mov_b64 s[0:1], 0
	s_mov_b64 s[10:11], -1
	global_store_byte v[0:1], v5, off
.LBB78_1509:
	s_mov_b64 s[18:19], 0
.LBB78_1510:
	s_and_b64 vcc, exec, s[18:19]
	s_cbranch_vccz .LBB78_1513
; %bb.1511:
	v_mov_b32_e32 v3, 29
	v_cmp_eq_u16_sdwa s[18:19], s3, v3 src0_sel:BYTE_0 src1_sel:DWORD
	s_mov_b64 s[0:1], -1
	s_and_b64 vcc, exec, s[18:19]
	s_cbranch_vccz .LBB78_1513
; %bb.1512:
	v_trunc_f32_e32 v3, v2
	v_mul_f32_e32 v5, 0x2f800000, v3
	v_floor_f32_e32 v5, v5
	v_fmac_f32_e32 v3, 0xcf800000, v5
	v_cvt_u32_f32_e32 v11, v5
	v_cvt_u32_f32_e32 v10, v3
	s_mov_b64 s[0:1], 0
	s_mov_b64 s[10:11], -1
	s_mov_b64 s[18:19], 0
	global_store_dwordx2 v[0:1], v[10:11], off
	s_branch .LBB78_1514
.LBB78_1513:
	s_mov_b64 s[18:19], 0
.LBB78_1514:
	s_and_b64 vcc, exec, s[18:19]
	s_cbranch_vccz .LBB78_1532
; %bb.1515:
	v_mov_b32_e32 v3, 27
	v_cmp_lt_i16_sdwa s[18:19], s3, v3 src0_sel:BYTE_0 src1_sel:DWORD
	s_mov_b64 s[10:11], -1
	s_and_b64 vcc, exec, s[18:19]
	s_cbranch_vccnz .LBB78_1521
; %bb.1516:
	v_cmp_gt_i16_sdwa s[18:19], s3, v3 src0_sel:BYTE_0 src1_sel:DWORD
	v_cvt_u32_f32_e32 v3, v2
	s_and_b64 vcc, exec, s[18:19]
	s_cbranch_vccz .LBB78_1518
; %bb.1517:
	s_mov_b64 s[10:11], 0
	global_store_dword v[0:1], v3, off
.LBB78_1518:
	s_andn2_b64 vcc, exec, s[10:11]
	s_cbranch_vccnz .LBB78_1520
; %bb.1519:
	global_store_short v[0:1], v3, off
.LBB78_1520:
	s_mov_b64 s[10:11], 0
.LBB78_1521:
	s_andn2_b64 vcc, exec, s[10:11]
	s_cbranch_vccnz .LBB78_1531
; %bb.1522:
	s_and_b32 s10, s2, 0x7fffffff
	s_cmp_gt_u32 s10, 0x437fffff
	v_mov_b32_e32 v5, 0x80
	s_cbranch_scc1 .LBB78_1530
; %bb.1523:
	s_cmp_gt_u32 s10, 0x3bffffff
	s_cbranch_scc0 .LBB78_1525
; %bb.1524:
	v_bfe_u32 v3, v2, 20, 1
	s_mov_b32 s10, 0x487ffff
	v_add3_u32 v3, v2, v3, s10
	v_lshrrev_b32_e32 v3, 20, v3
	s_mov_b64 s[18:19], 0
	s_mov_b64 s[10:11], -1
	s_branch .LBB78_1526
.LBB78_1525:
	s_mov_b64 s[18:19], -1
	s_mov_b64 s[10:11], 0
                                        ; implicit-def: $vgpr3
.LBB78_1526:
	s_andn2_b64 vcc, exec, s[18:19]
                                        ; implicit-def: $sgpr13
	s_cbranch_vccnz .LBB78_1528
; %bb.1527:
	v_mov_b32_e32 v3, 0x46000000
	v_add_f32_e64 v3, |s2|, v3
	v_and_b32_e32 v3, 0xff, v3
	s_mov_b32 s13, 0
	v_cmp_ne_u32_e64 s[10:11], 0, v3
.LBB78_1528:
	s_andn2_b64 vcc, exec, s[10:11]
	v_mov_b32_e32 v5, s13
	s_cbranch_vccnz .LBB78_1530
; %bb.1529:
	v_lshrrev_b32_e32 v5, 24, v2
	s_movk_i32 s10, 0x80
	v_and_or_b32 v5, v5, s10, v3
.LBB78_1530:
	global_store_byte v[0:1], v5, off
.LBB78_1531:
	s_mov_b64 s[10:11], -1
.LBB78_1532:
	s_mov_b64 s[18:19], 0
.LBB78_1533:
	s_and_b64 vcc, exec, s[18:19]
	s_cbranch_vccz .LBB78_1579
; %bb.1534:
	v_mov_b32_e32 v3, 22
	v_cmp_gt_i16_sdwa s[18:19], s3, v3 src0_sel:BYTE_0 src1_sel:DWORD
	s_mov_b64 s[4:5], -1
	s_and_b64 vcc, exec, s[18:19]
	s_cbranch_vccz .LBB78_1572
; %bb.1535:
	v_mov_b32_e32 v3, 24
	v_cmp_lt_i16_sdwa s[10:11], s3, v3 src0_sel:BYTE_0 src1_sel:DWORD
	s_and_b64 vcc, exec, s[10:11]
	s_cbranch_vccnz .LBB78_1559
; %bb.1536:
	v_cmp_gt_i16_sdwa s[10:11], s3, v3 src0_sel:BYTE_0 src1_sel:DWORD
	s_and_b64 vcc, exec, s[10:11]
	s_cbranch_vccz .LBB78_1546
; %bb.1537:
	s_and_b32 s4, s2, 0x7fffffff
	s_cmp_gt_u32 s4, 0x477fffff
	v_mov_b32_e32 v5, 0x80
	s_cbranch_scc1 .LBB78_1545
; %bb.1538:
	s_cmp_gt_u32 s4, 0x37ffffff
	s_cbranch_scc0 .LBB78_1540
; %bb.1539:
	v_bfe_u32 v3, v2, 21, 1
	s_mov_b32 s4, 0x88fffff
	v_add3_u32 v3, v2, v3, s4
	v_lshrrev_b32_e32 v3, 21, v3
	s_mov_b64 s[10:11], 0
	s_mov_b64 s[4:5], -1
	s_branch .LBB78_1541
.LBB78_1540:
	s_mov_b64 s[10:11], -1
	s_mov_b64 s[4:5], 0
                                        ; implicit-def: $vgpr3
.LBB78_1541:
	s_andn2_b64 vcc, exec, s[10:11]
                                        ; implicit-def: $sgpr10
	s_cbranch_vccnz .LBB78_1543
; %bb.1542:
	v_mov_b32_e32 v3, 0x42800000
	v_add_f32_e64 v3, |s2|, v3
	v_and_b32_e32 v3, 0xff, v3
	s_mov_b32 s10, 0
	v_cmp_ne_u32_e64 s[4:5], 0, v3
.LBB78_1543:
	s_andn2_b64 vcc, exec, s[4:5]
	v_mov_b32_e32 v5, s10
	s_cbranch_vccnz .LBB78_1545
; %bb.1544:
	v_lshrrev_b32_e32 v5, 24, v2
	s_movk_i32 s4, 0x80
	v_and_or_b32 v5, v5, s4, v3
.LBB78_1545:
	s_mov_b64 s[4:5], 0
	global_store_byte v[0:1], v5, off
.LBB78_1546:
	s_and_b64 vcc, exec, s[4:5]
	s_cbranch_vccz .LBB78_1558
; %bb.1547:
	s_and_b32 s10, s2, 0x7fffffff
	s_cmp_lt_u32 s10, 0x43f00000
	s_cbranch_scc0 .LBB78_1550
; %bb.1548:
	s_cmp_gt_u32 s10, 0x3c7fffff
	s_cbranch_scc0 .LBB78_1551
; %bb.1549:
	v_bfe_u32 v3, v2, 20, 1
	s_mov_b32 s4, 0x407ffff
	v_add3_u32 v3, v2, v3, s4
	v_lshrrev_b32_e32 v5, 20, v3
	v_and_b32_e32 v3, 0xff00000, v3
	s_mov_b32 s4, 0x7f00000
	v_mov_b32_e32 v9, 0x7e
	v_cmp_ne_u32_e32 vcc, s4, v3
	v_cndmask_b32_e32 v3, v9, v5, vcc
	s_mov_b64 s[4:5], 0
	s_branch .LBB78_1552
.LBB78_1550:
	s_mov_b64 s[4:5], -1
                                        ; implicit-def: $vgpr3
	s_branch .LBB78_1555
.LBB78_1551:
	s_mov_b64 s[4:5], -1
                                        ; implicit-def: $vgpr3
.LBB78_1552:
	s_andn2_b64 vcc, exec, s[4:5]
	s_cbranch_vccnz .LBB78_1554
; %bb.1553:
	v_mov_b32_e32 v3, 0x46800000
	v_add_f32_e64 v3, |s2|, v3
.LBB78_1554:
	s_mov_b64 s[4:5], 0
.LBB78_1555:
	s_andn2_b64 vcc, exec, s[4:5]
	s_cbranch_vccnz .LBB78_1557
; %bb.1556:
	s_cmp_gt_u32 s10, 0x7f800000
	s_movk_i32 s4, 0x7f
	s_cselect_b32 s4, s4, 0x7e
	v_mov_b32_e32 v3, s4
.LBB78_1557:
	v_lshrrev_b32_e32 v5, 24, v2
	s_movk_i32 s4, 0x80
	v_and_or_b32 v3, v5, s4, v3
	global_store_byte v[0:1], v3, off
.LBB78_1558:
	s_mov_b64 s[4:5], 0
.LBB78_1559:
	s_andn2_b64 vcc, exec, s[4:5]
	s_cbranch_vccnz .LBB78_1571
; %bb.1560:
	s_and_b32 s10, s2, 0x7fffffff
	s_cmp_lt_u32 s10, 0x47800000
	s_cbranch_scc0 .LBB78_1563
; %bb.1561:
	s_cmp_gt_u32 s10, 0x387fffff
	s_cbranch_scc0 .LBB78_1564
; %bb.1562:
	v_bfe_u32 v3, v2, 21, 1
	s_mov_b32 s4, 0x80fffff
	v_add3_u32 v3, v2, v3, s4
	v_lshrrev_b32_e32 v3, 21, v3
	s_mov_b64 s[4:5], 0
	s_branch .LBB78_1565
.LBB78_1563:
	s_mov_b64 s[4:5], -1
                                        ; implicit-def: $vgpr3
	s_branch .LBB78_1568
.LBB78_1564:
	s_mov_b64 s[4:5], -1
                                        ; implicit-def: $vgpr3
.LBB78_1565:
	s_andn2_b64 vcc, exec, s[4:5]
	s_cbranch_vccnz .LBB78_1567
; %bb.1566:
	v_mov_b32_e32 v3, 0x43000000
	v_add_f32_e64 v3, |s2|, v3
.LBB78_1567:
	s_mov_b64 s[4:5], 0
.LBB78_1568:
	s_andn2_b64 vcc, exec, s[4:5]
	s_cbranch_vccnz .LBB78_1570
; %bb.1569:
	s_cmp_gt_u32 s10, 0x7f800000
	s_movk_i32 s4, 0x7f
	s_cselect_b32 s4, s4, 0x7c
	v_mov_b32_e32 v3, s4
.LBB78_1570:
	v_lshrrev_b32_e32 v5, 24, v2
	s_movk_i32 s4, 0x80
	v_and_or_b32 v3, v5, s4, v3
	global_store_byte v[0:1], v3, off
.LBB78_1571:
	s_mov_b64 s[4:5], 0
	s_mov_b64 s[10:11], -1
.LBB78_1572:
	s_andn2_b64 vcc, exec, s[4:5]
	s_mov_b64 s[4:5], 0
	s_cbranch_vccnz .LBB78_1579
; %bb.1573:
	v_mov_b32_e32 v3, 14
	v_cmp_gt_i16_sdwa s[4:5], s3, v3 src0_sel:BYTE_0 src1_sel:DWORD
	s_mov_b64 s[18:19], -1
	s_and_b64 vcc, exec, s[4:5]
	s_cbranch_vccz .LBB78_1577
; %bb.1574:
	v_mov_b32_e32 v3, 15
	v_cmp_eq_u16_sdwa s[4:5], s3, v3 src0_sel:BYTE_0 src1_sel:DWORD
	s_mov_b64 s[0:1], -1
	s_and_b64 vcc, exec, s[4:5]
	s_cbranch_vccz .LBB78_1576
; %bb.1575:
	v_bfe_u32 v3, v2, 16, 1
	s_movk_i32 s0, 0x7fff
	v_add3_u32 v3, v2, v3, s0
	v_lshrrev_b32_e32 v3, 16, v3
	v_mov_b32_e32 v5, 0x7fc0
	v_cmp_o_f32_e32 vcc, v2, v2
	v_cndmask_b32_e32 v3, v5, v3, vcc
	global_store_short v[0:1], v3, off
	s_mov_b64 s[0:1], 0
	s_mov_b64 s[10:11], -1
.LBB78_1576:
	s_mov_b64 s[18:19], 0
.LBB78_1577:
	s_mov_b64 s[4:5], 0
	s_and_b64 vcc, exec, s[18:19]
	s_cbranch_vccz .LBB78_1579
; %bb.1578:
	v_mov_b32_e32 v3, 11
	v_cmp_ne_u16_sdwa s[0:1], s3, v3 src0_sel:BYTE_0 src1_sel:DWORD
	s_mov_b64 s[4:5], -1
.LBB78_1579:
	s_and_b64 vcc, exec, s[0:1]
	s_cbranch_vccnz .LBB78_1633
; %bb.1580:
	s_andn2_b64 vcc, exec, s[4:5]
	s_cbranch_vccnz .LBB78_1582
.LBB78_1581:
	v_cmp_neq_f32_e32 vcc, 0, v2
	v_cndmask_b32_e64 v3, 0, 1, vcc
	s_mov_b64 s[10:11], -1
	global_store_byte v[0:1], v3, off
.LBB78_1582:
	s_mov_b64 s[0:1], 0
.LBB78_1583:
	s_and_b64 vcc, exec, s[0:1]
	s_cbranch_vccz .LBB78_1622
; %bb.1584:
	v_mov_b32_e32 v3, 5
	v_cmp_lt_i16_sdwa s[4:5], s3, v3 src0_sel:BYTE_0 src1_sel:DWORD
	s_mov_b64 s[0:1], -1
	s_and_b64 vcc, exec, s[4:5]
	s_cbranch_vccnz .LBB78_1605
; %bb.1585:
	v_mov_b32_e32 v3, 8
	v_cmp_lt_i16_sdwa s[4:5], s3, v3 src0_sel:BYTE_0 src1_sel:DWORD
	s_and_b64 vcc, exec, s[4:5]
	s_cbranch_vccnz .LBB78_1595
; %bb.1586:
	v_mov_b32_e32 v3, 9
	v_cmp_lt_i16_sdwa s[4:5], s3, v3 src0_sel:BYTE_0 src1_sel:DWORD
	s_and_b64 vcc, exec, s[4:5]
	s_cbranch_vccnz .LBB78_1592
; %bb.1587:
	v_cmp_gt_i16_sdwa s[4:5], s3, v3 src0_sel:BYTE_0 src1_sel:DWORD
	s_and_b64 vcc, exec, s[4:5]
	s_cbranch_vccz .LBB78_1589
; %bb.1588:
	v_mov_b32_e32 v12, 0
	v_cvt_f64_f32_e32 v[10:11], v2
	v_mov_b32_e32 v13, v12
	global_store_dwordx4 v[0:1], v[10:13], off
	s_mov_b64 s[0:1], 0
.LBB78_1589:
	s_andn2_b64 vcc, exec, s[0:1]
	s_cbranch_vccnz .LBB78_1591
; %bb.1590:
	v_mov_b32_e32 v3, 0
	global_store_dwordx2 v[0:1], v[2:3], off
.LBB78_1591:
	s_mov_b64 s[0:1], 0
.LBB78_1592:
	s_andn2_b64 vcc, exec, s[0:1]
	s_cbranch_vccnz .LBB78_1594
; %bb.1593:
	v_cvt_f16_f32_e32 v3, v2
	global_store_dword v[0:1], v3, off
.LBB78_1594:
	s_mov_b64 s[0:1], 0
.LBB78_1595:
	s_andn2_b64 vcc, exec, s[0:1]
	s_cbranch_vccnz .LBB78_1604
; %bb.1596:
	v_mov_b32_e32 v3, 6
	v_cmp_lt_i16_sdwa s[4:5], s3, v3 src0_sel:BYTE_0 src1_sel:DWORD
	s_mov_b64 s[0:1], -1
	s_and_b64 vcc, exec, s[4:5]
	s_cbranch_vccnz .LBB78_1602
; %bb.1597:
	v_cmp_gt_i16_sdwa s[4:5], s3, v3 src0_sel:BYTE_0 src1_sel:DWORD
	s_and_b64 vcc, exec, s[4:5]
	s_cbranch_vccz .LBB78_1599
; %bb.1598:
	v_cvt_f64_f32_e32 v[10:11], v2
	global_store_dwordx2 v[0:1], v[10:11], off
	s_mov_b64 s[0:1], 0
.LBB78_1599:
	s_andn2_b64 vcc, exec, s[0:1]
	s_cbranch_vccnz .LBB78_1601
; %bb.1600:
	global_store_dword v[0:1], v2, off
.LBB78_1601:
	s_mov_b64 s[0:1], 0
.LBB78_1602:
	s_andn2_b64 vcc, exec, s[0:1]
	s_cbranch_vccnz .LBB78_1604
; %bb.1603:
	v_cvt_f16_f32_e32 v3, v2
	global_store_short v[0:1], v3, off
.LBB78_1604:
	s_mov_b64 s[0:1], 0
.LBB78_1605:
	s_andn2_b64 vcc, exec, s[0:1]
	s_cbranch_vccnz .LBB78_1621
; %bb.1606:
	v_mov_b32_e32 v3, 2
	v_cmp_lt_i16_sdwa s[4:5], s3, v3 src0_sel:BYTE_0 src1_sel:DWORD
	s_mov_b64 s[0:1], -1
	s_and_b64 vcc, exec, s[4:5]
	s_cbranch_vccnz .LBB78_1616
; %bb.1607:
	v_mov_b32_e32 v3, 3
	v_cmp_lt_i16_sdwa s[4:5], s3, v3 src0_sel:BYTE_0 src1_sel:DWORD
	s_and_b64 vcc, exec, s[4:5]
	s_cbranch_vccnz .LBB78_1613
; %bb.1608:
	v_cmp_gt_i16_sdwa s[4:5], s3, v3 src0_sel:BYTE_0 src1_sel:DWORD
	s_and_b64 vcc, exec, s[4:5]
	s_cbranch_vccz .LBB78_1610
; %bb.1609:
	v_trunc_f32_e32 v3, v2
	s_mov_b32 s0, 0x2f800000
	v_mul_f32_e64 v5, |v3|, s0
	v_floor_f32_e32 v5, v5
	s_mov_b32 s0, 0xcf800000
	v_cvt_u32_f32_e32 v9, v5
	v_fma_f32 v5, v5, s0, |v3|
	v_cvt_u32_f32_e32 v5, v5
	v_ashrrev_i32_e32 v3, 31, v3
	v_xor_b32_e32 v9, v9, v3
	s_mov_b64 s[0:1], 0
	v_xor_b32_e32 v5, v5, v3
	v_sub_co_u32_e32 v10, vcc, v5, v3
	v_subb_co_u32_e32 v11, vcc, v9, v3, vcc
	global_store_dwordx2 v[0:1], v[10:11], off
.LBB78_1610:
	s_andn2_b64 vcc, exec, s[0:1]
	s_cbranch_vccnz .LBB78_1612
; %bb.1611:
	v_cvt_i32_f32_e32 v3, v2
	global_store_dword v[0:1], v3, off
.LBB78_1612:
	s_mov_b64 s[0:1], 0
.LBB78_1613:
	s_andn2_b64 vcc, exec, s[0:1]
	s_cbranch_vccnz .LBB78_1615
; %bb.1614:
	v_cvt_i32_f32_e32 v3, v2
	global_store_short v[0:1], v3, off
.LBB78_1615:
	s_mov_b64 s[0:1], 0
.LBB78_1616:
	s_andn2_b64 vcc, exec, s[0:1]
	s_cbranch_vccnz .LBB78_1621
; %bb.1617:
	v_mov_b32_e32 v3, 0
	v_cmp_gt_i16_sdwa s[4:5], s3, v3 src0_sel:BYTE_0 src1_sel:DWORD
	s_mov_b64 s[0:1], -1
	s_and_b64 vcc, exec, s[4:5]
	s_cbranch_vccz .LBB78_1619
; %bb.1618:
	v_cvt_i32_f32_e32 v3, v2
	s_mov_b64 s[0:1], 0
	global_store_byte v[0:1], v3, off
.LBB78_1619:
	s_andn2_b64 vcc, exec, s[0:1]
	s_cbranch_vccnz .LBB78_1621
; %bb.1620:
	v_trunc_f32_e32 v2, v2
	s_mov_b32 s0, 0x2f800000
	v_mul_f32_e64 v3, |v2|, s0
	v_floor_f32_e32 v3, v3
	s_mov_b32 s0, 0xcf800000
	v_fma_f32 v3, v3, s0, |v2|
	v_cvt_u32_f32_e32 v3, v3
	v_ashrrev_i32_e32 v2, 31, v2
	v_xor_b32_e32 v3, v3, v2
	v_sub_u32_e32 v2, v3, v2
	global_store_byte v[0:1], v2, off
.LBB78_1621:
	s_mov_b64 s[10:11], -1
.LBB78_1622:
	s_andn2_b64 vcc, exec, s[10:11]
	s_cbranch_vccnz .LBB78_1914
; %bb.1623:
	s_lshl_b32 s18, s12, 7
	s_brev_b32 s0, -2
	v_mov_b32_e32 v0, s2
	v_add_u32_e32 v4, s18, v4
	v_bfi_b32 v2, s0, v0, v6
	v_ashrrev_i32_e32 v1, 31, v4
	v_mov_b32_e32 v3, s9
	v_add_co_u32_e32 v0, vcc, s8, v4
	v_addc_co_u32_e32 v1, vcc, v3, v1, vcc
	v_mov_b32_e32 v3, 11
	v_cmp_lt_i16_sdwa s[0:1], s3, v3 src0_sel:BYTE_0 src1_sel:DWORD
	s_and_b64 vcc, exec, s[0:1]
	s_cbranch_vccnz .LBB78_1630
; %bb.1624:
	v_mov_b32_e32 v3, 25
	v_cmp_gt_i16_sdwa s[0:1], s3, v3 src0_sel:BYTE_0 src1_sel:DWORD
	s_mov_b64 s[12:13], -1
	s_mov_b64 s[4:5], 0
	s_and_b64 vcc, exec, s[0:1]
	s_mov_b64 s[10:11], 0
	s_mov_b64 s[0:1], 0
	s_cbranch_vccz .LBB78_1664
; %bb.1625:
	v_mov_b32_e32 v3, 28
	v_cmp_gt_i16_sdwa s[0:1], s3, v3 src0_sel:BYTE_0 src1_sel:DWORD
	s_and_b64 vcc, exec, s[0:1]
	s_cbranch_vccz .LBB78_1631
; %bb.1626:
	v_mov_b32_e32 v3, 43
	v_cmp_gt_i16_sdwa s[0:1], s3, v3 src0_sel:BYTE_0 src1_sel:DWORD
	s_and_b64 vcc, exec, s[0:1]
	s_cbranch_vccz .LBB78_1632
; %bb.1627:
	v_mov_b32_e32 v3, 45
	v_cmp_gt_i16_sdwa s[0:1], s3, v3 src0_sel:BYTE_0 src1_sel:DWORD
	s_and_b64 vcc, exec, s[0:1]
	s_cbranch_vccz .LBB78_1634
; %bb.1628:
	v_mov_b32_e32 v3, 46
	v_cmp_eq_u16_sdwa s[10:11], s3, v3 src0_sel:BYTE_0 src1_sel:DWORD
	s_mov_b64 s[0:1], -1
	s_mov_b64 s[12:13], 0
	s_and_b64 vcc, exec, s[10:11]
	s_mov_b64 s[10:11], 0
	s_cbranch_vccz .LBB78_1635
; %bb.1629:
	v_bfe_u32 v3, v2, 16, 1
	s_movk_i32 s0, 0x7fff
	v_add3_u32 v3, v2, v3, s0
	v_lshrrev_b32_e32 v3, 16, v3
	v_mov_b32_e32 v5, 0x7fc0
	v_cmp_o_f32_e32 vcc, v2, v2
	v_cndmask_b32_e32 v3, v5, v3, vcc
	global_store_dword v[0:1], v3, off
	s_mov_b64 s[0:1], 0
	s_mov_b64 s[10:11], -1
	s_branch .LBB78_1635
.LBB78_1630:
	s_mov_b64 s[0:1], -1
	s_mov_b64 s[10:11], 0
	s_branch .LBB78_1714
.LBB78_1631:
	s_mov_b64 s[0:1], 0
	s_branch .LBB78_1645
.LBB78_1632:
	s_mov_b64 s[0:1], 0
	s_branch .LBB78_1641
.LBB78_1633:
	s_trap 2
	s_or_b64 s[16:17], s[16:17], exec
	s_cbranch_execz .LBB78_1581
	s_branch .LBB78_1582
.LBB78_1634:
	s_mov_b64 s[0:1], 0
.LBB78_1635:
	s_and_b64 vcc, exec, s[12:13]
	s_cbranch_vccz .LBB78_1640
; %bb.1636:
	v_mov_b32_e32 v3, 44
	v_cmp_eq_u16_sdwa s[12:13], s3, v3 src0_sel:BYTE_0 src1_sel:DWORD
	s_mov_b64 s[0:1], -1
	s_and_b64 vcc, exec, s[12:13]
	s_cbranch_vccz .LBB78_1640
; %bb.1637:
	v_bfe_u32 v3, v2, 23, 8
	s_movk_i32 s0, 0xff
	v_cmp_ne_u32_e32 vcc, s0, v3
	v_mov_b32_e32 v5, 0xff
	s_and_saveexec_b64 s[10:11], vcc
; %bb.1638:
	s_mov_b32 s0, 0x3fffff
	v_and_b32_e32 v6, 0x400000, v2
	v_and_or_b32 v3, v2, s0, v3
	v_cmp_ne_u32_e32 vcc, 0, v6
	v_cmp_ne_u32_e64 s[0:1], 0, v3
	s_and_b64 s[0:1], vcc, s[0:1]
	v_lshrrev_b32_e32 v5, 23, v2
	v_cndmask_b32_e64 v3, 0, 1, s[0:1]
	v_add_u32_e32 v5, v5, v3
; %bb.1639:
	s_or_b64 exec, exec, s[10:11]
	s_mov_b64 s[0:1], 0
	s_mov_b64 s[10:11], -1
	global_store_byte v[0:1], v5, off
.LBB78_1640:
	s_mov_b64 s[12:13], 0
.LBB78_1641:
	s_and_b64 vcc, exec, s[12:13]
	s_cbranch_vccz .LBB78_1644
; %bb.1642:
	v_mov_b32_e32 v3, 29
	v_cmp_eq_u16_sdwa s[12:13], s3, v3 src0_sel:BYTE_0 src1_sel:DWORD
	s_mov_b64 s[0:1], -1
	s_and_b64 vcc, exec, s[12:13]
	s_cbranch_vccz .LBB78_1644
; %bb.1643:
	v_trunc_f32_e32 v3, v2
	v_mul_f32_e32 v5, 0x2f800000, v3
	v_floor_f32_e32 v5, v5
	v_fmac_f32_e32 v3, 0xcf800000, v5
	v_cvt_u32_f32_e32 v11, v5
	v_cvt_u32_f32_e32 v10, v3
	s_mov_b64 s[0:1], 0
	s_mov_b64 s[10:11], -1
	s_mov_b64 s[12:13], 0
	global_store_dwordx2 v[0:1], v[10:11], off
	s_branch .LBB78_1645
.LBB78_1644:
	s_mov_b64 s[12:13], 0
.LBB78_1645:
	s_and_b64 vcc, exec, s[12:13]
	s_cbranch_vccz .LBB78_1663
; %bb.1646:
	v_mov_b32_e32 v3, 27
	v_cmp_lt_i16_sdwa s[12:13], s3, v3 src0_sel:BYTE_0 src1_sel:DWORD
	s_mov_b64 s[10:11], -1
	s_and_b64 vcc, exec, s[12:13]
	s_cbranch_vccnz .LBB78_1652
; %bb.1647:
	v_cmp_gt_i16_sdwa s[12:13], s3, v3 src0_sel:BYTE_0 src1_sel:DWORD
	v_cvt_u32_f32_e32 v3, v2
	s_and_b64 vcc, exec, s[12:13]
	s_cbranch_vccz .LBB78_1649
; %bb.1648:
	s_mov_b64 s[10:11], 0
	global_store_dword v[0:1], v3, off
.LBB78_1649:
	s_andn2_b64 vcc, exec, s[10:11]
	s_cbranch_vccnz .LBB78_1651
; %bb.1650:
	global_store_short v[0:1], v3, off
.LBB78_1651:
	s_mov_b64 s[10:11], 0
.LBB78_1652:
	s_andn2_b64 vcc, exec, s[10:11]
	s_cbranch_vccnz .LBB78_1662
; %bb.1653:
	s_and_b32 s10, s2, 0x7fffffff
	s_cmp_gt_u32 s10, 0x437fffff
	v_mov_b32_e32 v5, 0x80
	s_cbranch_scc1 .LBB78_1661
; %bb.1654:
	s_cmp_gt_u32 s10, 0x3bffffff
	s_cbranch_scc0 .LBB78_1656
; %bb.1655:
	v_bfe_u32 v3, v2, 20, 1
	s_mov_b32 s10, 0x487ffff
	v_add3_u32 v3, v2, v3, s10
	v_lshrrev_b32_e32 v3, 20, v3
	s_mov_b64 s[12:13], 0
	s_mov_b64 s[10:11], -1
	s_branch .LBB78_1657
.LBB78_1656:
	s_mov_b64 s[12:13], -1
	s_mov_b64 s[10:11], 0
                                        ; implicit-def: $vgpr3
.LBB78_1657:
	s_andn2_b64 vcc, exec, s[12:13]
                                        ; implicit-def: $sgpr12
	s_cbranch_vccnz .LBB78_1659
; %bb.1658:
	v_mov_b32_e32 v3, 0x46000000
	v_add_f32_e64 v3, |s2|, v3
	v_and_b32_e32 v3, 0xff, v3
	s_mov_b32 s12, 0
	v_cmp_ne_u32_e64 s[10:11], 0, v3
.LBB78_1659:
	s_andn2_b64 vcc, exec, s[10:11]
	v_mov_b32_e32 v5, s12
	s_cbranch_vccnz .LBB78_1661
; %bb.1660:
	v_lshrrev_b32_e32 v5, 24, v2
	s_movk_i32 s10, 0x80
	v_and_or_b32 v5, v5, s10, v3
.LBB78_1661:
	global_store_byte v[0:1], v5, off
.LBB78_1662:
	s_mov_b64 s[10:11], -1
.LBB78_1663:
	s_mov_b64 s[12:13], 0
.LBB78_1664:
	s_and_b64 vcc, exec, s[12:13]
	s_cbranch_vccz .LBB78_1710
; %bb.1665:
	v_mov_b32_e32 v3, 22
	v_cmp_gt_i16_sdwa s[12:13], s3, v3 src0_sel:BYTE_0 src1_sel:DWORD
	s_mov_b64 s[4:5], -1
	s_and_b64 vcc, exec, s[12:13]
	s_cbranch_vccz .LBB78_1703
; %bb.1666:
	v_mov_b32_e32 v3, 24
	v_cmp_lt_i16_sdwa s[10:11], s3, v3 src0_sel:BYTE_0 src1_sel:DWORD
	s_and_b64 vcc, exec, s[10:11]
	s_cbranch_vccnz .LBB78_1690
; %bb.1667:
	v_cmp_gt_i16_sdwa s[10:11], s3, v3 src0_sel:BYTE_0 src1_sel:DWORD
	s_and_b64 vcc, exec, s[10:11]
	s_cbranch_vccz .LBB78_1677
; %bb.1668:
	s_and_b32 s4, s2, 0x7fffffff
	s_cmp_gt_u32 s4, 0x477fffff
	v_mov_b32_e32 v5, 0x80
	s_cbranch_scc1 .LBB78_1676
; %bb.1669:
	s_cmp_gt_u32 s4, 0x37ffffff
	s_cbranch_scc0 .LBB78_1671
; %bb.1670:
	v_bfe_u32 v3, v2, 21, 1
	s_mov_b32 s4, 0x88fffff
	v_add3_u32 v3, v2, v3, s4
	v_lshrrev_b32_e32 v3, 21, v3
	s_mov_b64 s[10:11], 0
	s_mov_b64 s[4:5], -1
	s_branch .LBB78_1672
.LBB78_1671:
	s_mov_b64 s[10:11], -1
	s_mov_b64 s[4:5], 0
                                        ; implicit-def: $vgpr3
.LBB78_1672:
	s_andn2_b64 vcc, exec, s[10:11]
                                        ; implicit-def: $sgpr10
	s_cbranch_vccnz .LBB78_1674
; %bb.1673:
	v_mov_b32_e32 v3, 0x42800000
	v_add_f32_e64 v3, |s2|, v3
	v_and_b32_e32 v3, 0xff, v3
	s_mov_b32 s10, 0
	v_cmp_ne_u32_e64 s[4:5], 0, v3
.LBB78_1674:
	s_andn2_b64 vcc, exec, s[4:5]
	v_mov_b32_e32 v5, s10
	s_cbranch_vccnz .LBB78_1676
; %bb.1675:
	v_lshrrev_b32_e32 v5, 24, v2
	s_movk_i32 s4, 0x80
	v_and_or_b32 v5, v5, s4, v3
.LBB78_1676:
	s_mov_b64 s[4:5], 0
	global_store_byte v[0:1], v5, off
.LBB78_1677:
	s_and_b64 vcc, exec, s[4:5]
	s_cbranch_vccz .LBB78_1689
; %bb.1678:
	s_and_b32 s10, s2, 0x7fffffff
	s_cmp_lt_u32 s10, 0x43f00000
	s_cbranch_scc0 .LBB78_1681
; %bb.1679:
	s_cmp_gt_u32 s10, 0x3c7fffff
	s_cbranch_scc0 .LBB78_1682
; %bb.1680:
	v_bfe_u32 v3, v2, 20, 1
	s_mov_b32 s4, 0x407ffff
	v_add3_u32 v3, v2, v3, s4
	v_lshrrev_b32_e32 v5, 20, v3
	v_and_b32_e32 v3, 0xff00000, v3
	s_mov_b32 s4, 0x7f00000
	v_mov_b32_e32 v6, 0x7e
	v_cmp_ne_u32_e32 vcc, s4, v3
	v_cndmask_b32_e32 v3, v6, v5, vcc
	s_mov_b64 s[4:5], 0
	s_branch .LBB78_1683
.LBB78_1681:
	s_mov_b64 s[4:5], -1
                                        ; implicit-def: $vgpr3
	s_branch .LBB78_1686
.LBB78_1682:
	s_mov_b64 s[4:5], -1
                                        ; implicit-def: $vgpr3
.LBB78_1683:
	s_andn2_b64 vcc, exec, s[4:5]
	s_cbranch_vccnz .LBB78_1685
; %bb.1684:
	v_mov_b32_e32 v3, 0x46800000
	v_add_f32_e64 v3, |s2|, v3
.LBB78_1685:
	s_mov_b64 s[4:5], 0
.LBB78_1686:
	s_andn2_b64 vcc, exec, s[4:5]
	s_cbranch_vccnz .LBB78_1688
; %bb.1687:
	s_cmp_gt_u32 s10, 0x7f800000
	s_movk_i32 s4, 0x7f
	s_cselect_b32 s4, s4, 0x7e
	v_mov_b32_e32 v3, s4
.LBB78_1688:
	v_lshrrev_b32_e32 v5, 24, v2
	s_movk_i32 s4, 0x80
	v_and_or_b32 v3, v5, s4, v3
	global_store_byte v[0:1], v3, off
.LBB78_1689:
	s_mov_b64 s[4:5], 0
.LBB78_1690:
	s_andn2_b64 vcc, exec, s[4:5]
	s_cbranch_vccnz .LBB78_1702
; %bb.1691:
	s_and_b32 s10, s2, 0x7fffffff
	s_cmp_lt_u32 s10, 0x47800000
	s_cbranch_scc0 .LBB78_1694
; %bb.1692:
	s_cmp_gt_u32 s10, 0x387fffff
	s_cbranch_scc0 .LBB78_1695
; %bb.1693:
	v_bfe_u32 v3, v2, 21, 1
	s_mov_b32 s4, 0x80fffff
	v_add3_u32 v3, v2, v3, s4
	v_lshrrev_b32_e32 v3, 21, v3
	s_mov_b64 s[4:5], 0
	s_branch .LBB78_1696
.LBB78_1694:
	s_mov_b64 s[4:5], -1
                                        ; implicit-def: $vgpr3
	s_branch .LBB78_1699
.LBB78_1695:
	s_mov_b64 s[4:5], -1
                                        ; implicit-def: $vgpr3
.LBB78_1696:
	s_andn2_b64 vcc, exec, s[4:5]
	s_cbranch_vccnz .LBB78_1698
; %bb.1697:
	v_mov_b32_e32 v3, 0x43000000
	v_add_f32_e64 v3, |s2|, v3
.LBB78_1698:
	s_mov_b64 s[4:5], 0
.LBB78_1699:
	s_andn2_b64 vcc, exec, s[4:5]
	s_cbranch_vccnz .LBB78_1701
; %bb.1700:
	s_cmp_gt_u32 s10, 0x7f800000
	s_movk_i32 s4, 0x7f
	s_cselect_b32 s4, s4, 0x7c
	v_mov_b32_e32 v3, s4
.LBB78_1701:
	v_lshrrev_b32_e32 v5, 24, v2
	s_movk_i32 s4, 0x80
	v_and_or_b32 v3, v5, s4, v3
	global_store_byte v[0:1], v3, off
.LBB78_1702:
	s_mov_b64 s[4:5], 0
	s_mov_b64 s[10:11], -1
.LBB78_1703:
	s_andn2_b64 vcc, exec, s[4:5]
	s_mov_b64 s[4:5], 0
	s_cbranch_vccnz .LBB78_1710
; %bb.1704:
	v_mov_b32_e32 v3, 14
	v_cmp_gt_i16_sdwa s[4:5], s3, v3 src0_sel:BYTE_0 src1_sel:DWORD
	s_mov_b64 s[12:13], -1
	s_and_b64 vcc, exec, s[4:5]
	s_cbranch_vccz .LBB78_1708
; %bb.1705:
	v_mov_b32_e32 v3, 15
	v_cmp_eq_u16_sdwa s[4:5], s3, v3 src0_sel:BYTE_0 src1_sel:DWORD
	s_mov_b64 s[0:1], -1
	s_and_b64 vcc, exec, s[4:5]
	s_cbranch_vccz .LBB78_1707
; %bb.1706:
	v_bfe_u32 v3, v2, 16, 1
	s_movk_i32 s0, 0x7fff
	v_add3_u32 v3, v2, v3, s0
	v_lshrrev_b32_e32 v3, 16, v3
	v_mov_b32_e32 v5, 0x7fc0
	v_cmp_o_f32_e32 vcc, v2, v2
	v_cndmask_b32_e32 v3, v5, v3, vcc
	global_store_short v[0:1], v3, off
	s_mov_b64 s[0:1], 0
	s_mov_b64 s[10:11], -1
.LBB78_1707:
	s_mov_b64 s[12:13], 0
.LBB78_1708:
	s_mov_b64 s[4:5], 0
	s_and_b64 vcc, exec, s[12:13]
	s_cbranch_vccz .LBB78_1710
; %bb.1709:
	v_mov_b32_e32 v3, 11
	v_cmp_ne_u16_sdwa s[0:1], s3, v3 src0_sel:BYTE_0 src1_sel:DWORD
	s_mov_b64 s[4:5], -1
.LBB78_1710:
	s_and_b64 vcc, exec, s[0:1]
	s_cbranch_vccnz .LBB78_1764
; %bb.1711:
	s_andn2_b64 vcc, exec, s[4:5]
	s_cbranch_vccnz .LBB78_1713
.LBB78_1712:
	v_cmp_neq_f32_e32 vcc, 0, v2
	v_cndmask_b32_e64 v3, 0, 1, vcc
	s_mov_b64 s[10:11], -1
	global_store_byte v[0:1], v3, off
.LBB78_1713:
	s_mov_b64 s[0:1], 0
.LBB78_1714:
	s_and_b64 vcc, exec, s[0:1]
	s_cbranch_vccz .LBB78_1753
; %bb.1715:
	v_mov_b32_e32 v3, 5
	v_cmp_lt_i16_sdwa s[4:5], s3, v3 src0_sel:BYTE_0 src1_sel:DWORD
	s_mov_b64 s[0:1], -1
	s_and_b64 vcc, exec, s[4:5]
	s_cbranch_vccnz .LBB78_1736
; %bb.1716:
	v_mov_b32_e32 v3, 8
	v_cmp_lt_i16_sdwa s[4:5], s3, v3 src0_sel:BYTE_0 src1_sel:DWORD
	s_and_b64 vcc, exec, s[4:5]
	s_cbranch_vccnz .LBB78_1726
; %bb.1717:
	v_mov_b32_e32 v3, 9
	v_cmp_lt_i16_sdwa s[4:5], s3, v3 src0_sel:BYTE_0 src1_sel:DWORD
	s_and_b64 vcc, exec, s[4:5]
	s_cbranch_vccnz .LBB78_1723
; %bb.1718:
	v_cmp_gt_i16_sdwa s[4:5], s3, v3 src0_sel:BYTE_0 src1_sel:DWORD
	s_and_b64 vcc, exec, s[4:5]
	s_cbranch_vccz .LBB78_1720
; %bb.1719:
	v_mov_b32_e32 v12, 0
	v_cvt_f64_f32_e32 v[10:11], v2
	v_mov_b32_e32 v13, v12
	global_store_dwordx4 v[0:1], v[10:13], off
	s_mov_b64 s[0:1], 0
.LBB78_1720:
	s_andn2_b64 vcc, exec, s[0:1]
	s_cbranch_vccnz .LBB78_1722
; %bb.1721:
	v_mov_b32_e32 v3, 0
	global_store_dwordx2 v[0:1], v[2:3], off
.LBB78_1722:
	s_mov_b64 s[0:1], 0
.LBB78_1723:
	s_andn2_b64 vcc, exec, s[0:1]
	s_cbranch_vccnz .LBB78_1725
; %bb.1724:
	v_cvt_f16_f32_e32 v3, v2
	global_store_dword v[0:1], v3, off
.LBB78_1725:
	s_mov_b64 s[0:1], 0
.LBB78_1726:
	s_andn2_b64 vcc, exec, s[0:1]
	s_cbranch_vccnz .LBB78_1735
; %bb.1727:
	v_mov_b32_e32 v3, 6
	v_cmp_lt_i16_sdwa s[4:5], s3, v3 src0_sel:BYTE_0 src1_sel:DWORD
	s_mov_b64 s[0:1], -1
	s_and_b64 vcc, exec, s[4:5]
	s_cbranch_vccnz .LBB78_1733
; %bb.1728:
	v_cmp_gt_i16_sdwa s[4:5], s3, v3 src0_sel:BYTE_0 src1_sel:DWORD
	s_and_b64 vcc, exec, s[4:5]
	s_cbranch_vccz .LBB78_1730
; %bb.1729:
	v_cvt_f64_f32_e32 v[10:11], v2
	global_store_dwordx2 v[0:1], v[10:11], off
	s_mov_b64 s[0:1], 0
.LBB78_1730:
	s_andn2_b64 vcc, exec, s[0:1]
	s_cbranch_vccnz .LBB78_1732
; %bb.1731:
	global_store_dword v[0:1], v2, off
.LBB78_1732:
	s_mov_b64 s[0:1], 0
.LBB78_1733:
	s_andn2_b64 vcc, exec, s[0:1]
	s_cbranch_vccnz .LBB78_1735
; %bb.1734:
	v_cvt_f16_f32_e32 v3, v2
	global_store_short v[0:1], v3, off
.LBB78_1735:
	s_mov_b64 s[0:1], 0
.LBB78_1736:
	s_andn2_b64 vcc, exec, s[0:1]
	s_cbranch_vccnz .LBB78_1752
; %bb.1737:
	v_mov_b32_e32 v3, 2
	v_cmp_lt_i16_sdwa s[4:5], s3, v3 src0_sel:BYTE_0 src1_sel:DWORD
	s_mov_b64 s[0:1], -1
	s_and_b64 vcc, exec, s[4:5]
	s_cbranch_vccnz .LBB78_1747
; %bb.1738:
	v_mov_b32_e32 v3, 3
	v_cmp_lt_i16_sdwa s[4:5], s3, v3 src0_sel:BYTE_0 src1_sel:DWORD
	s_and_b64 vcc, exec, s[4:5]
	s_cbranch_vccnz .LBB78_1744
; %bb.1739:
	v_cmp_gt_i16_sdwa s[4:5], s3, v3 src0_sel:BYTE_0 src1_sel:DWORD
	s_and_b64 vcc, exec, s[4:5]
	s_cbranch_vccz .LBB78_1741
; %bb.1740:
	v_trunc_f32_e32 v3, v2
	s_mov_b32 s0, 0x2f800000
	v_mul_f32_e64 v5, |v3|, s0
	v_floor_f32_e32 v5, v5
	s_mov_b32 s0, 0xcf800000
	v_cvt_u32_f32_e32 v6, v5
	v_fma_f32 v5, v5, s0, |v3|
	v_cvt_u32_f32_e32 v5, v5
	v_ashrrev_i32_e32 v3, 31, v3
	v_xor_b32_e32 v6, v6, v3
	s_mov_b64 s[0:1], 0
	v_xor_b32_e32 v5, v5, v3
	v_sub_co_u32_e32 v10, vcc, v5, v3
	v_subb_co_u32_e32 v11, vcc, v6, v3, vcc
	global_store_dwordx2 v[0:1], v[10:11], off
.LBB78_1741:
	s_andn2_b64 vcc, exec, s[0:1]
	s_cbranch_vccnz .LBB78_1743
; %bb.1742:
	v_cvt_i32_f32_e32 v3, v2
	global_store_dword v[0:1], v3, off
.LBB78_1743:
	s_mov_b64 s[0:1], 0
.LBB78_1744:
	s_andn2_b64 vcc, exec, s[0:1]
	s_cbranch_vccnz .LBB78_1746
; %bb.1745:
	v_cvt_i32_f32_e32 v3, v2
	global_store_short v[0:1], v3, off
.LBB78_1746:
	s_mov_b64 s[0:1], 0
.LBB78_1747:
	s_andn2_b64 vcc, exec, s[0:1]
	s_cbranch_vccnz .LBB78_1752
; %bb.1748:
	v_mov_b32_e32 v3, 0
	v_cmp_gt_i16_sdwa s[4:5], s3, v3 src0_sel:BYTE_0 src1_sel:DWORD
	s_mov_b64 s[0:1], -1
	s_and_b64 vcc, exec, s[4:5]
	s_cbranch_vccz .LBB78_1750
; %bb.1749:
	v_cvt_i32_f32_e32 v3, v2
	s_mov_b64 s[0:1], 0
	global_store_byte v[0:1], v3, off
.LBB78_1750:
	s_andn2_b64 vcc, exec, s[0:1]
	s_cbranch_vccnz .LBB78_1752
; %bb.1751:
	v_trunc_f32_e32 v2, v2
	s_mov_b32 s0, 0x2f800000
	v_mul_f32_e64 v3, |v2|, s0
	v_floor_f32_e32 v3, v3
	s_mov_b32 s0, 0xcf800000
	v_fma_f32 v3, v3, s0, |v2|
	v_cvt_u32_f32_e32 v3, v3
	v_ashrrev_i32_e32 v2, 31, v2
	v_xor_b32_e32 v3, v3, v2
	v_sub_u32_e32 v2, v3, v2
	global_store_byte v[0:1], v2, off
.LBB78_1752:
	s_mov_b64 s[10:11], -1
.LBB78_1753:
	s_andn2_b64 vcc, exec, s[10:11]
	s_cbranch_vccnz .LBB78_1914
; %bb.1754:
	s_brev_b32 s0, -2
	v_mov_b32_e32 v0, s2
	v_add_u32_e32 v4, s18, v4
	v_bfi_b32 v2, s0, v0, v7
	v_ashrrev_i32_e32 v1, 31, v4
	v_mov_b32_e32 v3, s9
	v_add_co_u32_e32 v0, vcc, s8, v4
	v_addc_co_u32_e32 v1, vcc, v3, v1, vcc
	v_mov_b32_e32 v3, 11
	v_cmp_lt_i16_sdwa s[0:1], s3, v3 src0_sel:BYTE_0 src1_sel:DWORD
	s_and_b64 vcc, exec, s[0:1]
	s_cbranch_vccnz .LBB78_1761
; %bb.1755:
	v_mov_b32_e32 v3, 25
	v_cmp_gt_i16_sdwa s[0:1], s3, v3 src0_sel:BYTE_0 src1_sel:DWORD
	s_mov_b64 s[12:13], -1
	s_mov_b64 s[4:5], 0
	s_and_b64 vcc, exec, s[0:1]
	s_mov_b64 s[10:11], 0
	s_mov_b64 s[0:1], 0
	s_cbranch_vccz .LBB78_1795
; %bb.1756:
	v_mov_b32_e32 v3, 28
	v_cmp_gt_i16_sdwa s[0:1], s3, v3 src0_sel:BYTE_0 src1_sel:DWORD
	s_and_b64 vcc, exec, s[0:1]
	s_cbranch_vccz .LBB78_1762
; %bb.1757:
	v_mov_b32_e32 v3, 43
	v_cmp_gt_i16_sdwa s[0:1], s3, v3 src0_sel:BYTE_0 src1_sel:DWORD
	s_and_b64 vcc, exec, s[0:1]
	;; [unrolled: 5-line block ×3, first 2 shown]
	s_cbranch_vccz .LBB78_1765
; %bb.1759:
	v_mov_b32_e32 v3, 46
	v_cmp_eq_u16_sdwa s[10:11], s3, v3 src0_sel:BYTE_0 src1_sel:DWORD
	s_mov_b64 s[0:1], -1
	s_mov_b64 s[12:13], 0
	s_and_b64 vcc, exec, s[10:11]
	s_mov_b64 s[10:11], 0
	s_cbranch_vccz .LBB78_1766
; %bb.1760:
	v_bfe_u32 v3, v2, 16, 1
	s_movk_i32 s0, 0x7fff
	v_add3_u32 v3, v2, v3, s0
	v_lshrrev_b32_e32 v3, 16, v3
	v_mov_b32_e32 v5, 0x7fc0
	v_cmp_o_f32_e32 vcc, v2, v2
	v_cndmask_b32_e32 v3, v5, v3, vcc
	global_store_dword v[0:1], v3, off
	s_mov_b64 s[0:1], 0
	s_mov_b64 s[10:11], -1
	s_branch .LBB78_1766
.LBB78_1761:
	s_mov_b64 s[0:1], -1
	s_mov_b64 s[10:11], 0
	s_branch .LBB78_1845
.LBB78_1762:
	s_mov_b64 s[0:1], 0
	s_branch .LBB78_1776
.LBB78_1763:
	s_mov_b64 s[0:1], 0
	s_branch .LBB78_1772
.LBB78_1764:
	s_trap 2
	s_or_b64 s[16:17], s[16:17], exec
	s_cbranch_execz .LBB78_1712
	s_branch .LBB78_1713
.LBB78_1765:
	s_mov_b64 s[0:1], 0
.LBB78_1766:
	s_and_b64 vcc, exec, s[12:13]
	s_cbranch_vccz .LBB78_1771
; %bb.1767:
	v_mov_b32_e32 v3, 44
	v_cmp_eq_u16_sdwa s[12:13], s3, v3 src0_sel:BYTE_0 src1_sel:DWORD
	s_mov_b64 s[0:1], -1
	s_and_b64 vcc, exec, s[12:13]
	s_cbranch_vccz .LBB78_1771
; %bb.1768:
	v_bfe_u32 v3, v2, 23, 8
	s_movk_i32 s0, 0xff
	v_cmp_ne_u32_e32 vcc, s0, v3
	v_mov_b32_e32 v5, 0xff
	s_and_saveexec_b64 s[10:11], vcc
; %bb.1769:
	s_mov_b32 s0, 0x3fffff
	v_and_b32_e32 v6, 0x400000, v2
	v_and_or_b32 v3, v2, s0, v3
	v_cmp_ne_u32_e32 vcc, 0, v6
	v_cmp_ne_u32_e64 s[0:1], 0, v3
	s_and_b64 s[0:1], vcc, s[0:1]
	v_lshrrev_b32_e32 v5, 23, v2
	v_cndmask_b32_e64 v3, 0, 1, s[0:1]
	v_add_u32_e32 v5, v5, v3
; %bb.1770:
	s_or_b64 exec, exec, s[10:11]
	s_mov_b64 s[0:1], 0
	s_mov_b64 s[10:11], -1
	global_store_byte v[0:1], v5, off
.LBB78_1771:
	s_mov_b64 s[12:13], 0
.LBB78_1772:
	s_and_b64 vcc, exec, s[12:13]
	s_cbranch_vccz .LBB78_1775
; %bb.1773:
	v_mov_b32_e32 v3, 29
	v_cmp_eq_u16_sdwa s[12:13], s3, v3 src0_sel:BYTE_0 src1_sel:DWORD
	s_mov_b64 s[0:1], -1
	s_and_b64 vcc, exec, s[12:13]
	s_cbranch_vccz .LBB78_1775
; %bb.1774:
	v_trunc_f32_e32 v3, v2
	v_mul_f32_e32 v5, 0x2f800000, v3
	v_floor_f32_e32 v5, v5
	v_fmac_f32_e32 v3, 0xcf800000, v5
	v_cvt_u32_f32_e32 v7, v5
	v_cvt_u32_f32_e32 v6, v3
	s_mov_b64 s[0:1], 0
	s_mov_b64 s[10:11], -1
	s_mov_b64 s[12:13], 0
	global_store_dwordx2 v[0:1], v[6:7], off
	s_branch .LBB78_1776
.LBB78_1775:
	s_mov_b64 s[12:13], 0
.LBB78_1776:
	s_and_b64 vcc, exec, s[12:13]
	s_cbranch_vccz .LBB78_1794
; %bb.1777:
	v_mov_b32_e32 v3, 27
	v_cmp_lt_i16_sdwa s[12:13], s3, v3 src0_sel:BYTE_0 src1_sel:DWORD
	s_mov_b64 s[10:11], -1
	s_and_b64 vcc, exec, s[12:13]
	s_cbranch_vccnz .LBB78_1783
; %bb.1778:
	v_cmp_gt_i16_sdwa s[12:13], s3, v3 src0_sel:BYTE_0 src1_sel:DWORD
	v_cvt_u32_f32_e32 v3, v2
	s_and_b64 vcc, exec, s[12:13]
	s_cbranch_vccz .LBB78_1780
; %bb.1779:
	s_mov_b64 s[10:11], 0
	global_store_dword v[0:1], v3, off
.LBB78_1780:
	s_andn2_b64 vcc, exec, s[10:11]
	s_cbranch_vccnz .LBB78_1782
; %bb.1781:
	global_store_short v[0:1], v3, off
.LBB78_1782:
	s_mov_b64 s[10:11], 0
.LBB78_1783:
	s_andn2_b64 vcc, exec, s[10:11]
	s_cbranch_vccnz .LBB78_1793
; %bb.1784:
	s_and_b32 s10, s2, 0x7fffffff
	s_cmp_gt_u32 s10, 0x437fffff
	v_mov_b32_e32 v5, 0x80
	s_cbranch_scc1 .LBB78_1792
; %bb.1785:
	s_cmp_gt_u32 s10, 0x3bffffff
	s_cbranch_scc0 .LBB78_1787
; %bb.1786:
	v_bfe_u32 v3, v2, 20, 1
	s_mov_b32 s10, 0x487ffff
	v_add3_u32 v3, v2, v3, s10
	v_lshrrev_b32_e32 v3, 20, v3
	s_mov_b64 s[12:13], 0
	s_mov_b64 s[10:11], -1
	s_branch .LBB78_1788
.LBB78_1787:
	s_mov_b64 s[12:13], -1
	s_mov_b64 s[10:11], 0
                                        ; implicit-def: $vgpr3
.LBB78_1788:
	s_andn2_b64 vcc, exec, s[12:13]
                                        ; implicit-def: $sgpr12
	s_cbranch_vccnz .LBB78_1790
; %bb.1789:
	v_mov_b32_e32 v3, 0x46000000
	v_add_f32_e64 v3, |s2|, v3
	v_and_b32_e32 v3, 0xff, v3
	s_mov_b32 s12, 0
	v_cmp_ne_u32_e64 s[10:11], 0, v3
.LBB78_1790:
	s_andn2_b64 vcc, exec, s[10:11]
	v_mov_b32_e32 v5, s12
	s_cbranch_vccnz .LBB78_1792
; %bb.1791:
	v_lshrrev_b32_e32 v5, 24, v2
	s_movk_i32 s10, 0x80
	v_and_or_b32 v5, v5, s10, v3
.LBB78_1792:
	global_store_byte v[0:1], v5, off
.LBB78_1793:
	s_mov_b64 s[10:11], -1
.LBB78_1794:
	s_mov_b64 s[12:13], 0
.LBB78_1795:
	s_and_b64 vcc, exec, s[12:13]
	s_cbranch_vccz .LBB78_1841
; %bb.1796:
	v_mov_b32_e32 v3, 22
	v_cmp_gt_i16_sdwa s[12:13], s3, v3 src0_sel:BYTE_0 src1_sel:DWORD
	s_mov_b64 s[4:5], -1
	s_and_b64 vcc, exec, s[12:13]
	s_cbranch_vccz .LBB78_1834
; %bb.1797:
	v_mov_b32_e32 v3, 24
	v_cmp_lt_i16_sdwa s[10:11], s3, v3 src0_sel:BYTE_0 src1_sel:DWORD
	s_and_b64 vcc, exec, s[10:11]
	s_cbranch_vccnz .LBB78_1821
; %bb.1798:
	v_cmp_gt_i16_sdwa s[10:11], s3, v3 src0_sel:BYTE_0 src1_sel:DWORD
	s_and_b64 vcc, exec, s[10:11]
	s_cbranch_vccz .LBB78_1808
; %bb.1799:
	s_and_b32 s4, s2, 0x7fffffff
	s_cmp_gt_u32 s4, 0x477fffff
	v_mov_b32_e32 v5, 0x80
	s_cbranch_scc1 .LBB78_1807
; %bb.1800:
	s_cmp_gt_u32 s4, 0x37ffffff
	s_cbranch_scc0 .LBB78_1802
; %bb.1801:
	v_bfe_u32 v3, v2, 21, 1
	s_mov_b32 s4, 0x88fffff
	v_add3_u32 v3, v2, v3, s4
	v_lshrrev_b32_e32 v3, 21, v3
	s_mov_b64 s[10:11], 0
	s_mov_b64 s[4:5], -1
	s_branch .LBB78_1803
.LBB78_1802:
	s_mov_b64 s[10:11], -1
	s_mov_b64 s[4:5], 0
                                        ; implicit-def: $vgpr3
.LBB78_1803:
	s_andn2_b64 vcc, exec, s[10:11]
                                        ; implicit-def: $sgpr10
	s_cbranch_vccnz .LBB78_1805
; %bb.1804:
	v_mov_b32_e32 v3, 0x42800000
	v_add_f32_e64 v3, |s2|, v3
	v_and_b32_e32 v3, 0xff, v3
	s_mov_b32 s10, 0
	v_cmp_ne_u32_e64 s[4:5], 0, v3
.LBB78_1805:
	s_andn2_b64 vcc, exec, s[4:5]
	v_mov_b32_e32 v5, s10
	s_cbranch_vccnz .LBB78_1807
; %bb.1806:
	v_lshrrev_b32_e32 v5, 24, v2
	s_movk_i32 s4, 0x80
	v_and_or_b32 v5, v5, s4, v3
.LBB78_1807:
	s_mov_b64 s[4:5], 0
	global_store_byte v[0:1], v5, off
.LBB78_1808:
	s_and_b64 vcc, exec, s[4:5]
	s_cbranch_vccz .LBB78_1820
; %bb.1809:
	s_and_b32 s10, s2, 0x7fffffff
	s_cmp_lt_u32 s10, 0x43f00000
	s_cbranch_scc0 .LBB78_1812
; %bb.1810:
	s_cmp_gt_u32 s10, 0x3c7fffff
	s_cbranch_scc0 .LBB78_1813
; %bb.1811:
	v_bfe_u32 v3, v2, 20, 1
	s_mov_b32 s4, 0x407ffff
	v_add3_u32 v3, v2, v3, s4
	v_lshrrev_b32_e32 v5, 20, v3
	v_and_b32_e32 v3, 0xff00000, v3
	s_mov_b32 s4, 0x7f00000
	v_mov_b32_e32 v6, 0x7e
	v_cmp_ne_u32_e32 vcc, s4, v3
	v_cndmask_b32_e32 v3, v6, v5, vcc
	s_mov_b64 s[4:5], 0
	s_branch .LBB78_1814
.LBB78_1812:
	s_mov_b64 s[4:5], -1
                                        ; implicit-def: $vgpr3
	s_branch .LBB78_1817
.LBB78_1813:
	s_mov_b64 s[4:5], -1
                                        ; implicit-def: $vgpr3
.LBB78_1814:
	s_andn2_b64 vcc, exec, s[4:5]
	s_cbranch_vccnz .LBB78_1816
; %bb.1815:
	v_mov_b32_e32 v3, 0x46800000
	v_add_f32_e64 v3, |s2|, v3
.LBB78_1816:
	s_mov_b64 s[4:5], 0
.LBB78_1817:
	s_andn2_b64 vcc, exec, s[4:5]
	s_cbranch_vccnz .LBB78_1819
; %bb.1818:
	s_cmp_gt_u32 s10, 0x7f800000
	s_movk_i32 s4, 0x7f
	s_cselect_b32 s4, s4, 0x7e
	v_mov_b32_e32 v3, s4
.LBB78_1819:
	v_lshrrev_b32_e32 v5, 24, v2
	s_movk_i32 s4, 0x80
	v_and_or_b32 v3, v5, s4, v3
	global_store_byte v[0:1], v3, off
.LBB78_1820:
	s_mov_b64 s[4:5], 0
.LBB78_1821:
	s_andn2_b64 vcc, exec, s[4:5]
	s_cbranch_vccnz .LBB78_1833
; %bb.1822:
	s_and_b32 s10, s2, 0x7fffffff
	s_cmp_lt_u32 s10, 0x47800000
	s_cbranch_scc0 .LBB78_1825
; %bb.1823:
	s_cmp_gt_u32 s10, 0x387fffff
	s_cbranch_scc0 .LBB78_1826
; %bb.1824:
	v_bfe_u32 v3, v2, 21, 1
	s_mov_b32 s4, 0x80fffff
	v_add3_u32 v3, v2, v3, s4
	v_lshrrev_b32_e32 v3, 21, v3
	s_mov_b64 s[4:5], 0
	s_branch .LBB78_1827
.LBB78_1825:
	s_mov_b64 s[4:5], -1
                                        ; implicit-def: $vgpr3
	s_branch .LBB78_1830
.LBB78_1826:
	s_mov_b64 s[4:5], -1
                                        ; implicit-def: $vgpr3
.LBB78_1827:
	s_andn2_b64 vcc, exec, s[4:5]
	s_cbranch_vccnz .LBB78_1829
; %bb.1828:
	v_mov_b32_e32 v3, 0x43000000
	v_add_f32_e64 v3, |s2|, v3
.LBB78_1829:
	s_mov_b64 s[4:5], 0
.LBB78_1830:
	s_andn2_b64 vcc, exec, s[4:5]
	s_cbranch_vccnz .LBB78_1832
; %bb.1831:
	s_cmp_gt_u32 s10, 0x7f800000
	s_movk_i32 s4, 0x7f
	s_cselect_b32 s4, s4, 0x7c
	v_mov_b32_e32 v3, s4
.LBB78_1832:
	v_lshrrev_b32_e32 v5, 24, v2
	s_movk_i32 s4, 0x80
	v_and_or_b32 v3, v5, s4, v3
	global_store_byte v[0:1], v3, off
.LBB78_1833:
	s_mov_b64 s[4:5], 0
	s_mov_b64 s[10:11], -1
.LBB78_1834:
	s_andn2_b64 vcc, exec, s[4:5]
	s_mov_b64 s[4:5], 0
	s_cbranch_vccnz .LBB78_1841
; %bb.1835:
	v_mov_b32_e32 v3, 14
	v_cmp_gt_i16_sdwa s[4:5], s3, v3 src0_sel:BYTE_0 src1_sel:DWORD
	s_mov_b64 s[12:13], -1
	s_and_b64 vcc, exec, s[4:5]
	s_cbranch_vccz .LBB78_1839
; %bb.1836:
	v_mov_b32_e32 v3, 15
	v_cmp_eq_u16_sdwa s[4:5], s3, v3 src0_sel:BYTE_0 src1_sel:DWORD
	s_mov_b64 s[0:1], -1
	s_and_b64 vcc, exec, s[4:5]
	s_cbranch_vccz .LBB78_1838
; %bb.1837:
	v_bfe_u32 v3, v2, 16, 1
	s_movk_i32 s0, 0x7fff
	v_add3_u32 v3, v2, v3, s0
	v_lshrrev_b32_e32 v3, 16, v3
	v_mov_b32_e32 v5, 0x7fc0
	v_cmp_o_f32_e32 vcc, v2, v2
	v_cndmask_b32_e32 v3, v5, v3, vcc
	global_store_short v[0:1], v3, off
	s_mov_b64 s[0:1], 0
	s_mov_b64 s[10:11], -1
.LBB78_1838:
	s_mov_b64 s[12:13], 0
.LBB78_1839:
	s_mov_b64 s[4:5], 0
	s_and_b64 vcc, exec, s[12:13]
	s_cbranch_vccz .LBB78_1841
; %bb.1840:
	v_mov_b32_e32 v3, 11
	v_cmp_ne_u16_sdwa s[0:1], s3, v3 src0_sel:BYTE_0 src1_sel:DWORD
	s_mov_b64 s[4:5], -1
.LBB78_1841:
	s_and_b64 vcc, exec, s[0:1]
	s_cbranch_vccnz .LBB78_1960
; %bb.1842:
	s_andn2_b64 vcc, exec, s[4:5]
	s_cbranch_vccnz .LBB78_1844
.LBB78_1843:
	v_cmp_neq_f32_e32 vcc, 0, v2
	v_cndmask_b32_e64 v3, 0, 1, vcc
	s_mov_b64 s[10:11], -1
	global_store_byte v[0:1], v3, off
.LBB78_1844:
	s_mov_b64 s[0:1], 0
.LBB78_1845:
	s_and_b64 vcc, exec, s[0:1]
	s_cbranch_vccz .LBB78_1884
; %bb.1846:
	v_mov_b32_e32 v3, 5
	v_cmp_lt_i16_sdwa s[4:5], s3, v3 src0_sel:BYTE_0 src1_sel:DWORD
	s_mov_b64 s[0:1], -1
	s_and_b64 vcc, exec, s[4:5]
	s_cbranch_vccnz .LBB78_1867
; %bb.1847:
	v_mov_b32_e32 v3, 8
	v_cmp_lt_i16_sdwa s[4:5], s3, v3 src0_sel:BYTE_0 src1_sel:DWORD
	s_and_b64 vcc, exec, s[4:5]
	s_cbranch_vccnz .LBB78_1857
; %bb.1848:
	v_mov_b32_e32 v3, 9
	v_cmp_lt_i16_sdwa s[4:5], s3, v3 src0_sel:BYTE_0 src1_sel:DWORD
	s_and_b64 vcc, exec, s[4:5]
	s_cbranch_vccnz .LBB78_1854
; %bb.1849:
	v_cmp_gt_i16_sdwa s[4:5], s3, v3 src0_sel:BYTE_0 src1_sel:DWORD
	s_and_b64 vcc, exec, s[4:5]
	s_cbranch_vccz .LBB78_1851
; %bb.1850:
	v_mov_b32_e32 v12, 0
	v_cvt_f64_f32_e32 v[10:11], v2
	v_mov_b32_e32 v13, v12
	global_store_dwordx4 v[0:1], v[10:13], off
	s_mov_b64 s[0:1], 0
.LBB78_1851:
	s_andn2_b64 vcc, exec, s[0:1]
	s_cbranch_vccnz .LBB78_1853
; %bb.1852:
	v_mov_b32_e32 v3, 0
	global_store_dwordx2 v[0:1], v[2:3], off
.LBB78_1853:
	s_mov_b64 s[0:1], 0
.LBB78_1854:
	s_andn2_b64 vcc, exec, s[0:1]
	s_cbranch_vccnz .LBB78_1856
; %bb.1855:
	v_cvt_f16_f32_e32 v3, v2
	global_store_dword v[0:1], v3, off
.LBB78_1856:
	s_mov_b64 s[0:1], 0
.LBB78_1857:
	s_andn2_b64 vcc, exec, s[0:1]
	s_cbranch_vccnz .LBB78_1866
; %bb.1858:
	v_mov_b32_e32 v3, 6
	v_cmp_lt_i16_sdwa s[4:5], s3, v3 src0_sel:BYTE_0 src1_sel:DWORD
	s_mov_b64 s[0:1], -1
	s_and_b64 vcc, exec, s[4:5]
	s_cbranch_vccnz .LBB78_1864
; %bb.1859:
	v_cmp_gt_i16_sdwa s[4:5], s3, v3 src0_sel:BYTE_0 src1_sel:DWORD
	s_and_b64 vcc, exec, s[4:5]
	s_cbranch_vccz .LBB78_1861
; %bb.1860:
	v_cvt_f64_f32_e32 v[6:7], v2
	global_store_dwordx2 v[0:1], v[6:7], off
	s_mov_b64 s[0:1], 0
.LBB78_1861:
	s_andn2_b64 vcc, exec, s[0:1]
	s_cbranch_vccnz .LBB78_1863
; %bb.1862:
	global_store_dword v[0:1], v2, off
.LBB78_1863:
	s_mov_b64 s[0:1], 0
.LBB78_1864:
	s_andn2_b64 vcc, exec, s[0:1]
	s_cbranch_vccnz .LBB78_1866
; %bb.1865:
	v_cvt_f16_f32_e32 v3, v2
	global_store_short v[0:1], v3, off
.LBB78_1866:
	s_mov_b64 s[0:1], 0
.LBB78_1867:
	s_andn2_b64 vcc, exec, s[0:1]
	s_cbranch_vccnz .LBB78_1883
; %bb.1868:
	v_mov_b32_e32 v3, 2
	v_cmp_lt_i16_sdwa s[4:5], s3, v3 src0_sel:BYTE_0 src1_sel:DWORD
	s_mov_b64 s[0:1], -1
	s_and_b64 vcc, exec, s[4:5]
	s_cbranch_vccnz .LBB78_1878
; %bb.1869:
	v_mov_b32_e32 v3, 3
	v_cmp_lt_i16_sdwa s[4:5], s3, v3 src0_sel:BYTE_0 src1_sel:DWORD
	s_and_b64 vcc, exec, s[4:5]
	s_cbranch_vccnz .LBB78_1875
; %bb.1870:
	v_cmp_gt_i16_sdwa s[4:5], s3, v3 src0_sel:BYTE_0 src1_sel:DWORD
	s_and_b64 vcc, exec, s[4:5]
	s_cbranch_vccz .LBB78_1872
; %bb.1871:
	v_trunc_f32_e32 v3, v2
	s_mov_b32 s0, 0x2f800000
	v_mul_f32_e64 v5, |v3|, s0
	v_floor_f32_e32 v5, v5
	s_mov_b32 s0, 0xcf800000
	v_cvt_u32_f32_e32 v6, v5
	v_fma_f32 v5, v5, s0, |v3|
	v_cvt_u32_f32_e32 v5, v5
	v_ashrrev_i32_e32 v3, 31, v3
	v_xor_b32_e32 v7, v6, v3
	s_mov_b64 s[0:1], 0
	v_xor_b32_e32 v5, v5, v3
	v_sub_co_u32_e32 v6, vcc, v5, v3
	v_subb_co_u32_e32 v7, vcc, v7, v3, vcc
	global_store_dwordx2 v[0:1], v[6:7], off
.LBB78_1872:
	s_andn2_b64 vcc, exec, s[0:1]
	s_cbranch_vccnz .LBB78_1874
; %bb.1873:
	v_cvt_i32_f32_e32 v3, v2
	global_store_dword v[0:1], v3, off
.LBB78_1874:
	s_mov_b64 s[0:1], 0
.LBB78_1875:
	s_andn2_b64 vcc, exec, s[0:1]
	s_cbranch_vccnz .LBB78_1877
; %bb.1876:
	v_cvt_i32_f32_e32 v3, v2
	global_store_short v[0:1], v3, off
.LBB78_1877:
	s_mov_b64 s[0:1], 0
.LBB78_1878:
	s_andn2_b64 vcc, exec, s[0:1]
	s_cbranch_vccnz .LBB78_1883
; %bb.1879:
	v_mov_b32_e32 v3, 0
	v_cmp_gt_i16_sdwa s[4:5], s3, v3 src0_sel:BYTE_0 src1_sel:DWORD
	s_mov_b64 s[0:1], -1
	s_and_b64 vcc, exec, s[4:5]
	s_cbranch_vccz .LBB78_1881
; %bb.1880:
	v_cvt_i32_f32_e32 v3, v2
	s_mov_b64 s[0:1], 0
	global_store_byte v[0:1], v3, off
.LBB78_1881:
	s_andn2_b64 vcc, exec, s[0:1]
	s_cbranch_vccnz .LBB78_1883
; %bb.1882:
	v_trunc_f32_e32 v2, v2
	s_mov_b32 s0, 0x2f800000
	v_mul_f32_e64 v3, |v2|, s0
	v_floor_f32_e32 v3, v3
	s_mov_b32 s0, 0xcf800000
	v_fma_f32 v3, v3, s0, |v2|
	v_cvt_u32_f32_e32 v3, v3
	v_ashrrev_i32_e32 v2, 31, v2
	v_xor_b32_e32 v3, v3, v2
	v_sub_u32_e32 v2, v3, v2
	global_store_byte v[0:1], v2, off
.LBB78_1883:
	s_mov_b64 s[10:11], -1
.LBB78_1884:
	s_andn2_b64 vcc, exec, s[10:11]
	s_cbranch_vccnz .LBB78_1914
; %bb.1885:
	s_brev_b32 s0, -2
	v_mov_b32_e32 v0, s2
	v_bfi_b32 v2, s0, v0, v8
	v_add_u32_e32 v0, s18, v4
	v_ashrrev_i32_e32 v1, 31, v0
	v_mov_b32_e32 v3, s9
	v_add_co_u32_e32 v0, vcc, s8, v0
	v_addc_co_u32_e32 v1, vcc, v3, v1, vcc
	v_mov_b32_e32 v3, 0xff
	v_and_b32_e32 v6, s3, v3
	v_cmp_gt_i16_e32 vcc, 11, v6
	s_cbranch_vccnz .LBB78_1959
; %bb.1886:
	v_cmp_lt_i16_e32 vcc, 25, v6
	s_mov_b64 s[8:9], -1
	s_mov_b64 s[4:5], 0
	s_mov_b64 s[0:1], 0
	s_cbranch_vccz .LBB78_1968
; %bb.1887:
	v_cmp_lt_i16_e32 vcc, 28, v6
	s_cbranch_vccz .LBB78_1903
; %bb.1888:
	v_cmp_lt_i16_e32 vcc, 43, v6
	;; [unrolled: 3-line block ×3, first 2 shown]
	s_cbranch_vccz .LBB78_1893
; %bb.1890:
	v_cmp_eq_u16_e32 vcc, 46, v6
	s_mov_b64 s[0:1], -1
	s_cbranch_vccz .LBB78_1892
; %bb.1891:
	v_bfe_u32 v3, v2, 16, 1
	s_movk_i32 s0, 0x7fff
	v_add3_u32 v3, v2, v3, s0
	v_lshrrev_b32_e32 v3, 16, v3
	v_mov_b32_e32 v4, 0x7fc0
	v_cmp_o_f32_e32 vcc, v2, v2
	v_cndmask_b32_e32 v3, v4, v3, vcc
	global_store_dword v[0:1], v3, off
	s_mov_b64 s[0:1], 0
.LBB78_1892:
	s_mov_b64 s[8:9], 0
.LBB78_1893:
	s_and_b64 vcc, exec, s[8:9]
	s_cbranch_vccz .LBB78_1898
; %bb.1894:
	v_cmp_eq_u16_e32 vcc, 44, v6
	s_mov_b64 s[0:1], -1
	s_cbranch_vccz .LBB78_1898
; %bb.1895:
	v_bfe_u32 v3, v2, 23, 8
	s_movk_i32 s0, 0xff
	v_cmp_ne_u32_e32 vcc, s0, v3
	v_mov_b32_e32 v4, 0xff
	s_and_saveexec_b64 s[8:9], vcc
; %bb.1896:
	s_mov_b32 s0, 0x3fffff
	v_and_b32_e32 v5, 0x400000, v2
	v_and_or_b32 v3, v2, s0, v3
	v_cmp_ne_u32_e32 vcc, 0, v5
	v_cmp_ne_u32_e64 s[0:1], 0, v3
	s_and_b64 s[0:1], vcc, s[0:1]
	v_lshrrev_b32_e32 v4, 23, v2
	v_cndmask_b32_e64 v3, 0, 1, s[0:1]
	v_add_u32_e32 v4, v4, v3
; %bb.1897:
	s_or_b64 exec, exec, s[8:9]
	s_mov_b64 s[0:1], 0
	global_store_byte v[0:1], v4, off
.LBB78_1898:
	s_mov_b64 s[8:9], 0
.LBB78_1899:
	s_and_b64 vcc, exec, s[8:9]
	s_cbranch_vccz .LBB78_1902
; %bb.1900:
	v_cmp_eq_u16_e32 vcc, 29, v6
	s_mov_b64 s[0:1], -1
	s_cbranch_vccz .LBB78_1902
; %bb.1901:
	v_trunc_f32_e32 v3, v2
	v_mul_f32_e32 v4, 0x2f800000, v3
	v_floor_f32_e32 v4, v4
	v_fmac_f32_e32 v3, 0xcf800000, v4
	v_cvt_u32_f32_e32 v5, v4
	v_cvt_u32_f32_e32 v4, v3
	s_mov_b64 s[0:1], 0
	global_store_dwordx2 v[0:1], v[4:5], off
.LBB78_1902:
	s_mov_b64 s[8:9], 0
.LBB78_1903:
	s_and_b64 vcc, exec, s[8:9]
	s_cbranch_vccz .LBB78_1967
; %bb.1904:
	v_cmp_gt_i16_e32 vcc, 27, v6
	s_mov_b64 s[8:9], -1
	s_cbranch_vccnz .LBB78_1910
; %bb.1905:
	v_cvt_u32_f32_e32 v3, v2
	v_cmp_lt_i16_e32 vcc, 27, v6
	s_cbranch_vccz .LBB78_1907
; %bb.1906:
	global_store_dword v[0:1], v3, off
	s_mov_b64 s[8:9], 0
.LBB78_1907:
	s_andn2_b64 vcc, exec, s[8:9]
	s_cbranch_vccnz .LBB78_1909
; %bb.1908:
	global_store_short v[0:1], v3, off
.LBB78_1909:
	s_mov_b64 s[8:9], 0
.LBB78_1910:
	s_andn2_b64 vcc, exec, s[8:9]
	s_cbranch_vccnz .LBB78_1967
; %bb.1911:
	s_and_b32 s3, s2, 0x7fffffff
	s_cmp_gt_u32 s3, 0x437fffff
	v_mov_b32_e32 v4, 0x80
	s_cbranch_scc1 .LBB78_1966
; %bb.1912:
	s_cmp_gt_u32 s3, 0x3bffffff
	s_cbranch_scc0 .LBB78_1961
; %bb.1913:
	v_bfe_u32 v3, v2, 20, 1
	s_mov_b32 s3, 0x487ffff
	v_add3_u32 v3, v2, v3, s3
	v_lshrrev_b32_e32 v3, 20, v3
	s_mov_b64 s[10:11], 0
	s_mov_b64 s[8:9], -1
	s_branch .LBB78_1962
.LBB78_1914:
	s_mov_b64 s[0:1], 0
	s_mov_b64 s[4:5], 0
                                        ; implicit-def: $vgpr6
                                        ; implicit-def: $vgpr0_vgpr1
                                        ; implicit-def: $vgpr2
.LBB78_1915:
	s_andn2_b64 s[2:3], s[14:15], exec
	s_and_b64 s[8:9], s[16:17], exec
	s_and_b64 s[0:1], s[0:1], exec
	;; [unrolled: 1-line block ×3, first 2 shown]
	s_or_b64 s[14:15], s[2:3], s[8:9]
.LBB78_1916:
	s_or_b64 exec, exec, s[6:7]
	s_and_saveexec_b64 s[2:3], s[14:15]
	s_cbranch_execz .LBB78_1919
; %bb.1917:
	; divergent unreachable
	s_or_b64 exec, exec, s[2:3]
	s_and_saveexec_b64 s[2:3], s[4:5]
	s_xor_b64 s[2:3], exec, s[2:3]
	s_cbranch_execnz .LBB78_1920
.LBB78_1918:
	s_or_b64 exec, exec, s[2:3]
	s_and_saveexec_b64 s[2:3], s[0:1]
	s_cbranch_execnz .LBB78_1921
	s_branch .LBB78_1958
.LBB78_1919:
	s_or_b64 exec, exec, s[2:3]
	s_and_saveexec_b64 s[2:3], s[4:5]
	s_xor_b64 s[2:3], exec, s[2:3]
	s_cbranch_execz .LBB78_1918
.LBB78_1920:
	s_waitcnt vmcnt(0)
	v_cmp_neq_f32_e32 vcc, 0, v2
	v_cndmask_b32_e64 v3, 0, 1, vcc
	global_store_byte v[0:1], v3, off
	s_or_b64 exec, exec, s[2:3]
	s_and_saveexec_b64 s[2:3], s[0:1]
	s_cbranch_execz .LBB78_1958
.LBB78_1921:
	s_waitcnt vmcnt(0)
	v_cmp_gt_i16_e32 vcc, 5, v6
	s_mov_b64 s[0:1], -1
	s_cbranch_vccnz .LBB78_1942
; %bb.1922:
	v_cmp_gt_i16_e32 vcc, 8, v6
	s_cbranch_vccnz .LBB78_1932
; %bb.1923:
	v_cmp_gt_i16_e32 vcc, 9, v6
	s_cbranch_vccnz .LBB78_1929
; %bb.1924:
	v_cmp_lt_i16_e32 vcc, 9, v6
	s_cbranch_vccz .LBB78_1926
; %bb.1925:
	v_mov_b32_e32 v10, 0
	v_cvt_f64_f32_e32 v[8:9], v2
	v_mov_b32_e32 v11, v10
	global_store_dwordx4 v[0:1], v[8:11], off
	s_mov_b64 s[0:1], 0
.LBB78_1926:
	s_andn2_b64 vcc, exec, s[0:1]
	s_cbranch_vccnz .LBB78_1928
; %bb.1927:
	v_mov_b32_e32 v3, 0
	global_store_dwordx2 v[0:1], v[2:3], off
.LBB78_1928:
	s_mov_b64 s[0:1], 0
.LBB78_1929:
	s_andn2_b64 vcc, exec, s[0:1]
	s_cbranch_vccnz .LBB78_1931
; %bb.1930:
	v_cvt_f16_f32_e32 v3, v2
	global_store_dword v[0:1], v3, off
.LBB78_1931:
	s_mov_b64 s[0:1], 0
.LBB78_1932:
	s_andn2_b64 vcc, exec, s[0:1]
	s_cbranch_vccnz .LBB78_1941
; %bb.1933:
	v_cmp_gt_i16_e32 vcc, 6, v6
	s_mov_b64 s[0:1], -1
	s_cbranch_vccnz .LBB78_1939
; %bb.1934:
	v_cmp_lt_i16_e32 vcc, 6, v6
	s_cbranch_vccz .LBB78_1936
; %bb.1935:
	v_cvt_f64_f32_e32 v[4:5], v2
	global_store_dwordx2 v[0:1], v[4:5], off
	s_mov_b64 s[0:1], 0
.LBB78_1936:
	s_andn2_b64 vcc, exec, s[0:1]
	s_cbranch_vccnz .LBB78_1938
; %bb.1937:
	global_store_dword v[0:1], v2, off
.LBB78_1938:
	s_mov_b64 s[0:1], 0
.LBB78_1939:
	s_andn2_b64 vcc, exec, s[0:1]
	s_cbranch_vccnz .LBB78_1941
; %bb.1940:
	v_cvt_f16_f32_e32 v3, v2
	global_store_short v[0:1], v3, off
.LBB78_1941:
	s_mov_b64 s[0:1], 0
.LBB78_1942:
	s_andn2_b64 vcc, exec, s[0:1]
	s_cbranch_vccnz .LBB78_1958
; %bb.1943:
	v_cmp_gt_i16_e32 vcc, 2, v6
	s_mov_b64 s[0:1], -1
	s_cbranch_vccnz .LBB78_1953
; %bb.1944:
	v_cmp_gt_i16_e32 vcc, 3, v6
	s_cbranch_vccnz .LBB78_1950
; %bb.1945:
	v_cmp_lt_i16_e32 vcc, 3, v6
	s_cbranch_vccz .LBB78_1947
; %bb.1946:
	v_trunc_f32_e32 v3, v2
	s_mov_b32 s0, 0x2f800000
	v_mul_f32_e64 v4, |v3|, s0
	v_floor_f32_e32 v4, v4
	s_mov_b32 s0, 0xcf800000
	v_cvt_u32_f32_e32 v5, v4
	v_fma_f32 v4, v4, s0, |v3|
	v_cvt_u32_f32_e32 v4, v4
	v_ashrrev_i32_e32 v3, 31, v3
	v_xor_b32_e32 v5, v5, v3
	s_mov_b64 s[0:1], 0
	v_xor_b32_e32 v4, v4, v3
	v_sub_co_u32_e32 v4, vcc, v4, v3
	v_subb_co_u32_e32 v5, vcc, v5, v3, vcc
	global_store_dwordx2 v[0:1], v[4:5], off
.LBB78_1947:
	s_andn2_b64 vcc, exec, s[0:1]
	s_cbranch_vccnz .LBB78_1949
; %bb.1948:
	v_cvt_i32_f32_e32 v3, v2
	global_store_dword v[0:1], v3, off
.LBB78_1949:
	s_mov_b64 s[0:1], 0
.LBB78_1950:
	s_andn2_b64 vcc, exec, s[0:1]
	s_cbranch_vccnz .LBB78_1952
; %bb.1951:
	v_cvt_i32_f32_e32 v3, v2
	global_store_short v[0:1], v3, off
.LBB78_1952:
	s_mov_b64 s[0:1], 0
.LBB78_1953:
	s_andn2_b64 vcc, exec, s[0:1]
	s_cbranch_vccnz .LBB78_1958
; %bb.1954:
	v_cmp_lt_i16_e32 vcc, 0, v6
	s_mov_b64 s[0:1], -1
	s_cbranch_vccz .LBB78_1956
; %bb.1955:
	v_cvt_i32_f32_e32 v3, v2
	s_mov_b64 s[0:1], 0
	global_store_byte v[0:1], v3, off
.LBB78_1956:
	s_andn2_b64 vcc, exec, s[0:1]
	s_cbranch_vccnz .LBB78_1958
; %bb.1957:
	v_trunc_f32_e32 v2, v2
	s_mov_b32 s0, 0x2f800000
	v_mul_f32_e64 v3, |v2|, s0
	v_floor_f32_e32 v3, v3
	s_mov_b32 s0, 0xcf800000
	v_fma_f32 v3, v3, s0, |v2|
	v_cvt_u32_f32_e32 v3, v3
	v_ashrrev_i32_e32 v2, 31, v2
	v_xor_b32_e32 v3, v3, v2
	v_sub_u32_e32 v2, v3, v2
	global_store_byte v[0:1], v2, off
	s_endpgm
.LBB78_1958:
	s_endpgm
.LBB78_1959:
	s_mov_b64 s[4:5], 0
	s_mov_b64 s[0:1], -1
	s_branch .LBB78_1915
.LBB78_1960:
	s_trap 2
	s_or_b64 s[16:17], s[16:17], exec
	s_cbranch_execz .LBB78_1843
	s_branch .LBB78_1844
.LBB78_1961:
	s_mov_b64 s[10:11], -1
	s_mov_b64 s[8:9], 0
                                        ; implicit-def: $vgpr3
.LBB78_1962:
	s_andn2_b64 vcc, exec, s[10:11]
                                        ; implicit-def: $sgpr3
	s_cbranch_vccnz .LBB78_1964
; %bb.1963:
	v_mov_b32_e32 v3, 0x46000000
	v_add_f32_e64 v3, |s2|, v3
	v_and_b32_e32 v3, 0xff, v3
	s_mov_b32 s3, 0
	v_cmp_ne_u32_e64 s[8:9], 0, v3
.LBB78_1964:
	s_andn2_b64 vcc, exec, s[8:9]
	v_mov_b32_e32 v4, s3
	s_cbranch_vccnz .LBB78_1966
; %bb.1965:
	v_lshrrev_b32_e32 v4, 24, v2
	s_movk_i32 s3, 0x80
	v_and_or_b32 v4, v4, s3, v3
.LBB78_1966:
	global_store_byte v[0:1], v4, off
.LBB78_1967:
	s_mov_b64 s[8:9], 0
.LBB78_1968:
	s_and_b64 vcc, exec, s[8:9]
	s_cbranch_vccz .LBB78_2014
; %bb.1969:
	v_cmp_lt_i16_e32 vcc, 22, v6
	s_mov_b64 s[4:5], -1
	s_cbranch_vccz .LBB78_2007
; %bb.1970:
	v_cmp_gt_i16_e32 vcc, 24, v6
	s_cbranch_vccnz .LBB78_1994
; %bb.1971:
	v_cmp_lt_i16_e32 vcc, 24, v6
	s_cbranch_vccz .LBB78_1981
; %bb.1972:
	s_and_b32 s3, s2, 0x7fffffff
	s_cmp_gt_u32 s3, 0x477fffff
	v_mov_b32_e32 v4, 0x80
	s_cbranch_scc1 .LBB78_1980
; %bb.1973:
	s_cmp_gt_u32 s3, 0x37ffffff
	s_cbranch_scc0 .LBB78_1975
; %bb.1974:
	v_bfe_u32 v3, v2, 21, 1
	s_mov_b32 s3, 0x88fffff
	v_add3_u32 v3, v2, v3, s3
	v_lshrrev_b32_e32 v3, 21, v3
	s_mov_b64 s[8:9], 0
	s_branch .LBB78_1976
.LBB78_1975:
	s_mov_b64 s[8:9], -1
	s_mov_b64 s[4:5], 0
                                        ; implicit-def: $vgpr3
.LBB78_1976:
	s_andn2_b64 vcc, exec, s[8:9]
                                        ; implicit-def: $sgpr3
	s_cbranch_vccnz .LBB78_1978
; %bb.1977:
	v_mov_b32_e32 v3, 0x42800000
	v_add_f32_e64 v3, |s2|, v3
	v_and_b32_e32 v3, 0xff, v3
	s_mov_b32 s3, 0
	v_cmp_ne_u32_e64 s[4:5], 0, v3
.LBB78_1978:
	s_andn2_b64 vcc, exec, s[4:5]
	v_mov_b32_e32 v4, s3
	s_cbranch_vccnz .LBB78_1980
; %bb.1979:
	v_lshrrev_b32_e32 v4, 24, v2
	s_movk_i32 s3, 0x80
	v_and_or_b32 v4, v4, s3, v3
.LBB78_1980:
	s_mov_b64 s[4:5], 0
	global_store_byte v[0:1], v4, off
.LBB78_1981:
	s_and_b64 vcc, exec, s[4:5]
	s_cbranch_vccz .LBB78_1993
; %bb.1982:
	s_and_b32 s3, s2, 0x7fffffff
	s_cmp_lt_u32 s3, 0x43f00000
	s_cbranch_scc0 .LBB78_1985
; %bb.1983:
	s_cmp_gt_u32 s3, 0x3c7fffff
	s_cbranch_scc0 .LBB78_1986
; %bb.1984:
	v_bfe_u32 v3, v2, 20, 1
	s_mov_b32 s4, 0x407ffff
	v_add3_u32 v3, v2, v3, s4
	v_lshrrev_b32_e32 v4, 20, v3
	v_and_b32_e32 v3, 0xff00000, v3
	s_mov_b32 s4, 0x7f00000
	v_mov_b32_e32 v5, 0x7e
	v_cmp_ne_u32_e32 vcc, s4, v3
	v_cndmask_b32_e32 v3, v5, v4, vcc
	s_mov_b64 s[4:5], 0
	s_branch .LBB78_1987
.LBB78_1985:
	s_mov_b64 s[4:5], -1
                                        ; implicit-def: $vgpr3
	s_branch .LBB78_1990
.LBB78_1986:
	s_mov_b64 s[4:5], -1
                                        ; implicit-def: $vgpr3
.LBB78_1987:
	s_andn2_b64 vcc, exec, s[4:5]
	s_cbranch_vccnz .LBB78_1989
; %bb.1988:
	v_mov_b32_e32 v3, 0x46800000
	v_add_f32_e64 v3, |s2|, v3
.LBB78_1989:
	s_mov_b64 s[4:5], 0
.LBB78_1990:
	s_andn2_b64 vcc, exec, s[4:5]
	s_cbranch_vccnz .LBB78_1992
; %bb.1991:
	s_cmp_gt_u32 s3, 0x7f800000
	s_movk_i32 s3, 0x7f
	s_cselect_b32 s3, s3, 0x7e
	v_mov_b32_e32 v3, s3
.LBB78_1992:
	v_lshrrev_b32_e32 v4, 24, v2
	s_movk_i32 s3, 0x80
	v_and_or_b32 v3, v4, s3, v3
	global_store_byte v[0:1], v3, off
.LBB78_1993:
	s_mov_b64 s[4:5], 0
.LBB78_1994:
	s_andn2_b64 vcc, exec, s[4:5]
	s_cbranch_vccnz .LBB78_2006
; %bb.1995:
	s_and_b32 s8, s2, 0x7fffffff
	s_cmp_lt_u32 s8, 0x47800000
	s_cbranch_scc0 .LBB78_1998
; %bb.1996:
	s_cmp_gt_u32 s8, 0x387fffff
	s_cbranch_scc0 .LBB78_1999
; %bb.1997:
	v_bfe_u32 v3, v2, 21, 1
	s_mov_b32 s3, 0x80fffff
	v_add3_u32 v3, v2, v3, s3
	v_lshrrev_b32_e32 v3, 21, v3
	s_mov_b64 s[4:5], 0
	s_branch .LBB78_2000
.LBB78_1998:
	s_mov_b64 s[2:3], -1
                                        ; implicit-def: $vgpr3
	s_branch .LBB78_2003
.LBB78_1999:
	s_mov_b64 s[4:5], -1
                                        ; implicit-def: $vgpr3
.LBB78_2000:
	s_andn2_b64 vcc, exec, s[4:5]
	s_cbranch_vccnz .LBB78_2002
; %bb.2001:
	v_mov_b32_e32 v3, 0x43000000
	v_add_f32_e64 v3, |s2|, v3
.LBB78_2002:
	s_mov_b64 s[2:3], 0
.LBB78_2003:
	s_andn2_b64 vcc, exec, s[2:3]
	s_cbranch_vccnz .LBB78_2005
; %bb.2004:
	s_cmp_gt_u32 s8, 0x7f800000
	s_movk_i32 s2, 0x7f
	s_cselect_b32 s2, s2, 0x7c
	v_mov_b32_e32 v3, s2
.LBB78_2005:
	v_lshrrev_b32_e32 v4, 24, v2
	s_movk_i32 s2, 0x80
	v_and_or_b32 v3, v4, s2, v3
	global_store_byte v[0:1], v3, off
.LBB78_2006:
	s_mov_b64 s[4:5], 0
.LBB78_2007:
	s_andn2_b64 vcc, exec, s[4:5]
	s_mov_b64 s[4:5], 0
	s_cbranch_vccnz .LBB78_2014
; %bb.2008:
	v_cmp_lt_i16_e32 vcc, 14, v6
	s_mov_b64 s[2:3], -1
	s_cbranch_vccz .LBB78_2012
; %bb.2009:
	v_cmp_eq_u16_e32 vcc, 15, v6
	s_mov_b64 s[0:1], -1
	s_cbranch_vccz .LBB78_2011
; %bb.2010:
	v_bfe_u32 v3, v2, 16, 1
	s_movk_i32 s0, 0x7fff
	v_add3_u32 v3, v2, v3, s0
	v_lshrrev_b32_e32 v3, 16, v3
	v_mov_b32_e32 v4, 0x7fc0
	v_cmp_o_f32_e32 vcc, v2, v2
	v_cndmask_b32_e32 v3, v4, v3, vcc
	global_store_short v[0:1], v3, off
	s_mov_b64 s[0:1], 0
.LBB78_2011:
	s_mov_b64 s[2:3], 0
.LBB78_2012:
	s_and_b64 vcc, exec, s[2:3]
	s_cbranch_vccz .LBB78_2014
; %bb.2013:
	v_cmp_ne_u16_e64 s[0:1], 11, v6
	s_mov_b64 s[4:5], -1
.LBB78_2014:
	s_and_b64 vcc, exec, s[0:1]
	s_cbranch_vccnz .LBB78_2016
.LBB78_2015:
	s_mov_b64 s[0:1], 0
	s_branch .LBB78_1915
.LBB78_2016:
	s_mov_b64 s[4:5], 0
	s_or_b64 s[16:17], s[16:17], exec
	s_trap 2
	s_branch .LBB78_2015
	.section	.rodata,"a",@progbits
	.p2align	6, 0x0
	.amdhsa_kernel _ZN2at6native32elementwise_kernel_manual_unrollILi128ELi4EZNS0_15gpu_kernel_implINS0_13AUnaryFunctorIfffZZZNS0_20copysign_kernel_cudaERNS_18TensorIteratorBaseEENKUlvE_clEvENKUlvE0_clEvEUlffE_EEEEvS5_RKT_EUlibE_EEviT1_
		.amdhsa_group_segment_fixed_size 0
		.amdhsa_private_segment_fixed_size 0
		.amdhsa_kernarg_size 48
		.amdhsa_user_sgpr_count 6
		.amdhsa_user_sgpr_private_segment_buffer 1
		.amdhsa_user_sgpr_dispatch_ptr 0
		.amdhsa_user_sgpr_queue_ptr 0
		.amdhsa_user_sgpr_kernarg_segment_ptr 1
		.amdhsa_user_sgpr_dispatch_id 0
		.amdhsa_user_sgpr_flat_scratch_init 0
		.amdhsa_user_sgpr_kernarg_preload_length 0
		.amdhsa_user_sgpr_kernarg_preload_offset 0
		.amdhsa_user_sgpr_private_segment_size 0
		.amdhsa_uses_dynamic_stack 0
		.amdhsa_system_sgpr_private_segment_wavefront_offset 0
		.amdhsa_system_sgpr_workgroup_id_x 1
		.amdhsa_system_sgpr_workgroup_id_y 0
		.amdhsa_system_sgpr_workgroup_id_z 0
		.amdhsa_system_sgpr_workgroup_info 0
		.amdhsa_system_vgpr_workitem_id 0
		.amdhsa_next_free_vgpr 14
		.amdhsa_next_free_sgpr 65
		.amdhsa_accum_offset 16
		.amdhsa_reserve_vcc 1
		.amdhsa_reserve_flat_scratch 0
		.amdhsa_float_round_mode_32 0
		.amdhsa_float_round_mode_16_64 0
		.amdhsa_float_denorm_mode_32 3
		.amdhsa_float_denorm_mode_16_64 3
		.amdhsa_dx10_clamp 1
		.amdhsa_ieee_mode 1
		.amdhsa_fp16_overflow 0
		.amdhsa_tg_split 0
		.amdhsa_exception_fp_ieee_invalid_op 0
		.amdhsa_exception_fp_denorm_src 0
		.amdhsa_exception_fp_ieee_div_zero 0
		.amdhsa_exception_fp_ieee_overflow 0
		.amdhsa_exception_fp_ieee_underflow 0
		.amdhsa_exception_fp_ieee_inexact 0
		.amdhsa_exception_int_div_zero 0
	.end_amdhsa_kernel
	.section	.text._ZN2at6native32elementwise_kernel_manual_unrollILi128ELi4EZNS0_15gpu_kernel_implINS0_13AUnaryFunctorIfffZZZNS0_20copysign_kernel_cudaERNS_18TensorIteratorBaseEENKUlvE_clEvENKUlvE0_clEvEUlffE_EEEEvS5_RKT_EUlibE_EEviT1_,"axG",@progbits,_ZN2at6native32elementwise_kernel_manual_unrollILi128ELi4EZNS0_15gpu_kernel_implINS0_13AUnaryFunctorIfffZZZNS0_20copysign_kernel_cudaERNS_18TensorIteratorBaseEENKUlvE_clEvENKUlvE0_clEvEUlffE_EEEEvS5_RKT_EUlibE_EEviT1_,comdat
.Lfunc_end78:
	.size	_ZN2at6native32elementwise_kernel_manual_unrollILi128ELi4EZNS0_15gpu_kernel_implINS0_13AUnaryFunctorIfffZZZNS0_20copysign_kernel_cudaERNS_18TensorIteratorBaseEENKUlvE_clEvENKUlvE0_clEvEUlffE_EEEEvS5_RKT_EUlibE_EEviT1_, .Lfunc_end78-_ZN2at6native32elementwise_kernel_manual_unrollILi128ELi4EZNS0_15gpu_kernel_implINS0_13AUnaryFunctorIfffZZZNS0_20copysign_kernel_cudaERNS_18TensorIteratorBaseEENKUlvE_clEvENKUlvE0_clEvEUlffE_EEEEvS5_RKT_EUlibE_EEviT1_
                                        ; -- End function
	.section	.AMDGPU.csdata,"",@progbits
; Kernel info:
; codeLenInByte = 32320
; NumSgprs: 69
; NumVgprs: 14
; NumAgprs: 0
; TotalNumVgprs: 14
; ScratchSize: 0
; MemoryBound: 1
; FloatMode: 240
; IeeeMode: 1
; LDSByteSize: 0 bytes/workgroup (compile time only)
; SGPRBlocks: 8
; VGPRBlocks: 1
; NumSGPRsForWavesPerEU: 69
; NumVGPRsForWavesPerEU: 14
; AccumOffset: 16
; Occupancy: 8
; WaveLimiterHint : 0
; COMPUTE_PGM_RSRC2:SCRATCH_EN: 0
; COMPUTE_PGM_RSRC2:USER_SGPR: 6
; COMPUTE_PGM_RSRC2:TRAP_HANDLER: 0
; COMPUTE_PGM_RSRC2:TGID_X_EN: 1
; COMPUTE_PGM_RSRC2:TGID_Y_EN: 0
; COMPUTE_PGM_RSRC2:TGID_Z_EN: 0
; COMPUTE_PGM_RSRC2:TIDIG_COMP_CNT: 0
; COMPUTE_PGM_RSRC3_GFX90A:ACCUM_OFFSET: 3
; COMPUTE_PGM_RSRC3_GFX90A:TG_SPLIT: 0
	.section	.text._ZN2at6native32elementwise_kernel_manual_unrollILi128ELi4EZNS0_15gpu_kernel_implINS0_13AUnaryFunctorIfffZZZNS0_20copysign_kernel_cudaERNS_18TensorIteratorBaseEENKUlvE_clEvENKUlvE0_clEvEUlffE_EEEEvS5_RKT_EUlibE0_EEviT1_,"axG",@progbits,_ZN2at6native32elementwise_kernel_manual_unrollILi128ELi4EZNS0_15gpu_kernel_implINS0_13AUnaryFunctorIfffZZZNS0_20copysign_kernel_cudaERNS_18TensorIteratorBaseEENKUlvE_clEvENKUlvE0_clEvEUlffE_EEEEvS5_RKT_EUlibE0_EEviT1_,comdat
	.globl	_ZN2at6native32elementwise_kernel_manual_unrollILi128ELi4EZNS0_15gpu_kernel_implINS0_13AUnaryFunctorIfffZZZNS0_20copysign_kernel_cudaERNS_18TensorIteratorBaseEENKUlvE_clEvENKUlvE0_clEvEUlffE_EEEEvS5_RKT_EUlibE0_EEviT1_ ; -- Begin function _ZN2at6native32elementwise_kernel_manual_unrollILi128ELi4EZNS0_15gpu_kernel_implINS0_13AUnaryFunctorIfffZZZNS0_20copysign_kernel_cudaERNS_18TensorIteratorBaseEENKUlvE_clEvENKUlvE0_clEvEUlffE_EEEEvS5_RKT_EUlibE0_EEviT1_
	.p2align	8
	.type	_ZN2at6native32elementwise_kernel_manual_unrollILi128ELi4EZNS0_15gpu_kernel_implINS0_13AUnaryFunctorIfffZZZNS0_20copysign_kernel_cudaERNS_18TensorIteratorBaseEENKUlvE_clEvENKUlvE0_clEvEUlffE_EEEEvS5_RKT_EUlibE0_EEviT1_,@function
_ZN2at6native32elementwise_kernel_manual_unrollILi128ELi4EZNS0_15gpu_kernel_implINS0_13AUnaryFunctorIfffZZZNS0_20copysign_kernel_cudaERNS_18TensorIteratorBaseEENKUlvE_clEvENKUlvE0_clEvEUlffE_EEEEvS5_RKT_EUlibE0_EEviT1_: ; @_ZN2at6native32elementwise_kernel_manual_unrollILi128ELi4EZNS0_15gpu_kernel_implINS0_13AUnaryFunctorIfffZZZNS0_20copysign_kernel_cudaERNS_18TensorIteratorBaseEENKUlvE_clEvENKUlvE0_clEvEUlffE_EEEEvS5_RKT_EUlibE0_EEviT1_
; %bb.0:
	s_load_dword s90, s[4:5], 0x0
	s_load_dword s33, s[4:5], 0x8
	s_or_b32 s34, s4, 8
	v_lshl_or_b32 v8, s6, 9, v0
	v_or_b32_e32 v9, 0x180, v8
	s_mov_b32 s35, s5
	s_waitcnt lgkmcnt(0)
	s_add_i32 s92, s33, -1
	s_cmp_gt_u32 s92, 1
	v_cmp_le_i32_e32 vcc, s90, v9
	s_cselect_b64 s[40:41], -1, 0
	s_mov_b64 s[6:7], 0
	s_mov_b64 s[28:29], 0
	s_and_saveexec_b64 s[0:1], vcc
	s_xor_b64 s[42:43], exec, s[0:1]
	s_cbranch_execz .LBB79_1046
; %bb.1:
	s_load_dwordx4 s[28:31], s[34:35], 0x4
	s_load_dwordx2 s[88:89], s[34:35], 0x14
	s_load_dwordx2 s[60:61], s[34:35], 0x15c
	s_cmp_lg_u32 s33, 0
	s_cselect_b64 s[68:69], -1, 0
	s_add_u32 s66, s34, 0xc4
	s_addc_u32 s67, s35, 0
	s_min_u32 s91, s92, 15
	s_cmp_gt_u32 s33, 1
	s_cselect_b64 s[64:65], -1, 0
	s_waitcnt lgkmcnt(0)
	s_and_b32 s93, s60, 0x7fffffff
	s_cmp_lt_u32 s93, 0x43800000
	v_mov_b32_e32 v0, 0x46000000
	s_cselect_b64 s[20:21], -1, 0
	s_cmp_gt_u32 s93, 0x3bffffff
	v_add_f32_e64 v0, |s60|, v0
	s_cselect_b64 s[56:57], -1, 0
	v_and_b32_e32 v6, 0xff, v0
	s_cmp_gt_u32 s93, 0x477fffff
	v_mov_b32_e32 v0, 0x42800000
	s_cselect_b64 s[44:45], -1, 0
	s_cmp_lt_u32 s93, 0x47800000
	v_add_f32_e64 v0, |s60|, v0
	s_load_dwordx4 s[36:39], s[34:35], 0xc4
	s_load_dwordx4 s[24:27], s[34:35], 0x148
	s_cselect_b64 s[52:53], -1, 0
	s_cmp_gt_u32 s93, 0x37ffffff
	v_and_b32_e32 v5, 0xff, v0
	v_mov_b32_e32 v0, 0x46800000
	s_cselect_b64 s[50:51], -1, 0
	s_cmp_gt_u32 s93, 0x43efffff
	v_add_f32_e64 v0, |s60|, v0
	s_cselect_b64 s[46:47], -1, 0
	v_readfirstlane_b32 s62, v0
	s_cmp_gt_u32 s93, 0x7f800000
	s_movk_i32 s0, 0x7f
	v_mov_b32_e32 v0, 0x43000000
	s_cselect_b32 s63, s0, 0x7e
	v_add_f32_e64 v0, |s60|, v0
	s_movk_i32 s0, 0x7c
	v_lshrrev_b16_e64 v4, 8, s61
	v_cmp_ne_u32_e64 s[54:55], 0, v6
	v_cmp_ne_u32_e64 s[18:19], 0, v5
	v_readfirstlane_b32 s58, v0
	s_cselect_b32 s59, 0x7f, s0
	v_cmp_gt_i32_e32 vcc, s90, v8
	s_mov_b64 s[2:3], -1
	s_mov_b64 s[78:79], 0
	s_mov_b64 s[72:73], 0
	;; [unrolled: 1-line block ×3, first 2 shown]
	s_and_saveexec_b64 s[74:75], vcc
	s_cbranch_execz .LBB79_259
; %bb.2:
	s_andn2_b64 vcc, exec, s[40:41]
	s_cbranch_vccnz .LBB79_8
; %bb.3:
	s_mov_b32 s70, 0
	s_andn2_b64 vcc, exec, s[68:69]
	v_mov_b32_e32 v2, 0
	v_mov_b32_e32 v0, 0
	s_cbranch_vccnz .LBB79_14
; %bb.4:
	s_add_i32 s80, s91, 1
	s_cmp_eq_u32 s92, 2
	s_cbranch_scc1 .LBB79_9
; %bb.5:
	s_mov_b64 s[82:83], s[20:21]
	s_mov_b64 s[48:49], s[18:19]
	s_and_b32 s70, s80, 28
	s_mov_b32 s71, 0
	v_mov_b32_e32 v0, 0
	s_mov_b64 s[72:73], s[34:35]
	s_mov_b64 s[76:77], s[66:67]
	v_mov_b32_e32 v3, v8
	v_mov_b32_e32 v2, 0
.LBB79_6:                               ; =>This Inner Loop Header: Depth=1
	s_load_dwordx8 s[16:23], s[72:73], 0x4
	s_load_dwordx4 s[0:3], s[72:73], 0x24
	s_load_dwordx8 s[8:15], s[76:77], 0x0
	s_add_u32 s72, s72, 48
	s_addc_u32 s73, s73, 0
	s_waitcnt lgkmcnt(0)
	v_mul_hi_u32 v1, s17, v3
	v_add_u32_e32 v1, v3, v1
	v_lshrrev_b32_e32 v1, s18, v1
	v_mul_lo_u32 v7, v1, s16
	v_mul_hi_u32 v9, s20, v1
	v_sub_u32_e32 v3, v3, v7
	v_add_u32_e32 v7, v1, v9
	v_lshrrev_b32_e32 v7, s21, v7
	v_mul_lo_u32 v10, v7, s19
	v_mul_hi_u32 v11, s23, v7
	v_sub_u32_e32 v1, v1, v10
	v_add_u32_e32 v10, v7, v11
	v_mul_lo_u32 v9, v3, s9
	v_mul_lo_u32 v3, v3, s8
	;; [unrolled: 1-line block ×4, first 2 shown]
	v_lshrrev_b32_e32 v10, s0, v10
	v_add3_u32 v0, v3, v0, v1
	v_mul_hi_u32 v3, s2, v10
	v_add_u32_e32 v3, v10, v3
	v_lshrrev_b32_e32 v3, s3, v3
	s_add_i32 s71, s71, 4
	v_add3_u32 v1, v9, v2, v11
	v_mul_lo_u32 v2, v10, s22
	v_mul_lo_u32 v9, v3, s1
	s_add_u32 s76, s76, 32
	v_sub_u32_e32 v2, v7, v2
	v_sub_u32_e32 v9, v10, v9
	s_addc_u32 s77, s77, 0
	v_mul_lo_u32 v7, v2, s12
	v_mul_lo_u32 v2, v2, s13
	;; [unrolled: 1-line block ×4, first 2 shown]
	s_cmp_lg_u32 s70, s71
	v_add3_u32 v2, v2, v1, v9
	v_add3_u32 v0, v7, v0, v10
	s_cbranch_scc1 .LBB79_6
; %bb.7:
	v_mov_b32_e32 v1, v2
	s_mov_b64 s[18:19], s[48:49]
	s_mov_b64 s[20:21], s[82:83]
	s_branch .LBB79_10
.LBB79_8:
                                        ; implicit-def: $vgpr2
                                        ; implicit-def: $vgpr0
	s_branch .LBB79_15
.LBB79_9:
	s_mov_b32 s71, s70
	v_pk_mov_b32 v[0:1], s[70:71], s[70:71] op_sel:[0,1]
                                        ; implicit-def: $vgpr2
	v_mov_b32_e32 v3, v8
.LBB79_10:
	s_and_b32 s8, s80, 3
	s_cmp_eq_u32 s8, 0
	s_cbranch_scc1 .LBB79_14
; %bb.11:
	s_lshl_b32 s0, s70, 3
	s_add_u32 s0, s0, s34
	s_addc_u32 s1, s35, 0
	s_add_u32 s0, s0, 0xc4
	s_addc_u32 s1, s1, 0
	s_mul_i32 s2, s70, 12
	s_add_u32 s2, s34, s2
	s_addc_u32 s3, s35, 0
.LBB79_12:                              ; =>This Inner Loop Header: Depth=1
	s_load_dwordx2 s[10:11], s[2:3], 0x4
	s_load_dword s9, s[2:3], 0xc
	s_load_dwordx2 s[12:13], s[0:1], 0x0
	v_mov_b32_e32 v2, v1
	s_add_u32 s2, s2, 12
	s_waitcnt lgkmcnt(0)
	v_mul_hi_u32 v1, s11, v3
	v_add_u32_e32 v1, v3, v1
	v_lshrrev_b32_e32 v1, s9, v1
	s_addc_u32 s3, s3, 0
	v_mul_lo_u32 v7, v1, s10
	s_add_u32 s0, s0, 8
	v_sub_u32_e32 v7, v3, v7
	v_mov_b32_e32 v3, v1
	s_addc_u32 s1, s1, 0
	s_add_i32 s8, s8, -1
	v_mad_u64_u32 v[10:11], s[10:11], v7, s13, v[2:3]
	v_mad_u64_u32 v[0:1], s[10:11], v7, s12, v[0:1]
	s_cmp_lg_u32 s8, 0
	v_mov_b32_e32 v1, v10
	s_cbranch_scc1 .LBB79_12
; %bb.13:
	v_mov_b32_e32 v2, v1
.LBB79_14:
	s_cbranch_execnz .LBB79_17
.LBB79_15:
	v_mul_hi_u32 v0, s29, v8
	v_add_u32_e32 v0, v8, v0
	v_lshrrev_b32_e32 v1, s30, v0
	v_mul_lo_u32 v0, v1, s28
	v_sub_u32_e32 v0, v8, v0
	s_waitcnt lgkmcnt(0)
	v_mul_lo_u32 v2, v0, s37
	s_andn2_b64 vcc, exec, s[64:65]
	v_mul_lo_u32 v0, v0, s36
	s_cbranch_vccnz .LBB79_17
; %bb.16:
	v_mul_hi_u32 v3, s88, v1
	v_add_u32_e32 v3, v1, v3
	v_lshrrev_b32_e32 v3, s89, v3
	v_mul_lo_u32 v3, v3, s31
	v_sub_u32_e32 v3, v1, v3
	v_mad_u64_u32 v[0:1], s[0:1], v3, s38, v[0:1]
	v_mad_u64_u32 v[2:3], s[0:1], v3, s39, v[2:3]
.LBB79_17:
	s_waitcnt lgkmcnt(0)
	v_mov_b32_e32 v1, s27
	v_add_co_u32_e32 v2, vcc, s26, v2
	v_addc_co_u32_e32 v3, vcc, 0, v1, vcc
	v_cmp_gt_i16_e32 vcc, 11, v4
	s_cbranch_vccnz .LBB79_24
; %bb.18:
	v_cmp_lt_i16_e32 vcc, 25, v4
	s_cbranch_vccz .LBB79_33
; %bb.19:
	v_cmp_lt_i16_e32 vcc, 28, v4
	s_cbranch_vccz .LBB79_36
	;; [unrolled: 3-line block ×4, first 2 shown]
; %bb.22:
	v_cmp_eq_u16_e32 vcc, 46, v4
	s_mov_b64 s[8:9], 0
	s_cbranch_vccz .LBB79_42
; %bb.23:
	global_load_dword v1, v[2:3], off
	s_mov_b64 s[0:1], -1
	s_mov_b64 s[2:3], 0
	s_waitcnt vmcnt(0)
	v_lshlrev_b32_e32 v1, 16, v1
	s_branch .LBB79_44
.LBB79_24:
	s_mov_b64 s[2:3], 0
                                        ; implicit-def: $vgpr1
	s_mov_b64 s[0:1], 0
	s_cbranch_execnz .LBB79_130
.LBB79_25:
	s_andn2_b64 vcc, exec, s[0:1]
	s_cbranch_vccnz .LBB79_177
.LBB79_26:
	s_brev_b32 s0, -2
	v_mov_b32_e32 v2, s60
	s_waitcnt vmcnt(0)
	v_bfi_b32 v2, s0, v2, v1
	v_mov_b32_e32 v1, s25
	v_add_co_u32_e32 v0, vcc, s24, v0
	v_mov_b32_e32 v3, 11
	v_addc_co_u32_e32 v1, vcc, 0, v1, vcc
	v_cmp_lt_i16_sdwa s[0:1], s61, v3 src0_sel:BYTE_0 src1_sel:DWORD
	s_and_b64 vcc, exec, s[0:1]
	s_cbranch_vccnz .LBB79_34
; %bb.27:
	v_mov_b32_e32 v3, 25
	v_cmp_gt_i16_sdwa s[0:1], s61, v3 src0_sel:BYTE_0 src1_sel:DWORD
	s_and_b64 vcc, exec, s[0:1]
	s_cbranch_vccz .LBB79_37
; %bb.28:
	v_mov_b32_e32 v3, 28
	v_cmp_gt_i16_sdwa s[0:1], s61, v3 src0_sel:BYTE_0 src1_sel:DWORD
	s_and_b64 vcc, exec, s[0:1]
	s_cbranch_vccz .LBB79_39
	;; [unrolled: 5-line block ×4, first 2 shown]
; %bb.31:
	v_mov_b32_e32 v3, 46
	v_cmp_eq_u16_sdwa s[8:9], s61, v3 src0_sel:BYTE_0 src1_sel:DWORD
	s_mov_b64 s[10:11], 0
	s_mov_b64 s[0:1], -1
	s_and_b64 vcc, exec, s[8:9]
	s_mov_b64 s[8:9], 0
	s_cbranch_vccz .LBB79_48
; %bb.32:
	v_bfe_u32 v3, v2, 16, 1
	s_movk_i32 s0, 0x7fff
	v_add3_u32 v3, v2, v3, s0
	v_lshrrev_b32_e32 v3, 16, v3
	v_mov_b32_e32 v7, 0x7fc0
	v_cmp_o_f32_e32 vcc, v2, v2
	v_cndmask_b32_e32 v3, v7, v3, vcc
	global_store_dword v[0:1], v3, off
	s_mov_b64 s[8:9], -1
	s_mov_b64 s[0:1], 0
	s_branch .LBB79_48
.LBB79_33:
	s_mov_b64 s[2:3], 0
	s_mov_b64 s[0:1], 0
                                        ; implicit-def: $vgpr1
	s_cbranch_execnz .LBB79_95
	s_branch .LBB79_129
.LBB79_34:
	s_mov_b64 s[0:1], 0
	s_mov_b64 s[8:9], 0
	s_cbranch_execnz .LBB79_219
.LBB79_35:
	s_andn2_b64 vcc, exec, s[8:9]
	s_cbranch_vccnz .LBB79_178
	s_branch .LBB79_257
.LBB79_36:
	s_mov_b64 s[8:9], -1
	s_mov_b64 s[2:3], 0
	s_mov_b64 s[0:1], 0
                                        ; implicit-def: $vgpr1
	s_branch .LBB79_76
.LBB79_37:
	s_mov_b64 s[10:11], -1
	s_mov_b64 s[0:1], 0
	s_mov_b64 s[8:9], 0
	s_branch .LBB79_187
.LBB79_38:
	s_mov_b64 s[8:9], -1
	s_mov_b64 s[2:3], 0
	s_mov_b64 s[0:1], 0
                                        ; implicit-def: $vgpr1
	s_branch .LBB79_71
.LBB79_39:
	s_mov_b64 s[10:11], -1
	s_mov_b64 s[0:1], 0
	s_mov_b64 s[8:9], 0
	s_branch .LBB79_58
.LBB79_40:
	s_mov_b64 s[8:9], -1
	s_mov_b64 s[2:3], 0
	s_branch .LBB79_43
.LBB79_41:
	s_mov_b64 s[10:11], -1
	s_mov_b64 s[0:1], 0
	s_mov_b64 s[8:9], 0
	s_branch .LBB79_54
.LBB79_42:
	s_mov_b64 s[2:3], -1
.LBB79_43:
	s_mov_b64 s[0:1], 0
                                        ; implicit-def: $vgpr1
.LBB79_44:
	s_and_b64 vcc, exec, s[8:9]
	s_cbranch_vccz .LBB79_70
; %bb.45:
	v_cmp_eq_u16_e32 vcc, 44, v4
	s_cbranch_vccz .LBB79_69
; %bb.46:
	global_load_ubyte v1, v[2:3], off
	s_movk_i32 s2, 0xff
	v_mov_b32_e32 v7, 0x7f800001
	v_mov_b32_e32 v9, 0x400000
	s_mov_b64 s[0:1], -1
	s_waitcnt vmcnt(0)
	v_lshlrev_b32_e32 v10, 23, v1
	v_cmp_ne_u32_e32 vcc, s2, v1
	v_cndmask_b32_e32 v7, v7, v10, vcc
	v_cmp_ne_u32_e32 vcc, 0, v1
	v_cndmask_b32_e32 v1, v9, v7, vcc
	s_mov_b64 s[2:3], 0
	s_branch .LBB79_70
.LBB79_47:
	s_mov_b64 s[10:11], -1
	s_mov_b64 s[0:1], 0
	s_mov_b64 s[8:9], 0
.LBB79_48:
	s_and_b64 vcc, exec, s[10:11]
	s_cbranch_vccz .LBB79_53
; %bb.49:
	v_mov_b32_e32 v3, 44
	v_cmp_eq_u16_sdwa s[10:11], s61, v3 src0_sel:BYTE_0 src1_sel:DWORD
	s_mov_b64 s[0:1], -1
	s_and_b64 vcc, exec, s[10:11]
	s_cbranch_vccz .LBB79_53
; %bb.50:
	v_bfe_u32 v3, v2, 23, 8
	s_movk_i32 s0, 0xff
	v_cmp_ne_u32_e32 vcc, s0, v3
	v_mov_b32_e32 v7, 0xff
	s_and_saveexec_b64 s[8:9], vcc
; %bb.51:
	s_mov_b32 s0, 0x3fffff
	v_and_b32_e32 v9, 0x400000, v2
	v_and_or_b32 v3, v2, s0, v3
	v_cmp_ne_u32_e32 vcc, 0, v9
	v_cmp_ne_u32_e64 s[0:1], 0, v3
	s_and_b64 s[0:1], vcc, s[0:1]
	v_lshrrev_b32_e32 v7, 23, v2
	v_cndmask_b32_e64 v3, 0, 1, s[0:1]
	v_add_u32_e32 v7, v7, v3
; %bb.52:
	s_or_b64 exec, exec, s[8:9]
	s_mov_b64 s[8:9], -1
	s_mov_b64 s[0:1], 0
	global_store_byte v[0:1], v7, off
.LBB79_53:
	s_mov_b64 s[10:11], 0
.LBB79_54:
	s_and_b64 vcc, exec, s[10:11]
	s_cbranch_vccz .LBB79_57
; %bb.55:
	v_mov_b32_e32 v3, 29
	v_cmp_eq_u16_sdwa s[10:11], s61, v3 src0_sel:BYTE_0 src1_sel:DWORD
	s_mov_b64 s[0:1], -1
	s_and_b64 vcc, exec, s[10:11]
	s_cbranch_vccz .LBB79_57
; %bb.56:
	v_trunc_f32_e32 v3, v2
	v_mul_f32_e32 v7, 0x2f800000, v3
	v_floor_f32_e32 v7, v7
	v_fmac_f32_e32 v3, 0xcf800000, v7
	v_cvt_u32_f32_e32 v11, v7
	v_cvt_u32_f32_e32 v10, v3
	s_mov_b64 s[8:9], -1
	s_mov_b64 s[0:1], 0
	s_mov_b64 s[10:11], 0
	global_store_dwordx2 v[0:1], v[10:11], off
	s_branch .LBB79_58
.LBB79_57:
	s_mov_b64 s[10:11], 0
.LBB79_58:
	s_and_b64 vcc, exec, s[10:11]
	s_cbranch_vccz .LBB79_186
; %bb.59:
	v_mov_b32_e32 v3, 27
	v_cmp_lt_i16_sdwa s[10:11], s61, v3 src0_sel:BYTE_0 src1_sel:DWORD
	s_mov_b64 s[8:9], -1
	s_and_b64 vcc, exec, s[10:11]
	s_cbranch_vccnz .LBB79_65
; %bb.60:
	v_cmp_gt_i16_sdwa s[10:11], s61, v3 src0_sel:BYTE_0 src1_sel:DWORD
	v_cvt_u32_f32_e32 v3, v2
	s_and_b64 vcc, exec, s[10:11]
	s_cbranch_vccz .LBB79_62
; %bb.61:
	s_mov_b64 s[8:9], 0
	global_store_dword v[0:1], v3, off
.LBB79_62:
	s_andn2_b64 vcc, exec, s[8:9]
	s_cbranch_vccnz .LBB79_64
; %bb.63:
	global_store_short v[0:1], v3, off
.LBB79_64:
	s_mov_b64 s[8:9], 0
.LBB79_65:
	s_andn2_b64 vcc, exec, s[8:9]
	s_cbranch_vccnz .LBB79_185
; %bb.66:
	s_andn2_b64 vcc, exec, s[20:21]
	v_mov_b32_e32 v7, 0x80
	s_cbranch_vccnz .LBB79_184
; %bb.67:
	s_and_b64 vcc, exec, s[56:57]
	s_cbranch_vccz .LBB79_179
; %bb.68:
	v_bfe_u32 v3, v2, 20, 1
	s_mov_b32 s8, 0x487ffff
	v_add3_u32 v3, v2, v3, s8
	v_lshrrev_b32_e32 v3, 20, v3
	s_mov_b64 s[10:11], 0
	s_mov_b64 s[8:9], -1
	s_branch .LBB79_180
.LBB79_69:
	s_mov_b64 s[2:3], -1
                                        ; implicit-def: $vgpr1
.LBB79_70:
	s_mov_b64 s[8:9], 0
.LBB79_71:
	s_and_b64 vcc, exec, s[8:9]
	s_cbranch_vccz .LBB79_75
; %bb.72:
	v_cmp_eq_u16_e32 vcc, 29, v4
	s_cbranch_vccz .LBB79_74
; %bb.73:
	global_load_dwordx2 v[10:11], v[2:3], off
	s_mov_b64 s[0:1], -1
	s_mov_b64 s[2:3], 0
	s_mov_b64 s[8:9], 0
	s_waitcnt vmcnt(0)
	v_ffbh_u32_e32 v1, v11
	v_min_u32_e32 v1, 32, v1
	v_lshlrev_b64 v[10:11], v1, v[10:11]
	v_min_u32_e32 v7, 1, v10
	v_or_b32_e32 v7, v11, v7
	v_cvt_f32_u32_e32 v7, v7
	v_sub_u32_e32 v1, 32, v1
	v_ldexp_f32 v1, v7, v1
	s_branch .LBB79_76
.LBB79_74:
	s_mov_b64 s[2:3], -1
                                        ; implicit-def: $vgpr1
.LBB79_75:
	s_mov_b64 s[8:9], 0
.LBB79_76:
	s_and_b64 vcc, exec, s[8:9]
	s_cbranch_vccz .LBB79_94
; %bb.77:
	v_cmp_gt_i16_e32 vcc, 27, v4
	s_cbranch_vccnz .LBB79_80
; %bb.78:
	v_cmp_lt_i16_e32 vcc, 27, v4
	s_cbranch_vccz .LBB79_81
; %bb.79:
	global_load_dword v1, v[2:3], off
	s_mov_b64 s[0:1], 0
	s_waitcnt vmcnt(0)
	v_cvt_f32_u32_e32 v1, v1
	s_branch .LBB79_82
.LBB79_80:
	s_mov_b64 s[0:1], -1
                                        ; implicit-def: $vgpr1
	s_branch .LBB79_85
.LBB79_81:
	s_mov_b64 s[0:1], -1
                                        ; implicit-def: $vgpr1
.LBB79_82:
	s_andn2_b64 vcc, exec, s[0:1]
	s_cbranch_vccnz .LBB79_84
; %bb.83:
	global_load_ushort v1, v[2:3], off
	s_waitcnt vmcnt(0)
	v_cvt_f32_u32_e32 v1, v1
.LBB79_84:
	s_mov_b64 s[0:1], 0
.LBB79_85:
	s_andn2_b64 vcc, exec, s[0:1]
	s_cbranch_vccnz .LBB79_93
; %bb.86:
	global_load_ubyte v7, v[2:3], off
	s_movk_i32 s0, 0x7f
                                        ; implicit-def: $sgpr12
	s_waitcnt vmcnt(0)
	v_cmp_lt_i16_e32 vcc, s0, v7
	s_mov_b64 s[0:1], 0
	s_and_saveexec_b64 s[8:9], vcc
	s_xor_b64 s[8:9], exec, s[8:9]
	s_cbranch_execz .LBB79_106
; %bb.87:
	s_movk_i32 s0, 0x80
	v_cmp_eq_u16_e32 vcc, s0, v7
	s_mov_b64 s[0:1], -1
                                        ; implicit-def: $sgpr12
	s_and_saveexec_b64 s[10:11], vcc
; %bb.88:
	s_mov_b32 s12, 0x7f800001
	s_xor_b64 s[0:1], exec, -1
; %bb.89:
	s_or_b64 exec, exec, s[10:11]
	s_and_b64 s[0:1], s[0:1], exec
	s_or_saveexec_b64 s[8:9], s[8:9]
	v_mov_b32_e32 v1, s12
	s_xor_b64 exec, exec, s[8:9]
	s_cbranch_execnz .LBB79_107
.LBB79_90:
	s_or_b64 exec, exec, s[8:9]
	s_and_saveexec_b64 s[8:9], s[0:1]
	s_cbranch_execz .LBB79_92
.LBB79_91:
	v_lshlrev_b32_e32 v1, 24, v7
	v_and_b32_e32 v7, 0xffff, v7
	v_and_b32_e32 v9, 7, v7
	v_ffbh_u32_e32 v11, v9
	v_min_u32_e32 v11, 32, v11
	v_subrev_u32_e32 v12, 28, v11
	v_bfe_u32 v10, v7, 3, 4
	v_lshlrev_b32_e32 v7, v12, v7
	v_sub_u32_e32 v11, 29, v11
	v_and_b32_e32 v7, 7, v7
	v_cmp_eq_u32_e32 vcc, 0, v10
	v_cndmask_b32_e32 v10, v10, v11, vcc
	v_cndmask_b32_e32 v7, v9, v7, vcc
	v_mov_b32_e32 v9, 0x3b800000
	v_lshlrev_b32_e32 v7, 20, v7
	v_and_b32_e32 v1, 0x80000000, v1
	v_lshl_add_u32 v9, v10, 23, v9
	v_or3_b32 v1, v1, v9, v7
.LBB79_92:
	s_or_b64 exec, exec, s[8:9]
.LBB79_93:
	s_mov_b64 s[0:1], -1
.LBB79_94:
	s_branch .LBB79_129
.LBB79_95:
	v_cmp_lt_i16_e32 vcc, 22, v4
	s_cbranch_vccz .LBB79_105
; %bb.96:
	v_cmp_gt_i16_e32 vcc, 24, v4
	s_cbranch_vccnz .LBB79_108
; %bb.97:
	v_cmp_lt_i16_e32 vcc, 24, v4
	s_cbranch_vccz .LBB79_109
; %bb.98:
	global_load_ubyte v7, v[2:3], off
	s_movk_i32 s0, 0x7f
                                        ; implicit-def: $sgpr12
	s_waitcnt vmcnt(0)
	v_cmp_lt_i16_e32 vcc, s0, v7
	s_mov_b64 s[0:1], 0
	s_and_saveexec_b64 s[8:9], vcc
	s_xor_b64 s[8:9], exec, s[8:9]
	s_cbranch_execz .LBB79_121
; %bb.99:
	s_movk_i32 s0, 0x80
	v_cmp_eq_u16_e32 vcc, s0, v7
	s_mov_b64 s[0:1], -1
                                        ; implicit-def: $sgpr12
	s_and_saveexec_b64 s[10:11], vcc
; %bb.100:
	s_mov_b32 s12, 0x7f800001
	s_xor_b64 s[0:1], exec, -1
; %bb.101:
	s_or_b64 exec, exec, s[10:11]
	s_and_b64 s[0:1], s[0:1], exec
	s_or_saveexec_b64 s[8:9], s[8:9]
	v_mov_b32_e32 v1, s12
	s_xor_b64 exec, exec, s[8:9]
	s_cbranch_execnz .LBB79_122
.LBB79_102:
	s_or_b64 exec, exec, s[8:9]
	s_and_saveexec_b64 s[8:9], s[0:1]
	s_cbranch_execz .LBB79_104
.LBB79_103:
	v_lshlrev_b32_e32 v1, 24, v7
	v_and_b32_e32 v7, 0xffff, v7
	v_and_b32_e32 v9, 3, v7
	v_ffbh_u32_e32 v11, v9
	v_min_u32_e32 v11, 32, v11
	v_subrev_u32_e32 v12, 29, v11
	v_bfe_u32 v10, v7, 2, 5
	v_lshlrev_b32_e32 v7, v12, v7
	v_sub_u32_e32 v11, 30, v11
	v_and_b32_e32 v7, 3, v7
	v_cmp_eq_u32_e32 vcc, 0, v10
	v_cndmask_b32_e32 v10, v10, v11, vcc
	v_cndmask_b32_e32 v7, v9, v7, vcc
	v_mov_b32_e32 v9, 0x37800000
	v_lshlrev_b32_e32 v7, 21, v7
	v_and_b32_e32 v1, 0x80000000, v1
	v_lshl_add_u32 v9, v10, 23, v9
	v_or3_b32 v1, v1, v9, v7
.LBB79_104:
	s_or_b64 exec, exec, s[8:9]
	s_mov_b64 s[0:1], 0
	s_branch .LBB79_110
.LBB79_105:
	s_mov_b64 s[8:9], -1
                                        ; implicit-def: $vgpr1
	s_branch .LBB79_116
.LBB79_106:
	s_or_saveexec_b64 s[8:9], s[8:9]
	v_mov_b32_e32 v1, s12
	s_xor_b64 exec, exec, s[8:9]
	s_cbranch_execz .LBB79_90
.LBB79_107:
	v_cmp_ne_u16_e32 vcc, 0, v7
	s_andn2_b64 s[0:1], s[0:1], exec
	s_and_b64 s[10:11], vcc, exec
	v_mov_b32_e32 v1, 0
	s_or_b64 s[0:1], s[0:1], s[10:11]
	s_or_b64 exec, exec, s[8:9]
	s_and_saveexec_b64 s[8:9], s[0:1]
	s_cbranch_execnz .LBB79_91
	s_branch .LBB79_92
.LBB79_108:
	s_mov_b64 s[0:1], -1
                                        ; implicit-def: $vgpr1
	s_branch .LBB79_113
.LBB79_109:
	s_mov_b64 s[0:1], -1
                                        ; implicit-def: $vgpr1
.LBB79_110:
	s_and_b64 vcc, exec, s[0:1]
	s_cbranch_vccz .LBB79_112
; %bb.111:
	global_load_ubyte v1, v[2:3], off
	s_mov_b32 s0, 0x7f800000
	s_waitcnt vmcnt(0)
	v_lshlrev_b32_e32 v1, 24, v1
	v_and_b32_e32 v7, 0x7f000000, v1
	v_ffbh_u32_e32 v9, v7
	v_min_u32_e32 v9, 32, v9
	v_sub_u32_e64 v9, v9, 4 clamp
	v_lshlrev_b32_e32 v11, v9, v7
	v_lshlrev_b32_e32 v9, 23, v9
	v_lshrrev_b32_e32 v11, 4, v11
	v_add_u32_e32 v10, 0x1000000, v7
	v_sub_u32_e32 v9, v11, v9
	v_ashrrev_i32_e32 v10, 8, v10
	v_add_u32_e32 v9, 0x3c000000, v9
	v_and_or_b32 v9, v10, s0, v9
	v_cmp_ne_u32_e32 vcc, 0, v7
	v_cndmask_b32_e32 v7, 0, v9, vcc
	s_brev_b32 s0, 1
	v_and_or_b32 v1, v1, s0, v7
.LBB79_112:
	s_mov_b64 s[0:1], 0
.LBB79_113:
	s_andn2_b64 vcc, exec, s[0:1]
	s_cbranch_vccnz .LBB79_115
; %bb.114:
	global_load_ubyte v1, v[2:3], off
	s_movk_i32 s0, 0x7f00
	s_brev_b32 s1, 16
	s_waitcnt vmcnt(0)
	v_lshlrev_b16_e32 v7, 8, v1
	v_lshlrev_b32_e32 v1, 25, v1
	v_lshrrev_b32_e32 v9, 4, v1
	v_and_or_b32 v10, v7, s0, 0.5
	v_or_b32_e32 v9, 0x70000000, v9
	v_add_f32_e32 v10, -0.5, v10
	v_mul_f32_e32 v9, 0x7800000, v9
	v_cmp_gt_u32_e32 vcc, s1, v1
	v_bfe_i32 v7, v7, 0, 16
	v_cndmask_b32_e32 v1, v9, v10, vcc
	s_brev_b32 s0, 1
	v_and_or_b32 v1, v7, s0, v1
.LBB79_115:
	s_mov_b64 s[8:9], 0
	s_mov_b64 s[0:1], -1
.LBB79_116:
	s_andn2_b64 vcc, exec, s[8:9]
	s_cbranch_vccnz .LBB79_129
; %bb.117:
	v_cmp_lt_i16_e32 vcc, 14, v4
	s_cbranch_vccz .LBB79_120
; %bb.118:
	v_cmp_eq_u16_e32 vcc, 15, v4
	s_cbranch_vccz .LBB79_123
; %bb.119:
	global_load_ushort v1, v[2:3], off
	s_mov_b64 s[0:1], -1
	s_mov_b64 s[2:3], 0
	s_waitcnt vmcnt(0)
	v_lshlrev_b32_e32 v1, 16, v1
	s_branch .LBB79_124
.LBB79_120:
	s_mov_b64 s[8:9], -1
                                        ; implicit-def: $vgpr1
	s_branch .LBB79_125
.LBB79_121:
	s_or_saveexec_b64 s[8:9], s[8:9]
	v_mov_b32_e32 v1, s12
	s_xor_b64 exec, exec, s[8:9]
	s_cbranch_execz .LBB79_102
.LBB79_122:
	v_cmp_ne_u16_e32 vcc, 0, v7
	s_andn2_b64 s[0:1], s[0:1], exec
	s_and_b64 s[10:11], vcc, exec
	v_mov_b32_e32 v1, 0
	s_or_b64 s[0:1], s[0:1], s[10:11]
	s_or_b64 exec, exec, s[8:9]
	s_and_saveexec_b64 s[8:9], s[0:1]
	s_cbranch_execnz .LBB79_103
	s_branch .LBB79_104
.LBB79_123:
	s_mov_b64 s[2:3], -1
                                        ; implicit-def: $vgpr1
.LBB79_124:
	s_mov_b64 s[8:9], 0
.LBB79_125:
	s_and_b64 vcc, exec, s[8:9]
	s_cbranch_vccz .LBB79_129
; %bb.126:
	v_cmp_eq_u16_e32 vcc, 11, v4
	s_cbranch_vccz .LBB79_128
; %bb.127:
	global_load_ubyte v1, v[2:3], off
	s_mov_b64 s[0:1], -1
	s_mov_b64 s[2:3], 0
	s_waitcnt vmcnt(0)
	v_cmp_ne_u16_e32 vcc, 0, v1
	v_cndmask_b32_e64 v1, 0, 1.0, vcc
	s_branch .LBB79_129
.LBB79_128:
	s_mov_b64 s[2:3], -1
                                        ; implicit-def: $vgpr1
.LBB79_129:
	s_branch .LBB79_25
.LBB79_130:
	v_cmp_gt_i16_e32 vcc, 5, v4
	s_cbranch_vccnz .LBB79_135
; %bb.131:
	v_cmp_gt_i16_e32 vcc, 8, v4
	s_cbranch_vccnz .LBB79_136
; %bb.132:
	;; [unrolled: 3-line block ×3, first 2 shown]
	v_cmp_lt_i16_e32 vcc, 9, v4
	s_cbranch_vccz .LBB79_138
; %bb.134:
	global_load_dwordx2 v[10:11], v[2:3], off
	s_mov_b64 s[0:1], 0
	s_waitcnt vmcnt(0)
	v_cvt_f32_f64_e32 v1, v[10:11]
	s_branch .LBB79_139
.LBB79_135:
                                        ; implicit-def: $vgpr1
	s_branch .LBB79_157
.LBB79_136:
	s_mov_b64 s[0:1], -1
                                        ; implicit-def: $vgpr1
	s_branch .LBB79_145
.LBB79_137:
	s_mov_b64 s[0:1], -1
                                        ; implicit-def: $vgpr1
	s_branch .LBB79_142
.LBB79_138:
	s_mov_b64 s[0:1], -1
                                        ; implicit-def: $vgpr1
.LBB79_139:
	s_andn2_b64 vcc, exec, s[0:1]
	s_cbranch_vccnz .LBB79_141
; %bb.140:
	global_load_dword v1, v[2:3], off
.LBB79_141:
	s_mov_b64 s[0:1], 0
.LBB79_142:
	s_andn2_b64 vcc, exec, s[0:1]
	s_cbranch_vccnz .LBB79_144
; %bb.143:
	global_load_dword v1, v[2:3], off
	s_waitcnt vmcnt(0)
	v_cvt_f32_f16_e32 v1, v1
.LBB79_144:
	s_mov_b64 s[0:1], 0
.LBB79_145:
	s_andn2_b64 vcc, exec, s[0:1]
	s_cbranch_vccnz .LBB79_156
; %bb.146:
	v_cmp_gt_i16_e32 vcc, 6, v4
	s_cbranch_vccnz .LBB79_149
; %bb.147:
	v_cmp_lt_i16_e32 vcc, 6, v4
	s_cbranch_vccz .LBB79_150
; %bb.148:
	global_load_dwordx2 v[10:11], v[2:3], off
	s_mov_b64 s[0:1], 0
	s_waitcnt vmcnt(0)
	v_cvt_f32_f64_e32 v1, v[10:11]
	s_branch .LBB79_151
.LBB79_149:
	s_mov_b64 s[0:1], -1
                                        ; implicit-def: $vgpr1
	s_branch .LBB79_154
.LBB79_150:
	s_mov_b64 s[0:1], -1
                                        ; implicit-def: $vgpr1
.LBB79_151:
	s_andn2_b64 vcc, exec, s[0:1]
	s_cbranch_vccnz .LBB79_153
; %bb.152:
	global_load_dword v1, v[2:3], off
.LBB79_153:
	s_mov_b64 s[0:1], 0
.LBB79_154:
	s_andn2_b64 vcc, exec, s[0:1]
	s_cbranch_vccnz .LBB79_156
; %bb.155:
	global_load_ushort v1, v[2:3], off
	s_waitcnt vmcnt(0)
	v_cvt_f32_f16_e32 v1, v1
.LBB79_156:
	s_cbranch_execnz .LBB79_176
.LBB79_157:
	v_cmp_gt_i16_e32 vcc, 2, v4
	s_cbranch_vccnz .LBB79_161
; %bb.158:
	v_cmp_gt_i16_e32 vcc, 3, v4
	s_cbranch_vccnz .LBB79_162
; %bb.159:
	v_cmp_lt_i16_e32 vcc, 3, v4
	s_cbranch_vccz .LBB79_163
; %bb.160:
	global_load_dwordx2 v[10:11], v[2:3], off
	s_mov_b64 s[0:1], 0
	s_waitcnt vmcnt(0)
	v_xor_b32_e32 v7, v10, v11
	v_ffbh_i32_e32 v1, v11
	v_ashrrev_i32_e32 v7, 31, v7
	v_add_u32_e32 v1, -1, v1
	v_add_u32_e32 v7, 32, v7
	v_min_u32_e32 v1, v1, v7
	v_lshlrev_b64 v[10:11], v1, v[10:11]
	v_min_u32_e32 v7, 1, v10
	v_or_b32_e32 v7, v11, v7
	v_cvt_f32_i32_e32 v7, v7
	v_sub_u32_e32 v1, 32, v1
	v_ldexp_f32 v1, v7, v1
	s_branch .LBB79_164
.LBB79_161:
	s_mov_b64 s[0:1], -1
                                        ; implicit-def: $vgpr1
	s_branch .LBB79_170
.LBB79_162:
	s_mov_b64 s[0:1], -1
                                        ; implicit-def: $vgpr1
	s_branch .LBB79_167
.LBB79_163:
	s_mov_b64 s[0:1], -1
                                        ; implicit-def: $vgpr1
.LBB79_164:
	s_andn2_b64 vcc, exec, s[0:1]
	s_cbranch_vccnz .LBB79_166
; %bb.165:
	global_load_dword v1, v[2:3], off
	s_waitcnt vmcnt(0)
	v_cvt_f32_i32_e32 v1, v1
.LBB79_166:
	s_mov_b64 s[0:1], 0
.LBB79_167:
	s_andn2_b64 vcc, exec, s[0:1]
	s_cbranch_vccnz .LBB79_169
; %bb.168:
	global_load_sshort v1, v[2:3], off
	s_waitcnt vmcnt(0)
	v_cvt_f32_i32_e32 v1, v1
.LBB79_169:
	s_mov_b64 s[0:1], 0
.LBB79_170:
	s_andn2_b64 vcc, exec, s[0:1]
	s_cbranch_vccnz .LBB79_176
; %bb.171:
	v_cmp_lt_i16_e32 vcc, 0, v4
	s_cbranch_vccz .LBB79_173
; %bb.172:
	global_load_sbyte v1, v[2:3], off
	s_mov_b64 s[0:1], 0
	s_waitcnt vmcnt(0)
	v_cvt_f32_i32_e32 v1, v1
	s_branch .LBB79_174
.LBB79_173:
	s_mov_b64 s[0:1], -1
                                        ; implicit-def: $vgpr1
.LBB79_174:
	s_andn2_b64 vcc, exec, s[0:1]
	s_cbranch_vccnz .LBB79_176
; %bb.175:
	global_load_ubyte v1, v[2:3], off
	s_waitcnt vmcnt(0)
	v_cvt_f32_ubyte0_e32 v1, v1
.LBB79_176:
	s_branch .LBB79_26
.LBB79_177:
	s_mov_b64 s[0:1], 0
.LBB79_178:
	s_mov_b64 s[8:9], 0
                                        ; implicit-def: $vgpr8
	s_branch .LBB79_258
.LBB79_179:
	s_mov_b64 s[10:11], -1
	s_mov_b64 s[8:9], 0
                                        ; implicit-def: $vgpr3
.LBB79_180:
	s_andn2_b64 vcc, exec, s[10:11]
                                        ; implicit-def: $sgpr10
	s_cbranch_vccnz .LBB79_182
; %bb.181:
	s_mov_b32 s10, 0
	v_mov_b32_e32 v3, v6
	s_mov_b64 s[8:9], s[54:55]
.LBB79_182:
	s_andn2_b64 vcc, exec, s[8:9]
	v_mov_b32_e32 v7, s10
	s_cbranch_vccnz .LBB79_184
; %bb.183:
	v_lshrrev_b32_e32 v7, 24, v2
	s_movk_i32 s8, 0x80
	v_and_or_b32 v7, v7, s8, v3
.LBB79_184:
	global_store_byte v[0:1], v7, off
.LBB79_185:
	s_mov_b64 s[8:9], -1
.LBB79_186:
	s_mov_b64 s[10:11], 0
.LBB79_187:
	s_and_b64 vcc, exec, s[10:11]
	s_cbranch_vccz .LBB79_218
; %bb.188:
	v_mov_b32_e32 v3, 22
	v_cmp_gt_i16_sdwa s[12:13], s61, v3 src0_sel:BYTE_0 src1_sel:DWORD
	s_mov_b64 s[10:11], -1
	s_and_b64 vcc, exec, s[12:13]
	s_cbranch_vccz .LBB79_210
; %bb.189:
	v_mov_b32_e32 v3, 24
	v_cmp_lt_i16_sdwa s[10:11], s61, v3 src0_sel:BYTE_0 src1_sel:DWORD
	s_mov_b64 s[8:9], -1
	s_and_b64 vcc, exec, s[10:11]
	s_cbranch_vccnz .LBB79_205
; %bb.190:
	v_cmp_gt_i16_sdwa s[10:11], s61, v3 src0_sel:BYTE_0 src1_sel:DWORD
	s_and_b64 vcc, exec, s[10:11]
	s_cbranch_vccz .LBB79_200
; %bb.191:
	s_andn2_b64 vcc, exec, s[52:53]
	v_mov_b32_e32 v7, 0x80
	s_cbranch_vccnz .LBB79_199
; %bb.192:
	s_and_b64 vcc, exec, s[50:51]
	s_cbranch_vccz .LBB79_194
; %bb.193:
	v_bfe_u32 v3, v2, 21, 1
	s_mov_b32 s8, 0x88fffff
	v_add3_u32 v3, v2, v3, s8
	v_lshrrev_b32_e32 v3, 21, v3
	s_mov_b64 s[10:11], 0
	s_mov_b64 s[8:9], -1
	s_branch .LBB79_195
.LBB79_194:
	s_mov_b64 s[10:11], -1
	s_mov_b64 s[8:9], 0
                                        ; implicit-def: $vgpr3
.LBB79_195:
	s_andn2_b64 vcc, exec, s[10:11]
                                        ; implicit-def: $sgpr10
	s_cbranch_vccnz .LBB79_197
; %bb.196:
	s_mov_b32 s10, 0
	v_mov_b32_e32 v3, v5
	s_mov_b64 s[8:9], s[18:19]
.LBB79_197:
	s_andn2_b64 vcc, exec, s[8:9]
	v_mov_b32_e32 v7, s10
	s_cbranch_vccnz .LBB79_199
; %bb.198:
	v_lshrrev_b32_e32 v7, 24, v2
	s_movk_i32 s8, 0x80
	v_and_or_b32 v7, v7, s8, v3
.LBB79_199:
	s_mov_b64 s[8:9], 0
	global_store_byte v[0:1], v7, off
.LBB79_200:
	s_and_b64 vcc, exec, s[8:9]
	s_cbranch_vccz .LBB79_204
; %bb.201:
	s_add_i32 s10, s93, 0xbc100000
	s_and_b64 s[8:9], s[46:47], exec
	s_cselect_b32 s8, s63, s62
	s_cmp_lt_u32 s10, 0xf8900000
	v_mov_b32_e32 v3, s8
	s_cbranch_scc1 .LBB79_203
; %bb.202:
	v_bfe_u32 v3, v2, 20, 1
	s_mov_b32 s8, 0x407ffff
	v_add3_u32 v3, v2, v3, s8
	v_lshrrev_b32_e32 v7, 20, v3
	v_and_b32_e32 v3, 0xff00000, v3
	s_mov_b32 s8, 0x7f00000
	v_mov_b32_e32 v9, 0x7e
	v_cmp_ne_u32_e32 vcc, s8, v3
	v_cndmask_b32_e32 v3, v9, v7, vcc
.LBB79_203:
	v_lshrrev_b32_e32 v7, 24, v2
	s_movk_i32 s8, 0x80
	v_and_or_b32 v3, v7, s8, v3
	global_store_byte v[0:1], v3, off
.LBB79_204:
	s_mov_b64 s[8:9], 0
.LBB79_205:
	s_andn2_b64 vcc, exec, s[8:9]
	s_cbranch_vccnz .LBB79_209
; %bb.206:
	s_add_i32 s10, s93, 0xb8800000
	s_and_b64 s[8:9], s[44:45], exec
	s_cselect_b32 s8, s59, s58
	s_cmp_lt_u32 s10, 0xf1000000
	v_mov_b32_e32 v3, s8
	s_cbranch_scc1 .LBB79_208
; %bb.207:
	v_bfe_u32 v3, v2, 21, 1
	s_mov_b32 s8, 0x80fffff
	v_add3_u32 v3, v2, v3, s8
	v_lshrrev_b32_e32 v3, 21, v3
.LBB79_208:
	v_lshrrev_b32_e32 v7, 24, v2
	s_movk_i32 s8, 0x80
	v_and_or_b32 v3, v7, s8, v3
	global_store_byte v[0:1], v3, off
.LBB79_209:
	s_mov_b64 s[10:11], 0
	s_mov_b64 s[8:9], -1
.LBB79_210:
	s_andn2_b64 vcc, exec, s[10:11]
	s_cbranch_vccnz .LBB79_218
; %bb.211:
	v_mov_b32_e32 v3, 14
	v_cmp_gt_i16_sdwa s[12:13], s61, v3 src0_sel:BYTE_0 src1_sel:DWORD
	s_mov_b64 s[10:11], -1
	s_and_b64 vcc, exec, s[12:13]
	s_cbranch_vccz .LBB79_215
; %bb.212:
	v_mov_b32_e32 v3, 15
	v_cmp_eq_u16_sdwa s[10:11], s61, v3 src0_sel:BYTE_0 src1_sel:DWORD
	s_mov_b64 s[0:1], -1
	s_and_b64 vcc, exec, s[10:11]
	s_cbranch_vccz .LBB79_214
; %bb.213:
	v_bfe_u32 v3, v2, 16, 1
	s_movk_i32 s0, 0x7fff
	v_add3_u32 v3, v2, v3, s0
	v_lshrrev_b32_e32 v3, 16, v3
	v_mov_b32_e32 v7, 0x7fc0
	v_cmp_o_f32_e32 vcc, v2, v2
	v_cndmask_b32_e32 v3, v7, v3, vcc
	global_store_short v[0:1], v3, off
	s_mov_b64 s[8:9], -1
	s_mov_b64 s[0:1], 0
.LBB79_214:
	s_mov_b64 s[10:11], 0
.LBB79_215:
	s_and_b64 vcc, exec, s[10:11]
	s_cbranch_vccz .LBB79_218
; %bb.216:
	v_mov_b32_e32 v3, 11
	v_cmp_eq_u16_sdwa s[10:11], s61, v3 src0_sel:BYTE_0 src1_sel:DWORD
	s_mov_b64 s[0:1], -1
	s_and_b64 vcc, exec, s[10:11]
	s_cbranch_vccz .LBB79_218
; %bb.217:
	v_cmp_neq_f32_e32 vcc, 0, v2
	v_cndmask_b32_e64 v3, 0, 1, vcc
	s_mov_b64 s[8:9], -1
	s_mov_b64 s[0:1], 0
	global_store_byte v[0:1], v3, off
.LBB79_218:
	s_branch .LBB79_35
.LBB79_219:
	v_mov_b32_e32 v3, 5
	v_cmp_lt_i16_sdwa s[10:11], s61, v3 src0_sel:BYTE_0 src1_sel:DWORD
	s_mov_b64 s[8:9], -1
	s_and_b64 vcc, exec, s[10:11]
	s_cbranch_vccnz .LBB79_240
; %bb.220:
	v_mov_b32_e32 v3, 8
	v_cmp_lt_i16_sdwa s[10:11], s61, v3 src0_sel:BYTE_0 src1_sel:DWORD
	s_and_b64 vcc, exec, s[10:11]
	s_cbranch_vccnz .LBB79_230
; %bb.221:
	v_mov_b32_e32 v3, 9
	v_cmp_lt_i16_sdwa s[10:11], s61, v3 src0_sel:BYTE_0 src1_sel:DWORD
	s_and_b64 vcc, exec, s[10:11]
	s_cbranch_vccnz .LBB79_227
; %bb.222:
	v_cmp_gt_i16_sdwa s[10:11], s61, v3 src0_sel:BYTE_0 src1_sel:DWORD
	s_and_b64 vcc, exec, s[10:11]
	s_cbranch_vccz .LBB79_224
; %bb.223:
	v_mov_b32_e32 v12, 0
	v_cvt_f64_f32_e32 v[10:11], v2
	v_mov_b32_e32 v13, v12
	global_store_dwordx4 v[0:1], v[10:13], off
	s_mov_b64 s[8:9], 0
.LBB79_224:
	s_andn2_b64 vcc, exec, s[8:9]
	s_cbranch_vccnz .LBB79_226
; %bb.225:
	v_mov_b32_e32 v3, 0
	global_store_dwordx2 v[0:1], v[2:3], off
.LBB79_226:
	s_mov_b64 s[8:9], 0
.LBB79_227:
	s_andn2_b64 vcc, exec, s[8:9]
	s_cbranch_vccnz .LBB79_229
; %bb.228:
	v_cvt_f16_f32_e32 v3, v2
	global_store_dword v[0:1], v3, off
.LBB79_229:
	s_mov_b64 s[8:9], 0
.LBB79_230:
	s_andn2_b64 vcc, exec, s[8:9]
	s_cbranch_vccnz .LBB79_239
; %bb.231:
	v_mov_b32_e32 v3, 6
	v_cmp_lt_i16_sdwa s[10:11], s61, v3 src0_sel:BYTE_0 src1_sel:DWORD
	s_mov_b64 s[8:9], -1
	s_and_b64 vcc, exec, s[10:11]
	s_cbranch_vccnz .LBB79_237
; %bb.232:
	v_cmp_gt_i16_sdwa s[10:11], s61, v3 src0_sel:BYTE_0 src1_sel:DWORD
	s_and_b64 vcc, exec, s[10:11]
	s_cbranch_vccz .LBB79_234
; %bb.233:
	v_cvt_f64_f32_e32 v[10:11], v2
	global_store_dwordx2 v[0:1], v[10:11], off
	s_mov_b64 s[8:9], 0
.LBB79_234:
	s_andn2_b64 vcc, exec, s[8:9]
	s_cbranch_vccnz .LBB79_236
; %bb.235:
	global_store_dword v[0:1], v2, off
.LBB79_236:
	s_mov_b64 s[8:9], 0
.LBB79_237:
	s_andn2_b64 vcc, exec, s[8:9]
	s_cbranch_vccnz .LBB79_239
; %bb.238:
	v_cvt_f16_f32_e32 v3, v2
	global_store_short v[0:1], v3, off
.LBB79_239:
	s_mov_b64 s[8:9], 0
.LBB79_240:
	s_andn2_b64 vcc, exec, s[8:9]
	s_cbranch_vccnz .LBB79_256
; %bb.241:
	v_mov_b32_e32 v3, 2
	v_cmp_lt_i16_sdwa s[10:11], s61, v3 src0_sel:BYTE_0 src1_sel:DWORD
	s_mov_b64 s[8:9], -1
	s_and_b64 vcc, exec, s[10:11]
	s_cbranch_vccnz .LBB79_251
; %bb.242:
	v_mov_b32_e32 v3, 3
	v_cmp_lt_i16_sdwa s[10:11], s61, v3 src0_sel:BYTE_0 src1_sel:DWORD
	s_and_b64 vcc, exec, s[10:11]
	s_cbranch_vccnz .LBB79_248
; %bb.243:
	v_cmp_gt_i16_sdwa s[10:11], s61, v3 src0_sel:BYTE_0 src1_sel:DWORD
	s_and_b64 vcc, exec, s[10:11]
	s_cbranch_vccz .LBB79_245
; %bb.244:
	v_trunc_f32_e32 v3, v2
	s_mov_b32 s8, 0x2f800000
	v_mul_f32_e64 v7, |v3|, s8
	v_floor_f32_e32 v7, v7
	s_mov_b32 s8, 0xcf800000
	v_cvt_u32_f32_e32 v9, v7
	v_fma_f32 v7, v7, s8, |v3|
	v_cvt_u32_f32_e32 v7, v7
	v_ashrrev_i32_e32 v3, 31, v3
	v_xor_b32_e32 v9, v9, v3
	s_mov_b64 s[8:9], 0
	v_xor_b32_e32 v7, v7, v3
	v_sub_co_u32_e32 v10, vcc, v7, v3
	v_subb_co_u32_e32 v11, vcc, v9, v3, vcc
	global_store_dwordx2 v[0:1], v[10:11], off
.LBB79_245:
	s_andn2_b64 vcc, exec, s[8:9]
	s_cbranch_vccnz .LBB79_247
; %bb.246:
	v_cvt_i32_f32_e32 v3, v2
	global_store_dword v[0:1], v3, off
.LBB79_247:
	s_mov_b64 s[8:9], 0
.LBB79_248:
	s_andn2_b64 vcc, exec, s[8:9]
	s_cbranch_vccnz .LBB79_250
; %bb.249:
	v_cvt_i32_f32_e32 v3, v2
	global_store_short v[0:1], v3, off
.LBB79_250:
	s_mov_b64 s[8:9], 0
.LBB79_251:
	s_andn2_b64 vcc, exec, s[8:9]
	s_cbranch_vccnz .LBB79_256
; %bb.252:
	v_mov_b32_e32 v3, 0
	v_cmp_gt_i16_sdwa s[10:11], s61, v3 src0_sel:BYTE_0 src1_sel:DWORD
	s_mov_b64 s[8:9], -1
	s_and_b64 vcc, exec, s[10:11]
	s_cbranch_vccz .LBB79_254
; %bb.253:
	v_cvt_i32_f32_e32 v3, v2
	s_mov_b64 s[8:9], 0
	global_store_byte v[0:1], v3, off
.LBB79_254:
	s_andn2_b64 vcc, exec, s[8:9]
	s_cbranch_vccnz .LBB79_256
; %bb.255:
	v_trunc_f32_e32 v2, v2
	s_mov_b32 s8, 0x2f800000
	v_mul_f32_e64 v3, |v2|, s8
	v_floor_f32_e32 v3, v3
	s_mov_b32 s8, 0xcf800000
	v_fma_f32 v3, v3, s8, |v2|
	v_cvt_u32_f32_e32 v3, v3
	v_ashrrev_i32_e32 v2, 31, v2
	v_xor_b32_e32 v3, v3, v2
	v_sub_u32_e32 v2, v3, v2
	global_store_byte v[0:1], v2, off
.LBB79_256:
.LBB79_257:
	v_add_u32_e32 v8, 0x80, v8
	s_mov_b64 s[8:9], -1
.LBB79_258:
	s_and_b64 s[70:71], s[0:1], exec
	s_and_b64 s[72:73], s[2:3], exec
	s_orn2_b64 s[2:3], s[8:9], exec
.LBB79_259:
	s_or_b64 exec, exec, s[74:75]
	s_mov_b64 s[10:11], 0
	s_mov_b64 s[0:1], 0
                                        ; implicit-def: $vgpr2_vgpr3
                                        ; implicit-def: $vgpr0
                                        ; implicit-def: $vgpr7
	s_and_saveexec_b64 s[74:75], s[2:3]
	s_cbranch_execz .LBB79_267
; %bb.260:
	v_cmp_gt_i32_e32 vcc, s90, v8
	s_mov_b64 s[0:1], -1
	s_mov_b64 s[76:77], s[72:73]
	s_mov_b64 s[78:79], s[70:71]
	s_and_saveexec_b64 s[80:81], vcc
	s_cbranch_execz .LBB79_524
; %bb.261:
	s_andn2_b64 vcc, exec, s[40:41]
	s_cbranch_vccnz .LBB79_270
; %bb.262:
	s_mov_b32 s76, 0
	s_andn2_b64 vcc, exec, s[68:69]
	v_mov_b32_e32 v2, 0
	v_mov_b32_e32 v0, 0
	s_cbranch_vccnz .LBB79_276
; %bb.263:
	s_add_i32 s84, s91, 1
	s_cmp_eq_u32 s92, 2
	s_cbranch_scc1 .LBB79_271
; %bb.264:
	s_mov_b64 s[86:87], s[20:21]
	s_mov_b64 s[48:49], s[18:19]
	s_and_b32 s76, s84, 28
	s_mov_b32 s77, 0
	v_mov_b32_e32 v0, 0
	s_mov_b64 s[78:79], s[34:35]
	s_mov_b64 s[82:83], s[66:67]
	v_mov_b32_e32 v3, v8
	v_mov_b32_e32 v2, 0
.LBB79_265:                             ; =>This Inner Loop Header: Depth=1
	s_load_dwordx8 s[16:23], s[78:79], 0x4
	s_load_dwordx4 s[0:3], s[78:79], 0x24
	s_load_dwordx8 s[8:15], s[82:83], 0x0
	s_add_u32 s78, s78, 48
	s_addc_u32 s79, s79, 0
	s_waitcnt vmcnt(0) lgkmcnt(0)
	v_mul_hi_u32 v1, s17, v3
	v_add_u32_e32 v1, v3, v1
	v_lshrrev_b32_e32 v1, s18, v1
	v_mul_lo_u32 v7, v1, s16
	v_mul_hi_u32 v9, s20, v1
	v_sub_u32_e32 v3, v3, v7
	v_add_u32_e32 v7, v1, v9
	v_lshrrev_b32_e32 v7, s21, v7
	v_mul_lo_u32 v10, v7, s19
	v_mul_hi_u32 v11, s23, v7
	v_sub_u32_e32 v1, v1, v10
	v_add_u32_e32 v10, v7, v11
	v_mul_lo_u32 v9, v3, s9
	v_mul_lo_u32 v3, v3, s8
	;; [unrolled: 1-line block ×4, first 2 shown]
	v_lshrrev_b32_e32 v10, s0, v10
	v_add3_u32 v0, v3, v0, v1
	v_mul_hi_u32 v3, s2, v10
	v_add_u32_e32 v3, v10, v3
	v_lshrrev_b32_e32 v3, s3, v3
	s_add_i32 s77, s77, 4
	v_add3_u32 v1, v9, v2, v11
	v_mul_lo_u32 v2, v10, s22
	v_mul_lo_u32 v9, v3, s1
	s_add_u32 s82, s82, 32
	v_sub_u32_e32 v2, v7, v2
	v_sub_u32_e32 v9, v10, v9
	s_addc_u32 s83, s83, 0
	v_mul_lo_u32 v7, v2, s12
	v_mul_lo_u32 v2, v2, s13
	;; [unrolled: 1-line block ×4, first 2 shown]
	s_cmp_eq_u32 s76, s77
	v_add3_u32 v2, v2, v1, v9
	v_add3_u32 v0, v7, v0, v10
	s_cbranch_scc0 .LBB79_265
; %bb.266:
	v_mov_b32_e32 v1, v2
	s_mov_b64 s[18:19], s[48:49]
	s_mov_b64 s[20:21], s[86:87]
	s_branch .LBB79_272
.LBB79_267:
	s_or_b64 exec, exec, s[74:75]
	s_mov_b64 s[2:3], 0
	s_and_saveexec_b64 s[8:9], s[72:73]
	s_cbranch_execnz .LBB79_886
.LBB79_268:
	s_or_b64 exec, exec, s[8:9]
	s_and_saveexec_b64 s[8:9], s[78:79]
	s_xor_b64 s[8:9], exec, s[8:9]
	s_cbranch_execz .LBB79_887
.LBB79_269:
	global_load_ubyte v1, v[2:3], off
	s_or_b64 s[0:1], s[0:1], exec
	s_waitcnt vmcnt(0)
	v_cmp_ne_u16_e32 vcc, 0, v1
	v_cndmask_b32_e64 v7, 0, 1.0, vcc
	s_or_b64 exec, exec, s[8:9]
	s_and_saveexec_b64 s[8:9], s[10:11]
	s_cbranch_execz .LBB79_933
	s_branch .LBB79_888
.LBB79_270:
                                        ; implicit-def: $vgpr2
                                        ; implicit-def: $vgpr0
	s_andn2_b64 vcc, exec, s[0:1]
	s_cbranch_vccz .LBB79_277
	s_branch .LBB79_279
.LBB79_271:
	s_mov_b32 s77, s76
	s_waitcnt vmcnt(0)
	v_pk_mov_b32 v[0:1], s[76:77], s[76:77] op_sel:[0,1]
                                        ; implicit-def: $vgpr2
	v_mov_b32_e32 v3, v8
.LBB79_272:
	s_and_b32 s8, s84, 3
	s_cmp_eq_u32 s8, 0
	s_cbranch_scc1 .LBB79_276
; %bb.273:
	s_lshl_b32 s0, s76, 3
	s_add_u32 s0, s0, s34
	s_addc_u32 s1, s35, 0
	s_add_u32 s0, s0, 0xc4
	s_addc_u32 s1, s1, 0
	s_mul_i32 s2, s76, 12
	s_add_u32 s2, s34, s2
	s_addc_u32 s3, s35, 0
.LBB79_274:                             ; =>This Inner Loop Header: Depth=1
	s_load_dwordx2 s[10:11], s[2:3], 0x4
	s_load_dword s9, s[2:3], 0xc
	s_load_dwordx2 s[12:13], s[0:1], 0x0
	v_mov_b32_e32 v2, v1
	s_add_u32 s2, s2, 12
	s_waitcnt lgkmcnt(0)
	v_mul_hi_u32 v1, s11, v3
	v_add_u32_e32 v1, v3, v1
	v_lshrrev_b32_e32 v1, s9, v1
	s_addc_u32 s3, s3, 0
	v_mul_lo_u32 v7, v1, s10
	s_add_u32 s0, s0, 8
	v_sub_u32_e32 v7, v3, v7
	v_mov_b32_e32 v3, v1
	s_addc_u32 s1, s1, 0
	s_add_i32 s8, s8, -1
	v_mad_u64_u32 v[10:11], s[10:11], v7, s13, v[2:3]
	v_mad_u64_u32 v[0:1], s[10:11], v7, s12, v[0:1]
	s_cmp_lg_u32 s8, 0
	v_mov_b32_e32 v1, v10
	s_cbranch_scc1 .LBB79_274
; %bb.275:
	v_mov_b32_e32 v2, v1
.LBB79_276:
	s_cbranch_execnz .LBB79_279
.LBB79_277:
	v_mul_hi_u32 v0, s29, v8
	v_add_u32_e32 v0, v8, v0
	s_waitcnt vmcnt(0)
	v_lshrrev_b32_e32 v1, s30, v0
	v_mul_lo_u32 v0, v1, s28
	v_sub_u32_e32 v0, v8, v0
	s_waitcnt lgkmcnt(0)
	v_mul_lo_u32 v2, v0, s37
	s_andn2_b64 vcc, exec, s[64:65]
	v_mul_lo_u32 v0, v0, s36
	s_cbranch_vccnz .LBB79_279
; %bb.278:
	v_mul_hi_u32 v3, s88, v1
	v_add_u32_e32 v3, v1, v3
	v_lshrrev_b32_e32 v3, s89, v3
	v_mul_lo_u32 v3, v3, s31
	v_sub_u32_e32 v3, v1, v3
	v_mad_u64_u32 v[0:1], s[0:1], v3, s38, v[0:1]
	v_mad_u64_u32 v[2:3], s[0:1], v3, s39, v[2:3]
.LBB79_279:
	s_waitcnt vmcnt(0) lgkmcnt(0)
	v_mov_b32_e32 v1, s27
	v_add_co_u32_e32 v2, vcc, s26, v2
	v_addc_co_u32_e32 v3, vcc, 0, v1, vcc
	v_cmp_gt_i16_e32 vcc, 11, v4
	s_cbranch_vccnz .LBB79_286
; %bb.280:
	v_cmp_lt_i16_e32 vcc, 25, v4
	s_cbranch_vccz .LBB79_295
; %bb.281:
	v_cmp_lt_i16_e32 vcc, 28, v4
	s_cbranch_vccz .LBB79_297
	;; [unrolled: 3-line block ×4, first 2 shown]
; %bb.284:
	v_cmp_eq_u16_e32 vcc, 46, v4
	s_mov_b64 s[8:9], 0
	s_cbranch_vccz .LBB79_303
; %bb.285:
	global_load_dword v1, v[2:3], off
	s_mov_b64 s[0:1], -1
	s_mov_b64 s[2:3], 0
	s_waitcnt vmcnt(0)
	v_lshlrev_b32_e32 v1, 16, v1
	s_branch .LBB79_304
.LBB79_286:
	s_mov_b64 s[0:1], 0
                                        ; implicit-def: $vgpr1
	s_mov_b64 s[2:3], s[72:73]
	s_cbranch_execnz .LBB79_391
.LBB79_287:
	s_andn2_b64 vcc, exec, s[0:1]
	s_cbranch_vccnz .LBB79_439
.LBB79_288:
	s_brev_b32 s0, -2
	v_mov_b32_e32 v2, s60
	s_waitcnt vmcnt(0)
	v_bfi_b32 v2, s0, v2, v1
	v_mov_b32_e32 v1, s25
	v_add_co_u32_e32 v0, vcc, s24, v0
	v_mov_b32_e32 v3, 11
	v_addc_co_u32_e32 v1, vcc, 0, v1, vcc
	v_cmp_lt_i16_sdwa s[0:1], s61, v3 src0_sel:BYTE_0 src1_sel:DWORD
	s_and_b64 vcc, exec, s[0:1]
	s_cbranch_vccnz .LBB79_296
; %bb.289:
	v_mov_b32_e32 v3, 25
	v_cmp_gt_i16_sdwa s[0:1], s61, v3 src0_sel:BYTE_0 src1_sel:DWORD
	s_and_b64 vcc, exec, s[0:1]
	s_cbranch_vccz .LBB79_298
; %bb.290:
	v_mov_b32_e32 v3, 28
	v_cmp_gt_i16_sdwa s[0:1], s61, v3 src0_sel:BYTE_0 src1_sel:DWORD
	s_and_b64 vcc, exec, s[0:1]
	s_cbranch_vccz .LBB79_300
	;; [unrolled: 5-line block ×4, first 2 shown]
; %bb.293:
	v_mov_b32_e32 v3, 46
	v_cmp_eq_u16_sdwa s[8:9], s61, v3 src0_sel:BYTE_0 src1_sel:DWORD
	s_mov_b64 s[10:11], 0
	s_mov_b64 s[0:1], -1
	s_and_b64 vcc, exec, s[8:9]
	s_mov_b64 s[8:9], 0
	s_cbranch_vccz .LBB79_308
; %bb.294:
	v_bfe_u32 v3, v2, 16, 1
	s_movk_i32 s0, 0x7fff
	v_add3_u32 v3, v2, v3, s0
	v_lshrrev_b32_e32 v3, 16, v3
	v_mov_b32_e32 v7, 0x7fc0
	v_cmp_o_f32_e32 vcc, v2, v2
	v_cndmask_b32_e32 v3, v7, v3, vcc
	global_store_dword v[0:1], v3, off
	s_mov_b64 s[8:9], -1
	s_mov_b64 s[0:1], 0
	s_branch .LBB79_308
.LBB79_295:
	s_mov_b64 s[8:9], -1
	s_mov_b64 s[0:1], 0
	s_mov_b64 s[2:3], s[72:73]
                                        ; implicit-def: $vgpr1
	s_branch .LBB79_355
.LBB79_296:
	s_mov_b64 s[10:11], -1
	s_mov_b64 s[8:9], 0
	s_mov_b64 s[0:1], s[70:71]
	s_branch .LBB79_480
.LBB79_297:
	s_mov_b64 s[8:9], -1
	s_mov_b64 s[0:1], 0
	s_mov_b64 s[2:3], s[72:73]
                                        ; implicit-def: $vgpr1
	s_branch .LBB79_336
.LBB79_298:
	s_mov_b64 s[10:11], -1
	s_mov_b64 s[8:9], 0
	s_mov_b64 s[0:1], s[70:71]
	s_branch .LBB79_448
.LBB79_299:
	s_mov_b64 s[8:9], -1
	s_mov_b64 s[0:1], 0
	s_mov_b64 s[2:3], s[72:73]
                                        ; implicit-def: $vgpr1
	s_branch .LBB79_331
.LBB79_300:
	s_mov_b64 s[10:11], -1
	s_mov_b64 s[8:9], 0
	s_mov_b64 s[0:1], s[70:71]
	s_branch .LBB79_318
.LBB79_301:
	s_mov_b64 s[8:9], -1
	s_mov_b64 s[0:1], 0
	s_mov_b64 s[2:3], s[72:73]
                                        ; implicit-def: $vgpr1
	s_branch .LBB79_304
.LBB79_302:
	s_mov_b64 s[10:11], -1
	s_mov_b64 s[8:9], 0
	s_mov_b64 s[0:1], s[70:71]
	s_branch .LBB79_314
.LBB79_303:
	s_mov_b64 s[2:3], -1
                                        ; implicit-def: $vgpr1
	s_mov_b64 s[0:1], 0
.LBB79_304:
	s_and_b64 vcc, exec, s[8:9]
	s_cbranch_vccz .LBB79_330
; %bb.305:
	v_cmp_eq_u16_e32 vcc, 44, v4
	s_cbranch_vccz .LBB79_329
; %bb.306:
	global_load_ubyte v1, v[2:3], off
	s_movk_i32 s2, 0xff
	v_mov_b32_e32 v7, 0x7f800001
	v_mov_b32_e32 v9, 0x400000
	s_mov_b64 s[0:1], -1
	s_waitcnt vmcnt(0)
	v_lshlrev_b32_e32 v10, 23, v1
	v_cmp_ne_u32_e32 vcc, s2, v1
	v_cndmask_b32_e32 v7, v7, v10, vcc
	v_cmp_ne_u32_e32 vcc, 0, v1
	v_cndmask_b32_e32 v1, v9, v7, vcc
	s_mov_b64 s[2:3], 0
	s_branch .LBB79_330
.LBB79_307:
	s_mov_b64 s[10:11], -1
	s_mov_b64 s[8:9], 0
	s_mov_b64 s[0:1], s[70:71]
.LBB79_308:
	s_and_b64 vcc, exec, s[10:11]
	s_cbranch_vccz .LBB79_313
; %bb.309:
	v_mov_b32_e32 v3, 44
	v_cmp_eq_u16_sdwa s[10:11], s61, v3 src0_sel:BYTE_0 src1_sel:DWORD
	s_mov_b64 s[0:1], -1
	s_and_b64 vcc, exec, s[10:11]
	s_cbranch_vccz .LBB79_313
; %bb.310:
	v_bfe_u32 v3, v2, 23, 8
	s_movk_i32 s0, 0xff
	v_cmp_ne_u32_e32 vcc, s0, v3
	v_mov_b32_e32 v7, 0xff
	s_and_saveexec_b64 s[8:9], vcc
; %bb.311:
	s_mov_b32 s0, 0x3fffff
	v_and_b32_e32 v9, 0x400000, v2
	v_and_or_b32 v3, v2, s0, v3
	v_cmp_ne_u32_e32 vcc, 0, v9
	v_cmp_ne_u32_e64 s[0:1], 0, v3
	s_and_b64 s[0:1], vcc, s[0:1]
	v_lshrrev_b32_e32 v7, 23, v2
	v_cndmask_b32_e64 v3, 0, 1, s[0:1]
	v_add_u32_e32 v7, v7, v3
; %bb.312:
	s_or_b64 exec, exec, s[8:9]
	s_mov_b64 s[8:9], -1
	s_mov_b64 s[0:1], 0
	global_store_byte v[0:1], v7, off
.LBB79_313:
	s_mov_b64 s[10:11], 0
.LBB79_314:
	s_and_b64 vcc, exec, s[10:11]
	s_cbranch_vccz .LBB79_317
; %bb.315:
	v_mov_b32_e32 v3, 29
	v_cmp_eq_u16_sdwa s[10:11], s61, v3 src0_sel:BYTE_0 src1_sel:DWORD
	s_mov_b64 s[0:1], -1
	s_and_b64 vcc, exec, s[10:11]
	s_cbranch_vccz .LBB79_317
; %bb.316:
	v_trunc_f32_e32 v3, v2
	v_mul_f32_e32 v7, 0x2f800000, v3
	v_floor_f32_e32 v7, v7
	v_fmac_f32_e32 v3, 0xcf800000, v7
	v_cvt_u32_f32_e32 v11, v7
	v_cvt_u32_f32_e32 v10, v3
	s_mov_b64 s[8:9], -1
	s_mov_b64 s[0:1], 0
	s_mov_b64 s[10:11], 0
	global_store_dwordx2 v[0:1], v[10:11], off
	s_branch .LBB79_318
.LBB79_317:
	s_mov_b64 s[10:11], 0
.LBB79_318:
	s_and_b64 vcc, exec, s[10:11]
	s_cbranch_vccz .LBB79_447
; %bb.319:
	v_mov_b32_e32 v3, 27
	v_cmp_lt_i16_sdwa s[10:11], s61, v3 src0_sel:BYTE_0 src1_sel:DWORD
	s_mov_b64 s[8:9], -1
	s_and_b64 vcc, exec, s[10:11]
	s_cbranch_vccnz .LBB79_325
; %bb.320:
	v_cmp_gt_i16_sdwa s[10:11], s61, v3 src0_sel:BYTE_0 src1_sel:DWORD
	v_cvt_u32_f32_e32 v3, v2
	s_and_b64 vcc, exec, s[10:11]
	s_cbranch_vccz .LBB79_322
; %bb.321:
	s_mov_b64 s[8:9], 0
	global_store_dword v[0:1], v3, off
.LBB79_322:
	s_andn2_b64 vcc, exec, s[8:9]
	s_cbranch_vccnz .LBB79_324
; %bb.323:
	global_store_short v[0:1], v3, off
.LBB79_324:
	s_mov_b64 s[8:9], 0
.LBB79_325:
	s_andn2_b64 vcc, exec, s[8:9]
	s_cbranch_vccnz .LBB79_446
; %bb.326:
	s_andn2_b64 vcc, exec, s[20:21]
	v_mov_b32_e32 v7, 0x80
	s_cbranch_vccnz .LBB79_445
; %bb.327:
	s_andn2_b64 vcc, exec, s[56:57]
	s_cbranch_vccnz .LBB79_440
; %bb.328:
	v_bfe_u32 v3, v2, 20, 1
	s_mov_b32 s8, 0x487ffff
	v_add3_u32 v3, v2, v3, s8
	v_lshrrev_b32_e32 v3, 20, v3
	s_mov_b64 s[10:11], 0
	s_mov_b64 s[8:9], -1
	s_branch .LBB79_441
.LBB79_329:
	s_mov_b64 s[2:3], -1
                                        ; implicit-def: $vgpr1
.LBB79_330:
	s_mov_b64 s[8:9], 0
.LBB79_331:
	s_and_b64 vcc, exec, s[8:9]
	s_cbranch_vccz .LBB79_335
; %bb.332:
	v_cmp_eq_u16_e32 vcc, 29, v4
	s_cbranch_vccz .LBB79_334
; %bb.333:
	global_load_dwordx2 v[10:11], v[2:3], off
	s_mov_b64 s[0:1], -1
	s_mov_b64 s[2:3], 0
	s_mov_b64 s[8:9], 0
	s_waitcnt vmcnt(0)
	v_ffbh_u32_e32 v1, v11
	v_min_u32_e32 v1, 32, v1
	v_lshlrev_b64 v[10:11], v1, v[10:11]
	v_min_u32_e32 v7, 1, v10
	v_or_b32_e32 v7, v11, v7
	v_cvt_f32_u32_e32 v7, v7
	v_sub_u32_e32 v1, 32, v1
	v_ldexp_f32 v1, v7, v1
	s_branch .LBB79_336
.LBB79_334:
	s_mov_b64 s[2:3], -1
                                        ; implicit-def: $vgpr1
.LBB79_335:
	s_mov_b64 s[8:9], 0
.LBB79_336:
	s_and_b64 vcc, exec, s[8:9]
	s_cbranch_vccz .LBB79_354
; %bb.337:
	v_cmp_gt_i16_e32 vcc, 27, v4
	s_cbranch_vccnz .LBB79_340
; %bb.338:
	v_cmp_lt_i16_e32 vcc, 27, v4
	s_cbranch_vccz .LBB79_341
; %bb.339:
	global_load_dword v1, v[2:3], off
	s_mov_b64 s[0:1], 0
	s_waitcnt vmcnt(0)
	v_cvt_f32_u32_e32 v1, v1
	s_branch .LBB79_342
.LBB79_340:
	s_mov_b64 s[0:1], -1
                                        ; implicit-def: $vgpr1
	s_branch .LBB79_345
.LBB79_341:
	s_mov_b64 s[0:1], -1
                                        ; implicit-def: $vgpr1
.LBB79_342:
	s_andn2_b64 vcc, exec, s[0:1]
	s_cbranch_vccnz .LBB79_344
; %bb.343:
	global_load_ushort v1, v[2:3], off
	s_waitcnt vmcnt(0)
	v_cvt_f32_u32_e32 v1, v1
.LBB79_344:
	s_mov_b64 s[0:1], 0
.LBB79_345:
	s_andn2_b64 vcc, exec, s[0:1]
	s_cbranch_vccnz .LBB79_353
; %bb.346:
	global_load_ubyte v7, v[2:3], off
	s_movk_i32 s0, 0x7f
                                        ; implicit-def: $sgpr12
	s_waitcnt vmcnt(0)
	v_cmp_lt_i16_e32 vcc, s0, v7
	s_mov_b64 s[0:1], 0
	s_and_saveexec_b64 s[8:9], vcc
	s_xor_b64 s[8:9], exec, s[8:9]
	s_cbranch_execz .LBB79_367
; %bb.347:
	s_movk_i32 s0, 0x80
	v_cmp_eq_u16_e32 vcc, s0, v7
	s_mov_b64 s[0:1], -1
                                        ; implicit-def: $sgpr12
	s_and_saveexec_b64 s[10:11], vcc
; %bb.348:
	s_mov_b32 s12, 0x7f800001
	s_xor_b64 s[0:1], exec, -1
; %bb.349:
	s_or_b64 exec, exec, s[10:11]
	s_and_b64 s[0:1], s[0:1], exec
	s_or_saveexec_b64 s[8:9], s[8:9]
	v_mov_b32_e32 v1, s12
	s_xor_b64 exec, exec, s[8:9]
	s_cbranch_execnz .LBB79_368
.LBB79_350:
	s_or_b64 exec, exec, s[8:9]
	s_and_saveexec_b64 s[8:9], s[0:1]
	s_cbranch_execz .LBB79_352
.LBB79_351:
	v_lshlrev_b32_e32 v1, 24, v7
	v_and_b32_e32 v7, 0xffff, v7
	v_and_b32_e32 v9, 7, v7
	v_ffbh_u32_e32 v11, v9
	v_min_u32_e32 v11, 32, v11
	v_subrev_u32_e32 v12, 28, v11
	v_bfe_u32 v10, v7, 3, 4
	v_lshlrev_b32_e32 v7, v12, v7
	v_sub_u32_e32 v11, 29, v11
	v_and_b32_e32 v7, 7, v7
	v_cmp_eq_u32_e32 vcc, 0, v10
	v_cndmask_b32_e32 v10, v10, v11, vcc
	v_cndmask_b32_e32 v7, v9, v7, vcc
	v_mov_b32_e32 v9, 0x3b800000
	v_lshlrev_b32_e32 v7, 20, v7
	v_and_b32_e32 v1, 0x80000000, v1
	v_lshl_add_u32 v9, v10, 23, v9
	v_or3_b32 v1, v1, v9, v7
.LBB79_352:
	s_or_b64 exec, exec, s[8:9]
.LBB79_353:
	s_mov_b64 s[0:1], -1
.LBB79_354:
	s_mov_b64 s[8:9], 0
.LBB79_355:
	s_and_b64 vcc, exec, s[8:9]
	s_cbranch_vccz .LBB79_390
; %bb.356:
	v_cmp_lt_i16_e32 vcc, 22, v4
	s_cbranch_vccz .LBB79_366
; %bb.357:
	v_cmp_gt_i16_e32 vcc, 24, v4
	s_cbranch_vccnz .LBB79_369
; %bb.358:
	v_cmp_lt_i16_e32 vcc, 24, v4
	s_cbranch_vccz .LBB79_370
; %bb.359:
	global_load_ubyte v7, v[2:3], off
	s_movk_i32 s0, 0x7f
                                        ; implicit-def: $sgpr12
	s_waitcnt vmcnt(0)
	v_cmp_lt_i16_e32 vcc, s0, v7
	s_mov_b64 s[0:1], 0
	s_and_saveexec_b64 s[8:9], vcc
	s_xor_b64 s[8:9], exec, s[8:9]
	s_cbranch_execz .LBB79_382
; %bb.360:
	s_movk_i32 s0, 0x80
	v_cmp_eq_u16_e32 vcc, s0, v7
	s_mov_b64 s[0:1], -1
                                        ; implicit-def: $sgpr12
	s_and_saveexec_b64 s[10:11], vcc
; %bb.361:
	s_mov_b32 s12, 0x7f800001
	s_xor_b64 s[0:1], exec, -1
; %bb.362:
	s_or_b64 exec, exec, s[10:11]
	s_and_b64 s[0:1], s[0:1], exec
	s_or_saveexec_b64 s[8:9], s[8:9]
	v_mov_b32_e32 v1, s12
	s_xor_b64 exec, exec, s[8:9]
	s_cbranch_execnz .LBB79_383
.LBB79_363:
	s_or_b64 exec, exec, s[8:9]
	s_and_saveexec_b64 s[8:9], s[0:1]
	s_cbranch_execz .LBB79_365
.LBB79_364:
	v_lshlrev_b32_e32 v1, 24, v7
	v_and_b32_e32 v7, 0xffff, v7
	v_and_b32_e32 v9, 3, v7
	v_ffbh_u32_e32 v11, v9
	v_min_u32_e32 v11, 32, v11
	v_subrev_u32_e32 v12, 29, v11
	v_bfe_u32 v10, v7, 2, 5
	v_lshlrev_b32_e32 v7, v12, v7
	v_sub_u32_e32 v11, 30, v11
	v_and_b32_e32 v7, 3, v7
	v_cmp_eq_u32_e32 vcc, 0, v10
	v_cndmask_b32_e32 v10, v10, v11, vcc
	v_cndmask_b32_e32 v7, v9, v7, vcc
	v_mov_b32_e32 v9, 0x37800000
	v_lshlrev_b32_e32 v7, 21, v7
	v_and_b32_e32 v1, 0x80000000, v1
	v_lshl_add_u32 v9, v10, 23, v9
	v_or3_b32 v1, v1, v9, v7
.LBB79_365:
	s_or_b64 exec, exec, s[8:9]
	s_mov_b64 s[0:1], 0
	s_branch .LBB79_371
.LBB79_366:
	s_mov_b64 s[8:9], -1
                                        ; implicit-def: $vgpr1
	s_branch .LBB79_377
.LBB79_367:
	s_or_saveexec_b64 s[8:9], s[8:9]
	v_mov_b32_e32 v1, s12
	s_xor_b64 exec, exec, s[8:9]
	s_cbranch_execz .LBB79_350
.LBB79_368:
	v_cmp_ne_u16_e32 vcc, 0, v7
	s_andn2_b64 s[0:1], s[0:1], exec
	s_and_b64 s[10:11], vcc, exec
	v_mov_b32_e32 v1, 0
	s_or_b64 s[0:1], s[0:1], s[10:11]
	s_or_b64 exec, exec, s[8:9]
	s_and_saveexec_b64 s[8:9], s[0:1]
	s_cbranch_execnz .LBB79_351
	s_branch .LBB79_352
.LBB79_369:
	s_mov_b64 s[0:1], -1
                                        ; implicit-def: $vgpr1
	s_branch .LBB79_374
.LBB79_370:
	s_mov_b64 s[0:1], -1
                                        ; implicit-def: $vgpr1
.LBB79_371:
	s_and_b64 vcc, exec, s[0:1]
	s_cbranch_vccz .LBB79_373
; %bb.372:
	global_load_ubyte v1, v[2:3], off
	s_mov_b32 s0, 0x7f800000
	s_waitcnt vmcnt(0)
	v_lshlrev_b32_e32 v1, 24, v1
	v_and_b32_e32 v7, 0x7f000000, v1
	v_ffbh_u32_e32 v9, v7
	v_min_u32_e32 v9, 32, v9
	v_sub_u32_e64 v9, v9, 4 clamp
	v_lshlrev_b32_e32 v11, v9, v7
	v_lshlrev_b32_e32 v9, 23, v9
	v_lshrrev_b32_e32 v11, 4, v11
	v_add_u32_e32 v10, 0x1000000, v7
	v_sub_u32_e32 v9, v11, v9
	v_ashrrev_i32_e32 v10, 8, v10
	v_add_u32_e32 v9, 0x3c000000, v9
	v_and_or_b32 v9, v10, s0, v9
	v_cmp_ne_u32_e32 vcc, 0, v7
	v_cndmask_b32_e32 v7, 0, v9, vcc
	s_brev_b32 s0, 1
	v_and_or_b32 v1, v1, s0, v7
.LBB79_373:
	s_mov_b64 s[0:1], 0
.LBB79_374:
	s_andn2_b64 vcc, exec, s[0:1]
	s_cbranch_vccnz .LBB79_376
; %bb.375:
	global_load_ubyte v1, v[2:3], off
	s_movk_i32 s0, 0x7f00
	s_brev_b32 s1, 16
	s_waitcnt vmcnt(0)
	v_lshlrev_b16_e32 v7, 8, v1
	v_lshlrev_b32_e32 v1, 25, v1
	v_lshrrev_b32_e32 v9, 4, v1
	v_and_or_b32 v10, v7, s0, 0.5
	v_or_b32_e32 v9, 0x70000000, v9
	v_add_f32_e32 v10, -0.5, v10
	v_mul_f32_e32 v9, 0x7800000, v9
	v_cmp_gt_u32_e32 vcc, s1, v1
	v_bfe_i32 v7, v7, 0, 16
	v_cndmask_b32_e32 v1, v9, v10, vcc
	s_brev_b32 s0, 1
	v_and_or_b32 v1, v7, s0, v1
.LBB79_376:
	s_mov_b64 s[8:9], 0
	s_mov_b64 s[0:1], -1
.LBB79_377:
	s_andn2_b64 vcc, exec, s[8:9]
	s_cbranch_vccnz .LBB79_390
; %bb.378:
	v_cmp_lt_i16_e32 vcc, 14, v4
	s_cbranch_vccz .LBB79_381
; %bb.379:
	v_cmp_eq_u16_e32 vcc, 15, v4
	s_cbranch_vccz .LBB79_384
; %bb.380:
	global_load_ushort v1, v[2:3], off
	s_mov_b64 s[0:1], -1
	s_mov_b64 s[2:3], 0
	s_waitcnt vmcnt(0)
	v_lshlrev_b32_e32 v1, 16, v1
	s_branch .LBB79_385
.LBB79_381:
	s_mov_b64 s[8:9], -1
                                        ; implicit-def: $vgpr1
	s_branch .LBB79_386
.LBB79_382:
	s_or_saveexec_b64 s[8:9], s[8:9]
	v_mov_b32_e32 v1, s12
	s_xor_b64 exec, exec, s[8:9]
	s_cbranch_execz .LBB79_363
.LBB79_383:
	v_cmp_ne_u16_e32 vcc, 0, v7
	s_andn2_b64 s[0:1], s[0:1], exec
	s_and_b64 s[10:11], vcc, exec
	v_mov_b32_e32 v1, 0
	s_or_b64 s[0:1], s[0:1], s[10:11]
	s_or_b64 exec, exec, s[8:9]
	s_and_saveexec_b64 s[8:9], s[0:1]
	s_cbranch_execnz .LBB79_364
	s_branch .LBB79_365
.LBB79_384:
	s_mov_b64 s[2:3], -1
                                        ; implicit-def: $vgpr1
.LBB79_385:
	s_mov_b64 s[8:9], 0
.LBB79_386:
	s_and_b64 vcc, exec, s[8:9]
	s_cbranch_vccz .LBB79_390
; %bb.387:
	v_cmp_eq_u16_e32 vcc, 11, v4
	s_cbranch_vccz .LBB79_389
; %bb.388:
	global_load_ubyte v1, v[2:3], off
	s_mov_b64 s[0:1], -1
	s_mov_b64 s[2:3], 0
	s_waitcnt vmcnt(0)
	v_cmp_ne_u16_e32 vcc, 0, v1
	v_cndmask_b32_e64 v1, 0, 1.0, vcc
	s_branch .LBB79_390
.LBB79_389:
	s_mov_b64 s[2:3], -1
                                        ; implicit-def: $vgpr1
.LBB79_390:
	s_branch .LBB79_287
.LBB79_391:
	v_cmp_gt_i16_e32 vcc, 5, v4
	s_cbranch_vccnz .LBB79_396
; %bb.392:
	v_cmp_gt_i16_e32 vcc, 8, v4
	s_cbranch_vccnz .LBB79_397
; %bb.393:
	;; [unrolled: 3-line block ×3, first 2 shown]
	v_cmp_lt_i16_e32 vcc, 9, v4
	s_cbranch_vccz .LBB79_399
; %bb.395:
	global_load_dwordx2 v[10:11], v[2:3], off
	s_mov_b64 s[0:1], 0
	s_waitcnt vmcnt(0)
	v_cvt_f32_f64_e32 v1, v[10:11]
	s_branch .LBB79_400
.LBB79_396:
	s_mov_b64 s[0:1], -1
                                        ; implicit-def: $vgpr1
	s_branch .LBB79_418
.LBB79_397:
	s_mov_b64 s[0:1], -1
                                        ; implicit-def: $vgpr1
	s_branch .LBB79_406
.LBB79_398:
	s_mov_b64 s[0:1], -1
                                        ; implicit-def: $vgpr1
	s_branch .LBB79_403
.LBB79_399:
	s_mov_b64 s[0:1], -1
                                        ; implicit-def: $vgpr1
.LBB79_400:
	s_andn2_b64 vcc, exec, s[0:1]
	s_cbranch_vccnz .LBB79_402
; %bb.401:
	global_load_dword v1, v[2:3], off
.LBB79_402:
	s_mov_b64 s[0:1], 0
.LBB79_403:
	s_andn2_b64 vcc, exec, s[0:1]
	s_cbranch_vccnz .LBB79_405
; %bb.404:
	global_load_dword v1, v[2:3], off
	s_waitcnt vmcnt(0)
	v_cvt_f32_f16_e32 v1, v1
.LBB79_405:
	s_mov_b64 s[0:1], 0
.LBB79_406:
	s_andn2_b64 vcc, exec, s[0:1]
	s_cbranch_vccnz .LBB79_417
; %bb.407:
	v_cmp_gt_i16_e32 vcc, 6, v4
	s_cbranch_vccnz .LBB79_410
; %bb.408:
	v_cmp_lt_i16_e32 vcc, 6, v4
	s_cbranch_vccz .LBB79_411
; %bb.409:
	global_load_dwordx2 v[10:11], v[2:3], off
	s_mov_b64 s[0:1], 0
	s_waitcnt vmcnt(0)
	v_cvt_f32_f64_e32 v1, v[10:11]
	s_branch .LBB79_412
.LBB79_410:
	s_mov_b64 s[0:1], -1
                                        ; implicit-def: $vgpr1
	s_branch .LBB79_415
.LBB79_411:
	s_mov_b64 s[0:1], -1
                                        ; implicit-def: $vgpr1
.LBB79_412:
	s_andn2_b64 vcc, exec, s[0:1]
	s_cbranch_vccnz .LBB79_414
; %bb.413:
	global_load_dword v1, v[2:3], off
.LBB79_414:
	s_mov_b64 s[0:1], 0
.LBB79_415:
	s_andn2_b64 vcc, exec, s[0:1]
	s_cbranch_vccnz .LBB79_417
; %bb.416:
	global_load_ushort v1, v[2:3], off
	s_waitcnt vmcnt(0)
	v_cvt_f32_f16_e32 v1, v1
.LBB79_417:
	s_mov_b64 s[0:1], 0
.LBB79_418:
	s_andn2_b64 vcc, exec, s[0:1]
	s_cbranch_vccnz .LBB79_438
; %bb.419:
	v_cmp_gt_i16_e32 vcc, 2, v4
	s_cbranch_vccnz .LBB79_423
; %bb.420:
	v_cmp_gt_i16_e32 vcc, 3, v4
	s_cbranch_vccnz .LBB79_424
; %bb.421:
	v_cmp_lt_i16_e32 vcc, 3, v4
	s_cbranch_vccz .LBB79_425
; %bb.422:
	global_load_dwordx2 v[10:11], v[2:3], off
	s_mov_b64 s[0:1], 0
	s_waitcnt vmcnt(0)
	v_xor_b32_e32 v7, v10, v11
	v_ffbh_i32_e32 v1, v11
	v_ashrrev_i32_e32 v7, 31, v7
	v_add_u32_e32 v1, -1, v1
	v_add_u32_e32 v7, 32, v7
	v_min_u32_e32 v1, v1, v7
	v_lshlrev_b64 v[10:11], v1, v[10:11]
	v_min_u32_e32 v7, 1, v10
	v_or_b32_e32 v7, v11, v7
	v_cvt_f32_i32_e32 v7, v7
	v_sub_u32_e32 v1, 32, v1
	v_ldexp_f32 v1, v7, v1
	s_branch .LBB79_426
.LBB79_423:
	s_mov_b64 s[0:1], -1
                                        ; implicit-def: $vgpr1
	s_branch .LBB79_432
.LBB79_424:
	s_mov_b64 s[0:1], -1
                                        ; implicit-def: $vgpr1
	s_branch .LBB79_429
.LBB79_425:
	s_mov_b64 s[0:1], -1
                                        ; implicit-def: $vgpr1
.LBB79_426:
	s_andn2_b64 vcc, exec, s[0:1]
	s_cbranch_vccnz .LBB79_428
; %bb.427:
	global_load_dword v1, v[2:3], off
	s_waitcnt vmcnt(0)
	v_cvt_f32_i32_e32 v1, v1
.LBB79_428:
	s_mov_b64 s[0:1], 0
.LBB79_429:
	s_andn2_b64 vcc, exec, s[0:1]
	s_cbranch_vccnz .LBB79_431
; %bb.430:
	global_load_sshort v1, v[2:3], off
	s_waitcnt vmcnt(0)
	v_cvt_f32_i32_e32 v1, v1
.LBB79_431:
	s_mov_b64 s[0:1], 0
.LBB79_432:
	s_andn2_b64 vcc, exec, s[0:1]
	s_cbranch_vccnz .LBB79_438
; %bb.433:
	v_cmp_lt_i16_e32 vcc, 0, v4
	s_cbranch_vccz .LBB79_435
; %bb.434:
	global_load_sbyte v1, v[2:3], off
	s_mov_b64 s[0:1], 0
	s_waitcnt vmcnt(0)
	v_cvt_f32_i32_e32 v1, v1
	s_branch .LBB79_436
.LBB79_435:
	s_mov_b64 s[0:1], -1
                                        ; implicit-def: $vgpr1
.LBB79_436:
	s_andn2_b64 vcc, exec, s[0:1]
	s_cbranch_vccnz .LBB79_438
; %bb.437:
	global_load_ubyte v1, v[2:3], off
	s_waitcnt vmcnt(0)
	v_cvt_f32_ubyte0_e32 v1, v1
.LBB79_438:
	s_branch .LBB79_288
.LBB79_439:
	s_mov_b64 s[8:9], 0
	s_mov_b64 s[0:1], s[70:71]
	s_branch .LBB79_522
.LBB79_440:
	s_mov_b64 s[10:11], -1
	s_mov_b64 s[8:9], 0
                                        ; implicit-def: $vgpr3
.LBB79_441:
	s_andn2_b64 vcc, exec, s[10:11]
                                        ; implicit-def: $sgpr10
	s_cbranch_vccnz .LBB79_443
; %bb.442:
	s_mov_b32 s10, 0
	v_mov_b32_e32 v3, v6
	s_mov_b64 s[8:9], s[54:55]
.LBB79_443:
	s_andn2_b64 vcc, exec, s[8:9]
	v_mov_b32_e32 v7, s10
	s_cbranch_vccnz .LBB79_445
; %bb.444:
	v_lshrrev_b32_e32 v7, 24, v2
	s_movk_i32 s8, 0x80
	v_and_or_b32 v7, v7, s8, v3
.LBB79_445:
	global_store_byte v[0:1], v7, off
.LBB79_446:
	s_mov_b64 s[8:9], -1
.LBB79_447:
	s_mov_b64 s[10:11], 0
.LBB79_448:
	s_and_b64 vcc, exec, s[10:11]
	s_cbranch_vccz .LBB79_479
; %bb.449:
	v_mov_b32_e32 v3, 22
	v_cmp_gt_i16_sdwa s[12:13], s61, v3 src0_sel:BYTE_0 src1_sel:DWORD
	s_mov_b64 s[10:11], -1
	s_and_b64 vcc, exec, s[12:13]
	s_cbranch_vccz .LBB79_471
; %bb.450:
	v_mov_b32_e32 v3, 24
	v_cmp_lt_i16_sdwa s[10:11], s61, v3 src0_sel:BYTE_0 src1_sel:DWORD
	s_mov_b64 s[8:9], -1
	s_and_b64 vcc, exec, s[10:11]
	s_cbranch_vccnz .LBB79_466
; %bb.451:
	v_cmp_gt_i16_sdwa s[10:11], s61, v3 src0_sel:BYTE_0 src1_sel:DWORD
	s_and_b64 vcc, exec, s[10:11]
	s_cbranch_vccz .LBB79_461
; %bb.452:
	s_andn2_b64 vcc, exec, s[52:53]
	v_mov_b32_e32 v7, 0x80
	s_cbranch_vccnz .LBB79_460
; %bb.453:
	s_andn2_b64 vcc, exec, s[50:51]
	s_cbranch_vccnz .LBB79_455
; %bb.454:
	v_bfe_u32 v3, v2, 21, 1
	s_mov_b32 s8, 0x88fffff
	v_add3_u32 v3, v2, v3, s8
	v_lshrrev_b32_e32 v3, 21, v3
	s_mov_b64 s[10:11], 0
	s_mov_b64 s[8:9], -1
	s_branch .LBB79_456
.LBB79_455:
	s_mov_b64 s[10:11], -1
	s_mov_b64 s[8:9], 0
                                        ; implicit-def: $vgpr3
.LBB79_456:
	s_andn2_b64 vcc, exec, s[10:11]
                                        ; implicit-def: $sgpr10
	s_cbranch_vccnz .LBB79_458
; %bb.457:
	s_mov_b32 s10, 0
	v_mov_b32_e32 v3, v5
	s_mov_b64 s[8:9], s[18:19]
.LBB79_458:
	s_andn2_b64 vcc, exec, s[8:9]
	v_mov_b32_e32 v7, s10
	s_cbranch_vccnz .LBB79_460
; %bb.459:
	v_lshrrev_b32_e32 v7, 24, v2
	s_movk_i32 s8, 0x80
	v_and_or_b32 v7, v7, s8, v3
.LBB79_460:
	s_mov_b64 s[8:9], 0
	global_store_byte v[0:1], v7, off
.LBB79_461:
	s_and_b64 vcc, exec, s[8:9]
	s_cbranch_vccz .LBB79_465
; %bb.462:
	s_add_i32 s10, s93, 0xbc100000
	s_and_b64 s[8:9], s[46:47], exec
	s_cselect_b32 s8, s63, s62
	s_cmp_lt_u32 s10, 0xf8900000
	v_mov_b32_e32 v3, s8
	s_cbranch_scc1 .LBB79_464
; %bb.463:
	v_bfe_u32 v3, v2, 20, 1
	s_mov_b32 s8, 0x407ffff
	v_add3_u32 v3, v2, v3, s8
	v_lshrrev_b32_e32 v7, 20, v3
	v_and_b32_e32 v3, 0xff00000, v3
	s_mov_b32 s8, 0x7f00000
	v_mov_b32_e32 v9, 0x7e
	v_cmp_ne_u32_e32 vcc, s8, v3
	v_cndmask_b32_e32 v3, v9, v7, vcc
.LBB79_464:
	v_lshrrev_b32_e32 v7, 24, v2
	s_movk_i32 s8, 0x80
	v_and_or_b32 v3, v7, s8, v3
	global_store_byte v[0:1], v3, off
.LBB79_465:
	s_mov_b64 s[8:9], 0
.LBB79_466:
	s_andn2_b64 vcc, exec, s[8:9]
	s_cbranch_vccnz .LBB79_470
; %bb.467:
	s_add_i32 s10, s93, 0xb8800000
	s_and_b64 s[8:9], s[44:45], exec
	s_cselect_b32 s8, s59, s58
	s_cmp_lt_u32 s10, 0xf1000000
	v_mov_b32_e32 v3, s8
	s_cbranch_scc1 .LBB79_469
; %bb.468:
	v_bfe_u32 v3, v2, 21, 1
	s_mov_b32 s8, 0x80fffff
	v_add3_u32 v3, v2, v3, s8
	v_lshrrev_b32_e32 v3, 21, v3
.LBB79_469:
	v_lshrrev_b32_e32 v7, 24, v2
	s_movk_i32 s8, 0x80
	v_and_or_b32 v3, v7, s8, v3
	global_store_byte v[0:1], v3, off
.LBB79_470:
	s_mov_b64 s[10:11], 0
	s_mov_b64 s[8:9], -1
.LBB79_471:
	s_andn2_b64 vcc, exec, s[10:11]
	s_cbranch_vccnz .LBB79_479
; %bb.472:
	v_mov_b32_e32 v3, 14
	v_cmp_gt_i16_sdwa s[12:13], s61, v3 src0_sel:BYTE_0 src1_sel:DWORD
	s_mov_b64 s[10:11], -1
	s_and_b64 vcc, exec, s[12:13]
	s_cbranch_vccz .LBB79_476
; %bb.473:
	v_mov_b32_e32 v3, 15
	v_cmp_eq_u16_sdwa s[10:11], s61, v3 src0_sel:BYTE_0 src1_sel:DWORD
	s_mov_b64 s[0:1], -1
	s_and_b64 vcc, exec, s[10:11]
	s_cbranch_vccz .LBB79_475
; %bb.474:
	v_bfe_u32 v3, v2, 16, 1
	s_movk_i32 s0, 0x7fff
	v_add3_u32 v3, v2, v3, s0
	v_lshrrev_b32_e32 v3, 16, v3
	v_mov_b32_e32 v7, 0x7fc0
	v_cmp_o_f32_e32 vcc, v2, v2
	v_cndmask_b32_e32 v3, v7, v3, vcc
	global_store_short v[0:1], v3, off
	s_mov_b64 s[8:9], -1
	s_mov_b64 s[0:1], 0
.LBB79_475:
	s_mov_b64 s[10:11], 0
.LBB79_476:
	s_and_b64 vcc, exec, s[10:11]
	s_cbranch_vccz .LBB79_479
; %bb.477:
	v_mov_b32_e32 v3, 11
	v_cmp_eq_u16_sdwa s[10:11], s61, v3 src0_sel:BYTE_0 src1_sel:DWORD
	s_mov_b64 s[0:1], -1
	s_and_b64 vcc, exec, s[10:11]
	s_cbranch_vccz .LBB79_479
; %bb.478:
	v_cmp_neq_f32_e32 vcc, 0, v2
	v_cndmask_b32_e64 v3, 0, 1, vcc
	global_store_byte v[0:1], v3, off
	s_mov_b64 s[8:9], -1
	s_mov_b64 s[0:1], 0
.LBB79_479:
	s_mov_b64 s[10:11], 0
.LBB79_480:
	s_and_b64 vcc, exec, s[10:11]
	s_cbranch_vccz .LBB79_519
; %bb.481:
	v_mov_b32_e32 v3, 5
	v_cmp_lt_i16_sdwa s[10:11], s61, v3 src0_sel:BYTE_0 src1_sel:DWORD
	s_mov_b64 s[8:9], -1
	s_and_b64 vcc, exec, s[10:11]
	s_cbranch_vccnz .LBB79_502
; %bb.482:
	v_mov_b32_e32 v3, 8
	v_cmp_lt_i16_sdwa s[10:11], s61, v3 src0_sel:BYTE_0 src1_sel:DWORD
	s_and_b64 vcc, exec, s[10:11]
	s_cbranch_vccnz .LBB79_492
; %bb.483:
	v_mov_b32_e32 v3, 9
	v_cmp_lt_i16_sdwa s[10:11], s61, v3 src0_sel:BYTE_0 src1_sel:DWORD
	s_and_b64 vcc, exec, s[10:11]
	s_cbranch_vccnz .LBB79_489
; %bb.484:
	v_cmp_gt_i16_sdwa s[10:11], s61, v3 src0_sel:BYTE_0 src1_sel:DWORD
	s_and_b64 vcc, exec, s[10:11]
	s_cbranch_vccz .LBB79_486
; %bb.485:
	v_mov_b32_e32 v12, 0
	v_cvt_f64_f32_e32 v[10:11], v2
	v_mov_b32_e32 v13, v12
	s_mov_b64 s[8:9], 0
	global_store_dwordx4 v[0:1], v[10:13], off
.LBB79_486:
	s_andn2_b64 vcc, exec, s[8:9]
	s_cbranch_vccnz .LBB79_488
; %bb.487:
	v_mov_b32_e32 v3, 0
	global_store_dwordx2 v[0:1], v[2:3], off
.LBB79_488:
	s_mov_b64 s[8:9], 0
.LBB79_489:
	s_andn2_b64 vcc, exec, s[8:9]
	s_cbranch_vccnz .LBB79_491
; %bb.490:
	v_cvt_f16_f32_e32 v3, v2
	global_store_dword v[0:1], v3, off
.LBB79_491:
	s_mov_b64 s[8:9], 0
.LBB79_492:
	s_andn2_b64 vcc, exec, s[8:9]
	s_cbranch_vccnz .LBB79_501
; %bb.493:
	v_mov_b32_e32 v3, 6
	v_cmp_lt_i16_sdwa s[10:11], s61, v3 src0_sel:BYTE_0 src1_sel:DWORD
	s_mov_b64 s[8:9], -1
	s_and_b64 vcc, exec, s[10:11]
	s_cbranch_vccnz .LBB79_499
; %bb.494:
	v_cmp_gt_i16_sdwa s[10:11], s61, v3 src0_sel:BYTE_0 src1_sel:DWORD
	s_and_b64 vcc, exec, s[10:11]
	s_cbranch_vccz .LBB79_496
; %bb.495:
	v_cvt_f64_f32_e32 v[10:11], v2
	s_mov_b64 s[8:9], 0
	global_store_dwordx2 v[0:1], v[10:11], off
.LBB79_496:
	s_andn2_b64 vcc, exec, s[8:9]
	s_cbranch_vccnz .LBB79_498
; %bb.497:
	global_store_dword v[0:1], v2, off
.LBB79_498:
	s_mov_b64 s[8:9], 0
.LBB79_499:
	s_andn2_b64 vcc, exec, s[8:9]
	s_cbranch_vccnz .LBB79_501
; %bb.500:
	v_cvt_f16_f32_e32 v3, v2
	global_store_short v[0:1], v3, off
.LBB79_501:
	s_mov_b64 s[8:9], 0
.LBB79_502:
	s_andn2_b64 vcc, exec, s[8:9]
	s_cbranch_vccnz .LBB79_518
; %bb.503:
	v_mov_b32_e32 v3, 2
	v_cmp_lt_i16_sdwa s[10:11], s61, v3 src0_sel:BYTE_0 src1_sel:DWORD
	s_mov_b64 s[8:9], -1
	s_and_b64 vcc, exec, s[10:11]
	s_cbranch_vccnz .LBB79_513
; %bb.504:
	v_mov_b32_e32 v3, 3
	v_cmp_lt_i16_sdwa s[10:11], s61, v3 src0_sel:BYTE_0 src1_sel:DWORD
	s_and_b64 vcc, exec, s[10:11]
	s_cbranch_vccnz .LBB79_510
; %bb.505:
	v_cmp_gt_i16_sdwa s[10:11], s61, v3 src0_sel:BYTE_0 src1_sel:DWORD
	s_and_b64 vcc, exec, s[10:11]
	s_cbranch_vccz .LBB79_507
; %bb.506:
	v_trunc_f32_e32 v3, v2
	s_mov_b32 s8, 0x2f800000
	v_mul_f32_e64 v7, |v3|, s8
	v_floor_f32_e32 v7, v7
	s_mov_b32 s8, 0xcf800000
	v_cvt_u32_f32_e32 v9, v7
	v_fma_f32 v7, v7, s8, |v3|
	v_cvt_u32_f32_e32 v7, v7
	v_ashrrev_i32_e32 v3, 31, v3
	v_xor_b32_e32 v9, v9, v3
	s_mov_b64 s[8:9], 0
	v_xor_b32_e32 v7, v7, v3
	v_sub_co_u32_e32 v10, vcc, v7, v3
	v_subb_co_u32_e32 v11, vcc, v9, v3, vcc
	global_store_dwordx2 v[0:1], v[10:11], off
.LBB79_507:
	s_andn2_b64 vcc, exec, s[8:9]
	s_cbranch_vccnz .LBB79_509
; %bb.508:
	v_cvt_i32_f32_e32 v3, v2
	global_store_dword v[0:1], v3, off
.LBB79_509:
	s_mov_b64 s[8:9], 0
.LBB79_510:
	s_andn2_b64 vcc, exec, s[8:9]
	s_cbranch_vccnz .LBB79_512
; %bb.511:
	v_cvt_i32_f32_e32 v3, v2
	global_store_short v[0:1], v3, off
.LBB79_512:
	s_mov_b64 s[8:9], 0
.LBB79_513:
	s_andn2_b64 vcc, exec, s[8:9]
	s_cbranch_vccnz .LBB79_518
; %bb.514:
	v_mov_b32_e32 v3, 0
	v_cmp_gt_i16_sdwa s[10:11], s61, v3 src0_sel:BYTE_0 src1_sel:DWORD
	s_mov_b64 s[8:9], -1
	s_and_b64 vcc, exec, s[10:11]
	s_cbranch_vccz .LBB79_516
; %bb.515:
	v_cvt_i32_f32_e32 v3, v2
	s_mov_b64 s[8:9], 0
	global_store_byte v[0:1], v3, off
.LBB79_516:
	s_andn2_b64 vcc, exec, s[8:9]
	s_cbranch_vccnz .LBB79_518
; %bb.517:
	v_trunc_f32_e32 v2, v2
	s_mov_b32 s8, 0x2f800000
	v_mul_f32_e64 v3, |v2|, s8
	v_floor_f32_e32 v3, v3
	s_mov_b32 s8, 0xcf800000
	v_fma_f32 v3, v3, s8, |v2|
	v_cvt_u32_f32_e32 v3, v3
	v_ashrrev_i32_e32 v2, 31, v2
	v_xor_b32_e32 v3, v3, v2
	v_sub_u32_e32 v2, v3, v2
	global_store_byte v[0:1], v2, off
.LBB79_518:
	s_mov_b64 s[8:9], -1
.LBB79_519:
	s_andn2_b64 vcc, exec, s[8:9]
	s_cbranch_vccnz .LBB79_521
; %bb.520:
	v_add_u32_e32 v8, 0x80, v8
	s_mov_b64 s[8:9], -1
	s_branch .LBB79_523
.LBB79_521:
	s_mov_b64 s[8:9], 0
.LBB79_522:
                                        ; implicit-def: $vgpr8
.LBB79_523:
	s_andn2_b64 s[10:11], s[70:71], exec
	s_and_b64 s[0:1], s[0:1], exec
	s_or_b64 s[78:79], s[10:11], s[0:1]
	s_andn2_b64 s[0:1], s[72:73], exec
	s_and_b64 s[2:3], s[2:3], exec
	s_or_b64 s[76:77], s[0:1], s[2:3]
	s_orn2_b64 s[0:1], s[8:9], exec
.LBB79_524:
	s_or_b64 exec, exec, s[80:81]
	s_mov_b64 s[2:3], 0
	s_mov_b64 s[8:9], 0
	;; [unrolled: 1-line block ×3, first 2 shown]
                                        ; implicit-def: $vgpr2_vgpr3
                                        ; implicit-def: $vgpr0
                                        ; implicit-def: $vgpr7
	s_and_saveexec_b64 s[80:81], s[0:1]
	s_cbranch_execz .LBB79_885
; %bb.525:
	v_cmp_gt_i32_e32 vcc, s90, v8
	s_mov_b64 s[2:3], -1
	s_mov_b64 s[84:85], s[76:77]
	s_mov_b64 s[86:87], s[78:79]
	s_and_saveexec_b64 s[82:83], vcc
	s_cbranch_execz .LBB79_788
; %bb.526:
	s_andn2_b64 vcc, exec, s[40:41]
	s_cbranch_vccnz .LBB79_532
; %bb.527:
	s_mov_b32 s84, 0
	s_andn2_b64 vcc, exec, s[68:69]
	v_mov_b32_e32 v2, 0
	v_mov_b32_e32 v0, 0
	s_cbranch_vccnz .LBB79_538
; %bb.528:
	s_add_i32 vcc_lo, s91, 1
	s_cmp_eq_u32 s92, 2
	s_cbranch_scc1 .LBB79_533
; %bb.529:
	s_mov_b64 s[48:49], s[20:21]
	s_mov_b64 s[94:95], s[44:45]
	s_mov_b64 s[44:45], s[56:57]
	s_mov_b64 s[56:57], s[54:55]
	s_mov_b64 s[54:55], s[52:53]
	s_mov_b32 s52, s63
	s_mov_b32 vcc_hi, s62
	s_mov_b64 s[62:63], s[46:47]
	s_mov_b64 s[46:47], s[50:51]
	;; [unrolled: 1-line block ×3, first 2 shown]
	s_and_b32 s84, vcc_lo, 28
	s_mov_b32 s85, 0
	v_mov_b32_e32 v0, 0
	s_mov_b64 s[86:87], s[34:35]
	s_mov_b64 s[88:89], s[66:67]
	v_mov_b32_e32 v3, v8
	v_mov_b32_e32 v2, 0
.LBB79_530:                             ; =>This Inner Loop Header: Depth=1
	s_load_dwordx8 s[16:23], s[86:87], 0x4
	s_load_dwordx4 s[0:3], s[86:87], 0x24
	s_load_dwordx8 s[8:15], s[88:89], 0x0
	s_add_u32 s86, s86, 48
	s_addc_u32 s87, s87, 0
	s_waitcnt vmcnt(0) lgkmcnt(0)
	v_mul_hi_u32 v1, s17, v3
	v_add_u32_e32 v1, v3, v1
	v_lshrrev_b32_e32 v1, s18, v1
	v_mul_lo_u32 v7, v1, s16
	v_mul_hi_u32 v9, s20, v1
	v_sub_u32_e32 v3, v3, v7
	v_add_u32_e32 v7, v1, v9
	v_lshrrev_b32_e32 v7, s21, v7
	v_mul_lo_u32 v10, v7, s19
	v_mul_hi_u32 v11, s23, v7
	v_sub_u32_e32 v1, v1, v10
	v_add_u32_e32 v10, v7, v11
	v_mul_lo_u32 v9, v3, s9
	v_mul_lo_u32 v3, v3, s8
	;; [unrolled: 1-line block ×4, first 2 shown]
	v_lshrrev_b32_e32 v10, s0, v10
	v_add3_u32 v0, v3, v0, v1
	v_mul_hi_u32 v3, s2, v10
	v_add_u32_e32 v3, v10, v3
	v_lshrrev_b32_e32 v3, s3, v3
	s_add_i32 s85, s85, 4
	v_add3_u32 v1, v9, v2, v11
	v_mul_lo_u32 v2, v10, s22
	v_mul_lo_u32 v9, v3, s1
	s_add_u32 s88, s88, 32
	v_sub_u32_e32 v2, v7, v2
	v_sub_u32_e32 v9, v10, v9
	s_addc_u32 s89, s89, 0
	v_mul_lo_u32 v7, v2, s12
	v_mul_lo_u32 v2, v2, s13
	;; [unrolled: 1-line block ×4, first 2 shown]
	s_cmp_eq_u32 s84, s85
	v_add3_u32 v2, v2, v1, v9
	v_add3_u32 v0, v7, v0, v10
	s_cbranch_scc0 .LBB79_530
; %bb.531:
	s_load_dwordx2 s[88:89], s[34:35], 0x14
	v_mov_b32_e32 v1, v2
	s_mov_b64 s[18:19], s[50:51]
	s_mov_b64 s[50:51], s[46:47]
	;; [unrolled: 1-line block ×3, first 2 shown]
	s_mov_b32 s62, vcc_hi
	s_mov_b32 s63, s52
	s_mov_b64 s[52:53], s[54:55]
	s_mov_b64 s[54:55], s[56:57]
	s_mov_b64 s[56:57], s[44:45]
	s_mov_b64 s[44:45], s[94:95]
	s_mov_b64 s[20:21], s[48:49]
	s_branch .LBB79_534
.LBB79_532:
	s_mov_b64 s[0:1], -1
                                        ; implicit-def: $vgpr2
                                        ; implicit-def: $vgpr0
	s_branch .LBB79_539
.LBB79_533:
	s_mov_b32 s85, s84
	s_waitcnt vmcnt(0)
	v_pk_mov_b32 v[0:1], s[84:85], s[84:85] op_sel:[0,1]
                                        ; implicit-def: $vgpr2
	v_mov_b32_e32 v3, v8
.LBB79_534:
	s_and_b32 s8, vcc_lo, 3
	s_cmp_eq_u32 s8, 0
	s_cbranch_scc1 .LBB79_538
; %bb.535:
	s_lshl_b32 s0, s84, 3
	s_add_u32 s0, s0, s34
	s_addc_u32 s1, s35, 0
	s_add_u32 s0, s0, 0xc4
	s_addc_u32 s1, s1, 0
	s_mul_i32 s2, s84, 12
	s_add_u32 s2, s34, s2
	s_addc_u32 s3, s35, 0
.LBB79_536:                             ; =>This Inner Loop Header: Depth=1
	s_load_dwordx2 s[10:11], s[2:3], 0x4
	s_load_dword s9, s[2:3], 0xc
	s_load_dwordx2 s[12:13], s[0:1], 0x0
	v_mov_b32_e32 v2, v1
	s_add_u32 s2, s2, 12
	s_waitcnt lgkmcnt(0)
	v_mul_hi_u32 v1, s11, v3
	v_add_u32_e32 v1, v3, v1
	v_lshrrev_b32_e32 v1, s9, v1
	s_addc_u32 s3, s3, 0
	v_mul_lo_u32 v7, v1, s10
	s_add_u32 s0, s0, 8
	v_sub_u32_e32 v7, v3, v7
	v_mov_b32_e32 v3, v1
	s_addc_u32 s1, s1, 0
	s_add_i32 s8, s8, -1
	v_mad_u64_u32 v[10:11], s[10:11], v7, s13, v[2:3]
	v_mad_u64_u32 v[0:1], s[10:11], v7, s12, v[0:1]
	s_cmp_lg_u32 s8, 0
	v_mov_b32_e32 v1, v10
	s_cbranch_scc1 .LBB79_536
; %bb.537:
	v_mov_b32_e32 v2, v1
.LBB79_538:
	s_mov_b64 s[0:1], 0
.LBB79_539:
	s_andn2_b64 vcc, exec, s[0:1]
	s_cbranch_vccnz .LBB79_542
; %bb.540:
	v_mul_hi_u32 v0, s29, v8
	v_add_u32_e32 v0, v8, v0
	s_waitcnt vmcnt(0)
	v_lshrrev_b32_e32 v1, s30, v0
	v_mul_lo_u32 v0, v1, s28
	v_sub_u32_e32 v0, v8, v0
	s_waitcnt lgkmcnt(0)
	v_mul_lo_u32 v2, v0, s37
	s_andn2_b64 vcc, exec, s[64:65]
	v_mul_lo_u32 v0, v0, s36
	s_cbranch_vccnz .LBB79_542
; %bb.541:
	v_mul_hi_u32 v3, s88, v1
	v_add_u32_e32 v3, v1, v3
	v_lshrrev_b32_e32 v3, s89, v3
	v_mul_lo_u32 v3, v3, s31
	v_sub_u32_e32 v3, v1, v3
	v_mad_u64_u32 v[0:1], s[0:1], v3, s38, v[0:1]
	v_mad_u64_u32 v[2:3], s[0:1], v3, s39, v[2:3]
.LBB79_542:
	s_waitcnt vmcnt(0) lgkmcnt(0)
	v_mov_b32_e32 v1, s27
	v_add_co_u32_e32 v2, vcc, s26, v2
	v_addc_co_u32_e32 v3, vcc, 0, v1, vcc
	v_cmp_gt_i16_e32 vcc, 11, v4
	s_cbranch_vccnz .LBB79_549
; %bb.543:
	v_cmp_lt_i16_e32 vcc, 25, v4
	s_cbranch_vccz .LBB79_550
; %bb.544:
	v_cmp_lt_i16_e32 vcc, 28, v4
	s_cbranch_vccz .LBB79_551
	;; [unrolled: 3-line block ×4, first 2 shown]
; %bb.547:
	v_cmp_eq_u16_e32 vcc, 46, v4
	s_mov_b64 s[8:9], 0
	s_cbranch_vccz .LBB79_554
; %bb.548:
	global_load_dword v1, v[2:3], off
	s_mov_b64 s[0:1], -1
	s_mov_b64 s[2:3], 0
	s_waitcnt vmcnt(0)
	v_lshlrev_b32_e32 v1, 16, v1
	s_branch .LBB79_555
.LBB79_549:
	s_mov_b64 s[8:9], -1
	s_mov_b64 s[0:1], 0
                                        ; implicit-def: $vgpr1
	s_mov_b64 s[2:3], s[76:77]
	s_branch .LBB79_620
.LBB79_550:
	s_mov_b64 s[8:9], -1
	s_mov_b64 s[0:1], 0
	s_mov_b64 s[2:3], s[76:77]
                                        ; implicit-def: $vgpr1
	s_branch .LBB79_584
.LBB79_551:
	s_mov_b64 s[8:9], -1
	s_mov_b64 s[0:1], 0
	s_mov_b64 s[2:3], s[76:77]
                                        ; implicit-def: $vgpr1
	s_branch .LBB79_565
.LBB79_552:
	s_mov_b64 s[8:9], -1
	s_mov_b64 s[0:1], 0
	s_mov_b64 s[2:3], s[76:77]
                                        ; implicit-def: $vgpr1
	s_branch .LBB79_560
.LBB79_553:
	s_mov_b64 s[8:9], -1
	s_mov_b64 s[0:1], 0
	s_mov_b64 s[2:3], s[76:77]
                                        ; implicit-def: $vgpr1
	s_branch .LBB79_555
.LBB79_554:
	s_mov_b64 s[2:3], -1
                                        ; implicit-def: $vgpr1
	s_mov_b64 s[0:1], 0
.LBB79_555:
	s_and_b64 vcc, exec, s[8:9]
	s_cbranch_vccz .LBB79_559
; %bb.556:
	v_cmp_eq_u16_e32 vcc, 44, v4
	s_cbranch_vccz .LBB79_558
; %bb.557:
	global_load_ubyte v1, v[2:3], off
	s_movk_i32 s2, 0xff
	v_mov_b32_e32 v7, 0x7f800001
	v_mov_b32_e32 v9, 0x400000
	s_mov_b64 s[0:1], -1
	s_waitcnt vmcnt(0)
	v_lshlrev_b32_e32 v10, 23, v1
	v_cmp_ne_u32_e32 vcc, s2, v1
	v_cndmask_b32_e32 v7, v7, v10, vcc
	v_cmp_ne_u32_e32 vcc, 0, v1
	v_cndmask_b32_e32 v1, v9, v7, vcc
	s_mov_b64 s[2:3], 0
	s_branch .LBB79_559
.LBB79_558:
	s_mov_b64 s[2:3], -1
                                        ; implicit-def: $vgpr1
.LBB79_559:
	s_mov_b64 s[8:9], 0
.LBB79_560:
	s_and_b64 vcc, exec, s[8:9]
	s_cbranch_vccz .LBB79_564
; %bb.561:
	v_cmp_eq_u16_e32 vcc, 29, v4
	s_cbranch_vccz .LBB79_563
; %bb.562:
	global_load_dwordx2 v[10:11], v[2:3], off
	s_mov_b64 s[0:1], -1
	s_mov_b64 s[2:3], 0
	s_mov_b64 s[8:9], 0
	s_waitcnt vmcnt(0)
	v_ffbh_u32_e32 v1, v11
	v_min_u32_e32 v1, 32, v1
	v_lshlrev_b64 v[10:11], v1, v[10:11]
	v_min_u32_e32 v7, 1, v10
	v_or_b32_e32 v7, v11, v7
	v_cvt_f32_u32_e32 v7, v7
	v_sub_u32_e32 v1, 32, v1
	v_ldexp_f32 v1, v7, v1
	s_branch .LBB79_565
.LBB79_563:
	s_mov_b64 s[2:3], -1
                                        ; implicit-def: $vgpr1
.LBB79_564:
	s_mov_b64 s[8:9], 0
.LBB79_565:
	s_and_b64 vcc, exec, s[8:9]
	s_cbranch_vccz .LBB79_583
; %bb.566:
	v_cmp_gt_i16_e32 vcc, 27, v4
	s_cbranch_vccnz .LBB79_569
; %bb.567:
	v_cmp_lt_i16_e32 vcc, 27, v4
	s_cbranch_vccz .LBB79_570
; %bb.568:
	global_load_dword v1, v[2:3], off
	s_mov_b64 s[0:1], 0
	s_waitcnt vmcnt(0)
	v_cvt_f32_u32_e32 v1, v1
	s_branch .LBB79_571
.LBB79_569:
	s_mov_b64 s[0:1], -1
                                        ; implicit-def: $vgpr1
	s_branch .LBB79_574
.LBB79_570:
	s_mov_b64 s[0:1], -1
                                        ; implicit-def: $vgpr1
.LBB79_571:
	s_andn2_b64 vcc, exec, s[0:1]
	s_cbranch_vccnz .LBB79_573
; %bb.572:
	global_load_ushort v1, v[2:3], off
	s_waitcnt vmcnt(0)
	v_cvt_f32_u32_e32 v1, v1
.LBB79_573:
	s_mov_b64 s[0:1], 0
.LBB79_574:
	s_andn2_b64 vcc, exec, s[0:1]
	s_cbranch_vccnz .LBB79_582
; %bb.575:
	global_load_ubyte v7, v[2:3], off
	s_movk_i32 s0, 0x7f
                                        ; implicit-def: $sgpr12
	s_waitcnt vmcnt(0)
	v_cmp_lt_i16_e32 vcc, s0, v7
	s_mov_b64 s[0:1], 0
	s_and_saveexec_b64 s[8:9], vcc
	s_xor_b64 s[8:9], exec, s[8:9]
	s_cbranch_execz .LBB79_596
; %bb.576:
	s_movk_i32 s0, 0x80
	v_cmp_eq_u16_e32 vcc, s0, v7
	s_mov_b64 s[0:1], -1
                                        ; implicit-def: $sgpr12
	s_and_saveexec_b64 s[10:11], vcc
; %bb.577:
	s_mov_b32 s12, 0x7f800001
	s_xor_b64 s[0:1], exec, -1
; %bb.578:
	s_or_b64 exec, exec, s[10:11]
	s_and_b64 s[0:1], s[0:1], exec
	s_or_saveexec_b64 s[8:9], s[8:9]
	v_mov_b32_e32 v1, s12
	s_xor_b64 exec, exec, s[8:9]
	s_cbranch_execnz .LBB79_597
.LBB79_579:
	s_or_b64 exec, exec, s[8:9]
	s_and_saveexec_b64 s[8:9], s[0:1]
	s_cbranch_execz .LBB79_581
.LBB79_580:
	v_lshlrev_b32_e32 v1, 24, v7
	v_and_b32_e32 v7, 0xffff, v7
	v_and_b32_e32 v9, 7, v7
	v_ffbh_u32_e32 v11, v9
	v_min_u32_e32 v11, 32, v11
	v_subrev_u32_e32 v12, 28, v11
	v_bfe_u32 v10, v7, 3, 4
	v_lshlrev_b32_e32 v7, v12, v7
	v_sub_u32_e32 v11, 29, v11
	v_and_b32_e32 v7, 7, v7
	v_cmp_eq_u32_e32 vcc, 0, v10
	v_cndmask_b32_e32 v10, v10, v11, vcc
	v_cndmask_b32_e32 v7, v9, v7, vcc
	v_mov_b32_e32 v9, 0x3b800000
	v_lshlrev_b32_e32 v7, 20, v7
	v_and_b32_e32 v1, 0x80000000, v1
	v_lshl_add_u32 v9, v10, 23, v9
	v_or3_b32 v1, v1, v9, v7
.LBB79_581:
	s_or_b64 exec, exec, s[8:9]
.LBB79_582:
	s_mov_b64 s[0:1], -1
.LBB79_583:
	s_mov_b64 s[8:9], 0
.LBB79_584:
	s_and_b64 vcc, exec, s[8:9]
	s_cbranch_vccz .LBB79_619
; %bb.585:
	v_cmp_lt_i16_e32 vcc, 22, v4
	s_cbranch_vccz .LBB79_595
; %bb.586:
	v_cmp_gt_i16_e32 vcc, 24, v4
	s_cbranch_vccnz .LBB79_598
; %bb.587:
	v_cmp_lt_i16_e32 vcc, 24, v4
	s_cbranch_vccz .LBB79_599
; %bb.588:
	global_load_ubyte v7, v[2:3], off
	s_movk_i32 s0, 0x7f
                                        ; implicit-def: $sgpr12
	s_waitcnt vmcnt(0)
	v_cmp_lt_i16_e32 vcc, s0, v7
	s_mov_b64 s[0:1], 0
	s_and_saveexec_b64 s[8:9], vcc
	s_xor_b64 s[8:9], exec, s[8:9]
	s_cbranch_execz .LBB79_611
; %bb.589:
	s_movk_i32 s0, 0x80
	v_cmp_eq_u16_e32 vcc, s0, v7
	s_mov_b64 s[0:1], -1
                                        ; implicit-def: $sgpr12
	s_and_saveexec_b64 s[10:11], vcc
; %bb.590:
	s_mov_b32 s12, 0x7f800001
	s_xor_b64 s[0:1], exec, -1
; %bb.591:
	s_or_b64 exec, exec, s[10:11]
	s_and_b64 s[0:1], s[0:1], exec
	s_or_saveexec_b64 s[8:9], s[8:9]
	v_mov_b32_e32 v1, s12
	s_xor_b64 exec, exec, s[8:9]
	s_cbranch_execnz .LBB79_612
.LBB79_592:
	s_or_b64 exec, exec, s[8:9]
	s_and_saveexec_b64 s[8:9], s[0:1]
	s_cbranch_execz .LBB79_594
.LBB79_593:
	v_lshlrev_b32_e32 v1, 24, v7
	v_and_b32_e32 v7, 0xffff, v7
	v_and_b32_e32 v9, 3, v7
	v_ffbh_u32_e32 v11, v9
	v_min_u32_e32 v11, 32, v11
	v_subrev_u32_e32 v12, 29, v11
	v_bfe_u32 v10, v7, 2, 5
	v_lshlrev_b32_e32 v7, v12, v7
	v_sub_u32_e32 v11, 30, v11
	v_and_b32_e32 v7, 3, v7
	v_cmp_eq_u32_e32 vcc, 0, v10
	v_cndmask_b32_e32 v10, v10, v11, vcc
	v_cndmask_b32_e32 v7, v9, v7, vcc
	v_mov_b32_e32 v9, 0x37800000
	v_lshlrev_b32_e32 v7, 21, v7
	v_and_b32_e32 v1, 0x80000000, v1
	v_lshl_add_u32 v9, v10, 23, v9
	v_or3_b32 v1, v1, v9, v7
.LBB79_594:
	s_or_b64 exec, exec, s[8:9]
	s_mov_b64 s[0:1], 0
	s_branch .LBB79_600
.LBB79_595:
	s_mov_b64 s[8:9], -1
                                        ; implicit-def: $vgpr1
	s_branch .LBB79_606
.LBB79_596:
	s_or_saveexec_b64 s[8:9], s[8:9]
	v_mov_b32_e32 v1, s12
	s_xor_b64 exec, exec, s[8:9]
	s_cbranch_execz .LBB79_579
.LBB79_597:
	v_cmp_ne_u16_e32 vcc, 0, v7
	s_andn2_b64 s[0:1], s[0:1], exec
	s_and_b64 s[10:11], vcc, exec
	v_mov_b32_e32 v1, 0
	s_or_b64 s[0:1], s[0:1], s[10:11]
	s_or_b64 exec, exec, s[8:9]
	s_and_saveexec_b64 s[8:9], s[0:1]
	s_cbranch_execnz .LBB79_580
	s_branch .LBB79_581
.LBB79_598:
	s_mov_b64 s[0:1], -1
                                        ; implicit-def: $vgpr1
	s_branch .LBB79_603
.LBB79_599:
	s_mov_b64 s[0:1], -1
                                        ; implicit-def: $vgpr1
.LBB79_600:
	s_and_b64 vcc, exec, s[0:1]
	s_cbranch_vccz .LBB79_602
; %bb.601:
	global_load_ubyte v1, v[2:3], off
	s_mov_b32 s0, 0x7f800000
	s_waitcnt vmcnt(0)
	v_lshlrev_b32_e32 v1, 24, v1
	v_and_b32_e32 v7, 0x7f000000, v1
	v_ffbh_u32_e32 v9, v7
	v_min_u32_e32 v9, 32, v9
	v_sub_u32_e64 v9, v9, 4 clamp
	v_lshlrev_b32_e32 v11, v9, v7
	v_lshlrev_b32_e32 v9, 23, v9
	v_lshrrev_b32_e32 v11, 4, v11
	v_add_u32_e32 v10, 0x1000000, v7
	v_sub_u32_e32 v9, v11, v9
	v_ashrrev_i32_e32 v10, 8, v10
	v_add_u32_e32 v9, 0x3c000000, v9
	v_and_or_b32 v9, v10, s0, v9
	v_cmp_ne_u32_e32 vcc, 0, v7
	v_cndmask_b32_e32 v7, 0, v9, vcc
	s_brev_b32 s0, 1
	v_and_or_b32 v1, v1, s0, v7
.LBB79_602:
	s_mov_b64 s[0:1], 0
.LBB79_603:
	s_andn2_b64 vcc, exec, s[0:1]
	s_cbranch_vccnz .LBB79_605
; %bb.604:
	global_load_ubyte v1, v[2:3], off
	s_movk_i32 s0, 0x7f00
	s_brev_b32 s1, 16
	s_waitcnt vmcnt(0)
	v_lshlrev_b16_e32 v7, 8, v1
	v_lshlrev_b32_e32 v1, 25, v1
	v_lshrrev_b32_e32 v9, 4, v1
	v_and_or_b32 v10, v7, s0, 0.5
	v_or_b32_e32 v9, 0x70000000, v9
	v_add_f32_e32 v10, -0.5, v10
	v_mul_f32_e32 v9, 0x7800000, v9
	v_cmp_gt_u32_e32 vcc, s1, v1
	v_bfe_i32 v7, v7, 0, 16
	v_cndmask_b32_e32 v1, v9, v10, vcc
	s_brev_b32 s0, 1
	v_and_or_b32 v1, v7, s0, v1
.LBB79_605:
	s_mov_b64 s[8:9], 0
	s_mov_b64 s[0:1], -1
.LBB79_606:
	s_andn2_b64 vcc, exec, s[8:9]
	s_cbranch_vccnz .LBB79_619
; %bb.607:
	v_cmp_lt_i16_e32 vcc, 14, v4
	s_cbranch_vccz .LBB79_610
; %bb.608:
	v_cmp_eq_u16_e32 vcc, 15, v4
	s_cbranch_vccz .LBB79_613
; %bb.609:
	global_load_ushort v1, v[2:3], off
	s_mov_b64 s[0:1], -1
	s_mov_b64 s[2:3], 0
	s_waitcnt vmcnt(0)
	v_lshlrev_b32_e32 v1, 16, v1
	s_branch .LBB79_614
.LBB79_610:
	s_mov_b64 s[8:9], -1
                                        ; implicit-def: $vgpr1
	s_branch .LBB79_615
.LBB79_611:
	s_or_saveexec_b64 s[8:9], s[8:9]
	v_mov_b32_e32 v1, s12
	s_xor_b64 exec, exec, s[8:9]
	s_cbranch_execz .LBB79_592
.LBB79_612:
	v_cmp_ne_u16_e32 vcc, 0, v7
	s_andn2_b64 s[0:1], s[0:1], exec
	s_and_b64 s[10:11], vcc, exec
	v_mov_b32_e32 v1, 0
	s_or_b64 s[0:1], s[0:1], s[10:11]
	s_or_b64 exec, exec, s[8:9]
	s_and_saveexec_b64 s[8:9], s[0:1]
	s_cbranch_execnz .LBB79_593
	s_branch .LBB79_594
.LBB79_613:
	s_mov_b64 s[2:3], -1
                                        ; implicit-def: $vgpr1
.LBB79_614:
	s_mov_b64 s[8:9], 0
.LBB79_615:
	s_and_b64 vcc, exec, s[8:9]
	s_cbranch_vccz .LBB79_619
; %bb.616:
	v_cmp_eq_u16_e32 vcc, 11, v4
	s_cbranch_vccz .LBB79_618
; %bb.617:
	global_load_ubyte v1, v[2:3], off
	s_mov_b64 s[0:1], -1
	s_mov_b64 s[2:3], 0
	s_waitcnt vmcnt(0)
	v_cmp_ne_u16_e32 vcc, 0, v1
	v_cndmask_b32_e64 v1, 0, 1.0, vcc
	s_branch .LBB79_619
.LBB79_618:
	s_mov_b64 s[2:3], -1
                                        ; implicit-def: $vgpr1
.LBB79_619:
	s_mov_b64 s[8:9], 0
.LBB79_620:
	s_and_b64 vcc, exec, s[8:9]
	s_cbranch_vccz .LBB79_669
; %bb.621:
	v_cmp_gt_i16_e32 vcc, 5, v4
	s_cbranch_vccnz .LBB79_626
; %bb.622:
	v_cmp_gt_i16_e32 vcc, 8, v4
	s_cbranch_vccnz .LBB79_627
	;; [unrolled: 3-line block ×3, first 2 shown]
; %bb.624:
	v_cmp_lt_i16_e32 vcc, 9, v4
	s_cbranch_vccz .LBB79_629
; %bb.625:
	global_load_dwordx2 v[10:11], v[2:3], off
	s_mov_b64 s[0:1], 0
	s_waitcnt vmcnt(0)
	v_cvt_f32_f64_e32 v1, v[10:11]
	s_branch .LBB79_630
.LBB79_626:
	s_mov_b64 s[0:1], -1
                                        ; implicit-def: $vgpr1
	s_branch .LBB79_648
.LBB79_627:
	s_mov_b64 s[0:1], -1
                                        ; implicit-def: $vgpr1
	s_branch .LBB79_636
.LBB79_628:
	s_mov_b64 s[0:1], -1
                                        ; implicit-def: $vgpr1
	s_branch .LBB79_633
.LBB79_629:
	s_mov_b64 s[0:1], -1
                                        ; implicit-def: $vgpr1
.LBB79_630:
	s_andn2_b64 vcc, exec, s[0:1]
	s_cbranch_vccnz .LBB79_632
; %bb.631:
	global_load_dword v1, v[2:3], off
.LBB79_632:
	s_mov_b64 s[0:1], 0
.LBB79_633:
	s_andn2_b64 vcc, exec, s[0:1]
	s_cbranch_vccnz .LBB79_635
; %bb.634:
	global_load_dword v1, v[2:3], off
	s_waitcnt vmcnt(0)
	v_cvt_f32_f16_e32 v1, v1
.LBB79_635:
	s_mov_b64 s[0:1], 0
.LBB79_636:
	s_andn2_b64 vcc, exec, s[0:1]
	s_cbranch_vccnz .LBB79_647
; %bb.637:
	v_cmp_gt_i16_e32 vcc, 6, v4
	s_cbranch_vccnz .LBB79_640
; %bb.638:
	v_cmp_lt_i16_e32 vcc, 6, v4
	s_cbranch_vccz .LBB79_641
; %bb.639:
	global_load_dwordx2 v[10:11], v[2:3], off
	s_mov_b64 s[0:1], 0
	s_waitcnt vmcnt(0)
	v_cvt_f32_f64_e32 v1, v[10:11]
	s_branch .LBB79_642
.LBB79_640:
	s_mov_b64 s[0:1], -1
                                        ; implicit-def: $vgpr1
	s_branch .LBB79_645
.LBB79_641:
	s_mov_b64 s[0:1], -1
                                        ; implicit-def: $vgpr1
.LBB79_642:
	s_andn2_b64 vcc, exec, s[0:1]
	s_cbranch_vccnz .LBB79_644
; %bb.643:
	global_load_dword v1, v[2:3], off
.LBB79_644:
	s_mov_b64 s[0:1], 0
.LBB79_645:
	s_andn2_b64 vcc, exec, s[0:1]
	s_cbranch_vccnz .LBB79_647
; %bb.646:
	global_load_ushort v1, v[2:3], off
	s_waitcnt vmcnt(0)
	v_cvt_f32_f16_e32 v1, v1
.LBB79_647:
	s_mov_b64 s[0:1], 0
.LBB79_648:
	s_andn2_b64 vcc, exec, s[0:1]
	s_cbranch_vccnz .LBB79_668
; %bb.649:
	v_cmp_gt_i16_e32 vcc, 2, v4
	s_cbranch_vccnz .LBB79_653
; %bb.650:
	v_cmp_gt_i16_e32 vcc, 3, v4
	s_cbranch_vccnz .LBB79_654
; %bb.651:
	v_cmp_lt_i16_e32 vcc, 3, v4
	s_cbranch_vccz .LBB79_655
; %bb.652:
	global_load_dwordx2 v[10:11], v[2:3], off
	s_mov_b64 s[0:1], 0
	s_waitcnt vmcnt(0)
	v_xor_b32_e32 v7, v10, v11
	v_ffbh_i32_e32 v1, v11
	v_ashrrev_i32_e32 v7, 31, v7
	v_add_u32_e32 v1, -1, v1
	v_add_u32_e32 v7, 32, v7
	v_min_u32_e32 v1, v1, v7
	v_lshlrev_b64 v[10:11], v1, v[10:11]
	v_min_u32_e32 v7, 1, v10
	v_or_b32_e32 v7, v11, v7
	v_cvt_f32_i32_e32 v7, v7
	v_sub_u32_e32 v1, 32, v1
	v_ldexp_f32 v1, v7, v1
	s_branch .LBB79_656
.LBB79_653:
	s_mov_b64 s[0:1], -1
                                        ; implicit-def: $vgpr1
	s_branch .LBB79_662
.LBB79_654:
	s_mov_b64 s[0:1], -1
                                        ; implicit-def: $vgpr1
	s_branch .LBB79_659
.LBB79_655:
	s_mov_b64 s[0:1], -1
                                        ; implicit-def: $vgpr1
.LBB79_656:
	s_andn2_b64 vcc, exec, s[0:1]
	s_cbranch_vccnz .LBB79_658
; %bb.657:
	global_load_dword v1, v[2:3], off
	s_waitcnt vmcnt(0)
	v_cvt_f32_i32_e32 v1, v1
.LBB79_658:
	s_mov_b64 s[0:1], 0
.LBB79_659:
	s_andn2_b64 vcc, exec, s[0:1]
	s_cbranch_vccnz .LBB79_661
; %bb.660:
	global_load_sshort v1, v[2:3], off
	s_waitcnt vmcnt(0)
	v_cvt_f32_i32_e32 v1, v1
.LBB79_661:
	s_mov_b64 s[0:1], 0
.LBB79_662:
	s_andn2_b64 vcc, exec, s[0:1]
	s_cbranch_vccnz .LBB79_668
; %bb.663:
	v_cmp_lt_i16_e32 vcc, 0, v4
	s_cbranch_vccz .LBB79_665
; %bb.664:
	global_load_sbyte v1, v[2:3], off
	s_mov_b64 s[0:1], 0
	s_waitcnt vmcnt(0)
	v_cvt_f32_i32_e32 v1, v1
	s_branch .LBB79_666
.LBB79_665:
	s_mov_b64 s[0:1], -1
                                        ; implicit-def: $vgpr1
.LBB79_666:
	s_andn2_b64 vcc, exec, s[0:1]
	s_cbranch_vccnz .LBB79_668
; %bb.667:
	global_load_ubyte v1, v[2:3], off
	s_waitcnt vmcnt(0)
	v_cvt_f32_ubyte0_e32 v1, v1
.LBB79_668:
	s_mov_b64 s[0:1], -1
.LBB79_669:
	s_andn2_b64 vcc, exec, s[0:1]
	s_cbranch_vccnz .LBB79_677
; %bb.670:
	s_brev_b32 s0, -2
	v_mov_b32_e32 v2, s60
	s_waitcnt vmcnt(0)
	v_bfi_b32 v2, s0, v2, v1
	v_mov_b32_e32 v1, s25
	v_add_co_u32_e32 v0, vcc, s24, v0
	v_mov_b32_e32 v3, 11
	v_addc_co_u32_e32 v1, vcc, 0, v1, vcc
	v_cmp_lt_i16_sdwa s[0:1], s61, v3 src0_sel:BYTE_0 src1_sel:DWORD
	s_and_b64 vcc, exec, s[0:1]
	s_cbranch_vccnz .LBB79_678
; %bb.671:
	v_mov_b32_e32 v3, 25
	v_cmp_gt_i16_sdwa s[0:1], s61, v3 src0_sel:BYTE_0 src1_sel:DWORD
	s_and_b64 vcc, exec, s[0:1]
	s_cbranch_vccz .LBB79_679
; %bb.672:
	v_mov_b32_e32 v3, 28
	v_cmp_gt_i16_sdwa s[0:1], s61, v3 src0_sel:BYTE_0 src1_sel:DWORD
	s_and_b64 vcc, exec, s[0:1]
	s_cbranch_vccz .LBB79_680
	;; [unrolled: 5-line block ×4, first 2 shown]
; %bb.675:
	v_mov_b32_e32 v3, 46
	v_cmp_eq_u16_sdwa s[8:9], s61, v3 src0_sel:BYTE_0 src1_sel:DWORD
	s_mov_b64 s[10:11], 0
	s_mov_b64 s[0:1], -1
	s_and_b64 vcc, exec, s[8:9]
	s_mov_b64 s[8:9], 0
	s_cbranch_vccz .LBB79_683
; %bb.676:
	v_bfe_u32 v3, v2, 16, 1
	s_movk_i32 s0, 0x7fff
	v_add3_u32 v3, v2, v3, s0
	v_lshrrev_b32_e32 v3, 16, v3
	v_mov_b32_e32 v7, 0x7fc0
	v_cmp_o_f32_e32 vcc, v2, v2
	v_cndmask_b32_e32 v3, v7, v3, vcc
	global_store_dword v[0:1], v3, off
	s_mov_b64 s[8:9], -1
	s_mov_b64 s[0:1], 0
	s_branch .LBB79_683
.LBB79_677:
	s_mov_b64 s[8:9], 0
	s_mov_b64 s[0:1], s[78:79]
	s_branch .LBB79_786
.LBB79_678:
	s_mov_b64 s[10:11], -1
	s_mov_b64 s[8:9], 0
	s_mov_b64 s[0:1], s[78:79]
	s_branch .LBB79_744
.LBB79_679:
	s_mov_b64 s[10:11], -1
	s_mov_b64 s[8:9], 0
	s_mov_b64 s[0:1], s[78:79]
	s_branch .LBB79_712
.LBB79_680:
	s_mov_b64 s[10:11], -1
	s_mov_b64 s[8:9], 0
	s_mov_b64 s[0:1], s[78:79]
	s_branch .LBB79_693
.LBB79_681:
	s_mov_b64 s[10:11], -1
	s_mov_b64 s[8:9], 0
	s_mov_b64 s[0:1], s[78:79]
	s_branch .LBB79_689
.LBB79_682:
	s_mov_b64 s[10:11], -1
	s_mov_b64 s[8:9], 0
	s_mov_b64 s[0:1], s[78:79]
.LBB79_683:
	s_and_b64 vcc, exec, s[10:11]
	s_cbranch_vccz .LBB79_688
; %bb.684:
	v_mov_b32_e32 v3, 44
	v_cmp_eq_u16_sdwa s[10:11], s61, v3 src0_sel:BYTE_0 src1_sel:DWORD
	s_mov_b64 s[0:1], -1
	s_and_b64 vcc, exec, s[10:11]
	s_cbranch_vccz .LBB79_688
; %bb.685:
	v_bfe_u32 v3, v2, 23, 8
	s_movk_i32 s0, 0xff
	v_cmp_ne_u32_e32 vcc, s0, v3
	v_mov_b32_e32 v7, 0xff
	s_and_saveexec_b64 s[8:9], vcc
; %bb.686:
	s_mov_b32 s0, 0x3fffff
	v_and_b32_e32 v9, 0x400000, v2
	v_and_or_b32 v3, v2, s0, v3
	v_cmp_ne_u32_e32 vcc, 0, v9
	v_cmp_ne_u32_e64 s[0:1], 0, v3
	s_and_b64 s[0:1], vcc, s[0:1]
	v_lshrrev_b32_e32 v7, 23, v2
	v_cndmask_b32_e64 v3, 0, 1, s[0:1]
	v_add_u32_e32 v7, v7, v3
; %bb.687:
	s_or_b64 exec, exec, s[8:9]
	s_mov_b64 s[8:9], -1
	s_mov_b64 s[0:1], 0
	global_store_byte v[0:1], v7, off
.LBB79_688:
	s_mov_b64 s[10:11], 0
.LBB79_689:
	s_and_b64 vcc, exec, s[10:11]
	s_cbranch_vccz .LBB79_692
; %bb.690:
	v_mov_b32_e32 v3, 29
	v_cmp_eq_u16_sdwa s[10:11], s61, v3 src0_sel:BYTE_0 src1_sel:DWORD
	s_mov_b64 s[0:1], -1
	s_and_b64 vcc, exec, s[10:11]
	s_cbranch_vccz .LBB79_692
; %bb.691:
	v_trunc_f32_e32 v3, v2
	v_mul_f32_e32 v7, 0x2f800000, v3
	v_floor_f32_e32 v7, v7
	v_fmac_f32_e32 v3, 0xcf800000, v7
	v_cvt_u32_f32_e32 v11, v7
	v_cvt_u32_f32_e32 v10, v3
	s_mov_b64 s[8:9], -1
	s_mov_b64 s[0:1], 0
	s_mov_b64 s[10:11], 0
	global_store_dwordx2 v[0:1], v[10:11], off
	s_branch .LBB79_693
.LBB79_692:
	s_mov_b64 s[10:11], 0
.LBB79_693:
	s_and_b64 vcc, exec, s[10:11]
	s_cbranch_vccz .LBB79_711
; %bb.694:
	v_mov_b32_e32 v3, 27
	v_cmp_lt_i16_sdwa s[10:11], s61, v3 src0_sel:BYTE_0 src1_sel:DWORD
	s_mov_b64 s[8:9], -1
	s_and_b64 vcc, exec, s[10:11]
	s_cbranch_vccnz .LBB79_700
; %bb.695:
	v_cmp_gt_i16_sdwa s[10:11], s61, v3 src0_sel:BYTE_0 src1_sel:DWORD
	v_cvt_u32_f32_e32 v3, v2
	s_and_b64 vcc, exec, s[10:11]
	s_cbranch_vccz .LBB79_697
; %bb.696:
	s_mov_b64 s[8:9], 0
	global_store_dword v[0:1], v3, off
.LBB79_697:
	s_andn2_b64 vcc, exec, s[8:9]
	s_cbranch_vccnz .LBB79_699
; %bb.698:
	global_store_short v[0:1], v3, off
.LBB79_699:
	s_mov_b64 s[8:9], 0
.LBB79_700:
	s_andn2_b64 vcc, exec, s[8:9]
	s_cbranch_vccnz .LBB79_710
; %bb.701:
	s_andn2_b64 vcc, exec, s[20:21]
	v_mov_b32_e32 v7, 0x80
	s_cbranch_vccnz .LBB79_709
; %bb.702:
	s_andn2_b64 vcc, exec, s[56:57]
	s_cbranch_vccnz .LBB79_704
; %bb.703:
	v_bfe_u32 v3, v2, 20, 1
	s_mov_b32 s8, 0x487ffff
	v_add3_u32 v3, v2, v3, s8
	v_lshrrev_b32_e32 v3, 20, v3
	s_mov_b64 s[10:11], 0
	s_mov_b64 s[8:9], -1
	s_branch .LBB79_705
.LBB79_704:
	s_mov_b64 s[10:11], -1
	s_mov_b64 s[8:9], 0
                                        ; implicit-def: $vgpr3
.LBB79_705:
	s_andn2_b64 vcc, exec, s[10:11]
                                        ; implicit-def: $sgpr10
	s_cbranch_vccnz .LBB79_707
; %bb.706:
	s_mov_b32 s10, 0
	v_mov_b32_e32 v3, v6
	s_mov_b64 s[8:9], s[54:55]
.LBB79_707:
	s_andn2_b64 vcc, exec, s[8:9]
	v_mov_b32_e32 v7, s10
	s_cbranch_vccnz .LBB79_709
; %bb.708:
	v_lshrrev_b32_e32 v7, 24, v2
	s_movk_i32 s8, 0x80
	v_and_or_b32 v7, v7, s8, v3
.LBB79_709:
	global_store_byte v[0:1], v7, off
.LBB79_710:
	s_mov_b64 s[8:9], -1
.LBB79_711:
	s_mov_b64 s[10:11], 0
.LBB79_712:
	s_and_b64 vcc, exec, s[10:11]
	s_cbranch_vccz .LBB79_743
; %bb.713:
	v_mov_b32_e32 v3, 22
	v_cmp_gt_i16_sdwa s[12:13], s61, v3 src0_sel:BYTE_0 src1_sel:DWORD
	s_mov_b64 s[10:11], -1
	s_and_b64 vcc, exec, s[12:13]
	s_cbranch_vccz .LBB79_735
; %bb.714:
	v_mov_b32_e32 v3, 24
	v_cmp_lt_i16_sdwa s[10:11], s61, v3 src0_sel:BYTE_0 src1_sel:DWORD
	s_mov_b64 s[8:9], -1
	s_and_b64 vcc, exec, s[10:11]
	s_cbranch_vccnz .LBB79_730
; %bb.715:
	v_cmp_gt_i16_sdwa s[10:11], s61, v3 src0_sel:BYTE_0 src1_sel:DWORD
	s_and_b64 vcc, exec, s[10:11]
	s_cbranch_vccz .LBB79_725
; %bb.716:
	s_andn2_b64 vcc, exec, s[52:53]
	v_mov_b32_e32 v7, 0x80
	s_cbranch_vccnz .LBB79_724
; %bb.717:
	s_andn2_b64 vcc, exec, s[50:51]
	s_cbranch_vccnz .LBB79_719
; %bb.718:
	v_bfe_u32 v3, v2, 21, 1
	s_mov_b32 s8, 0x88fffff
	v_add3_u32 v3, v2, v3, s8
	v_lshrrev_b32_e32 v3, 21, v3
	s_mov_b64 s[10:11], 0
	s_mov_b64 s[8:9], -1
	s_branch .LBB79_720
.LBB79_719:
	s_mov_b64 s[10:11], -1
	s_mov_b64 s[8:9], 0
                                        ; implicit-def: $vgpr3
.LBB79_720:
	s_andn2_b64 vcc, exec, s[10:11]
                                        ; implicit-def: $sgpr10
	s_cbranch_vccnz .LBB79_722
; %bb.721:
	s_mov_b32 s10, 0
	v_mov_b32_e32 v3, v5
	s_mov_b64 s[8:9], s[18:19]
.LBB79_722:
	s_andn2_b64 vcc, exec, s[8:9]
	v_mov_b32_e32 v7, s10
	s_cbranch_vccnz .LBB79_724
; %bb.723:
	v_lshrrev_b32_e32 v7, 24, v2
	s_movk_i32 s8, 0x80
	v_and_or_b32 v7, v7, s8, v3
.LBB79_724:
	s_mov_b64 s[8:9], 0
	global_store_byte v[0:1], v7, off
.LBB79_725:
	s_and_b64 vcc, exec, s[8:9]
	s_cbranch_vccz .LBB79_729
; %bb.726:
	s_add_i32 s10, s93, 0xbc100000
	s_and_b64 s[8:9], s[46:47], exec
	s_cselect_b32 s8, s63, s62
	s_cmp_lt_u32 s10, 0xf8900000
	v_mov_b32_e32 v3, s8
	s_cbranch_scc1 .LBB79_728
; %bb.727:
	v_bfe_u32 v3, v2, 20, 1
	s_mov_b32 s8, 0x407ffff
	v_add3_u32 v3, v2, v3, s8
	v_lshrrev_b32_e32 v7, 20, v3
	v_and_b32_e32 v3, 0xff00000, v3
	s_mov_b32 s8, 0x7f00000
	v_mov_b32_e32 v9, 0x7e
	v_cmp_ne_u32_e32 vcc, s8, v3
	v_cndmask_b32_e32 v3, v9, v7, vcc
.LBB79_728:
	v_lshrrev_b32_e32 v7, 24, v2
	s_movk_i32 s8, 0x80
	v_and_or_b32 v3, v7, s8, v3
	global_store_byte v[0:1], v3, off
.LBB79_729:
	s_mov_b64 s[8:9], 0
.LBB79_730:
	s_andn2_b64 vcc, exec, s[8:9]
	s_cbranch_vccnz .LBB79_734
; %bb.731:
	s_add_i32 s10, s93, 0xb8800000
	s_and_b64 s[8:9], s[44:45], exec
	s_cselect_b32 s8, s59, s58
	s_cmp_lt_u32 s10, 0xf1000000
	v_mov_b32_e32 v3, s8
	s_cbranch_scc1 .LBB79_733
; %bb.732:
	v_bfe_u32 v3, v2, 21, 1
	s_mov_b32 s8, 0x80fffff
	v_add3_u32 v3, v2, v3, s8
	v_lshrrev_b32_e32 v3, 21, v3
.LBB79_733:
	v_lshrrev_b32_e32 v7, 24, v2
	s_movk_i32 s8, 0x80
	v_and_or_b32 v3, v7, s8, v3
	global_store_byte v[0:1], v3, off
.LBB79_734:
	s_mov_b64 s[10:11], 0
	s_mov_b64 s[8:9], -1
.LBB79_735:
	s_andn2_b64 vcc, exec, s[10:11]
	s_cbranch_vccnz .LBB79_743
; %bb.736:
	v_mov_b32_e32 v3, 14
	v_cmp_gt_i16_sdwa s[12:13], s61, v3 src0_sel:BYTE_0 src1_sel:DWORD
	s_mov_b64 s[10:11], -1
	s_and_b64 vcc, exec, s[12:13]
	s_cbranch_vccz .LBB79_740
; %bb.737:
	v_mov_b32_e32 v3, 15
	v_cmp_eq_u16_sdwa s[10:11], s61, v3 src0_sel:BYTE_0 src1_sel:DWORD
	s_mov_b64 s[0:1], -1
	s_and_b64 vcc, exec, s[10:11]
	s_cbranch_vccz .LBB79_739
; %bb.738:
	v_bfe_u32 v3, v2, 16, 1
	s_movk_i32 s0, 0x7fff
	v_add3_u32 v3, v2, v3, s0
	v_lshrrev_b32_e32 v3, 16, v3
	v_mov_b32_e32 v7, 0x7fc0
	v_cmp_o_f32_e32 vcc, v2, v2
	v_cndmask_b32_e32 v3, v7, v3, vcc
	global_store_short v[0:1], v3, off
	s_mov_b64 s[8:9], -1
	s_mov_b64 s[0:1], 0
.LBB79_739:
	s_mov_b64 s[10:11], 0
.LBB79_740:
	s_and_b64 vcc, exec, s[10:11]
	s_cbranch_vccz .LBB79_743
; %bb.741:
	v_mov_b32_e32 v3, 11
	v_cmp_eq_u16_sdwa s[10:11], s61, v3 src0_sel:BYTE_0 src1_sel:DWORD
	s_mov_b64 s[0:1], -1
	s_and_b64 vcc, exec, s[10:11]
	s_cbranch_vccz .LBB79_743
; %bb.742:
	v_cmp_neq_f32_e32 vcc, 0, v2
	v_cndmask_b32_e64 v3, 0, 1, vcc
	global_store_byte v[0:1], v3, off
	s_mov_b64 s[8:9], -1
	s_mov_b64 s[0:1], 0
.LBB79_743:
	s_mov_b64 s[10:11], 0
.LBB79_744:
	s_and_b64 vcc, exec, s[10:11]
	s_cbranch_vccz .LBB79_783
; %bb.745:
	v_mov_b32_e32 v3, 5
	v_cmp_lt_i16_sdwa s[10:11], s61, v3 src0_sel:BYTE_0 src1_sel:DWORD
	s_mov_b64 s[8:9], -1
	s_and_b64 vcc, exec, s[10:11]
	s_cbranch_vccnz .LBB79_766
; %bb.746:
	v_mov_b32_e32 v3, 8
	v_cmp_lt_i16_sdwa s[10:11], s61, v3 src0_sel:BYTE_0 src1_sel:DWORD
	s_and_b64 vcc, exec, s[10:11]
	s_cbranch_vccnz .LBB79_756
; %bb.747:
	v_mov_b32_e32 v3, 9
	v_cmp_lt_i16_sdwa s[10:11], s61, v3 src0_sel:BYTE_0 src1_sel:DWORD
	s_and_b64 vcc, exec, s[10:11]
	s_cbranch_vccnz .LBB79_753
; %bb.748:
	v_cmp_gt_i16_sdwa s[10:11], s61, v3 src0_sel:BYTE_0 src1_sel:DWORD
	s_and_b64 vcc, exec, s[10:11]
	s_cbranch_vccz .LBB79_750
; %bb.749:
	v_mov_b32_e32 v12, 0
	v_cvt_f64_f32_e32 v[10:11], v2
	v_mov_b32_e32 v13, v12
	s_mov_b64 s[8:9], 0
	global_store_dwordx4 v[0:1], v[10:13], off
.LBB79_750:
	s_andn2_b64 vcc, exec, s[8:9]
	s_cbranch_vccnz .LBB79_752
; %bb.751:
	v_mov_b32_e32 v3, 0
	global_store_dwordx2 v[0:1], v[2:3], off
.LBB79_752:
	s_mov_b64 s[8:9], 0
.LBB79_753:
	s_andn2_b64 vcc, exec, s[8:9]
	s_cbranch_vccnz .LBB79_755
; %bb.754:
	v_cvt_f16_f32_e32 v3, v2
	global_store_dword v[0:1], v3, off
.LBB79_755:
	s_mov_b64 s[8:9], 0
.LBB79_756:
	s_andn2_b64 vcc, exec, s[8:9]
	s_cbranch_vccnz .LBB79_765
; %bb.757:
	v_mov_b32_e32 v3, 6
	v_cmp_lt_i16_sdwa s[10:11], s61, v3 src0_sel:BYTE_0 src1_sel:DWORD
	s_mov_b64 s[8:9], -1
	s_and_b64 vcc, exec, s[10:11]
	s_cbranch_vccnz .LBB79_763
; %bb.758:
	v_cmp_gt_i16_sdwa s[10:11], s61, v3 src0_sel:BYTE_0 src1_sel:DWORD
	s_and_b64 vcc, exec, s[10:11]
	s_cbranch_vccz .LBB79_760
; %bb.759:
	v_cvt_f64_f32_e32 v[10:11], v2
	s_mov_b64 s[8:9], 0
	global_store_dwordx2 v[0:1], v[10:11], off
.LBB79_760:
	s_andn2_b64 vcc, exec, s[8:9]
	s_cbranch_vccnz .LBB79_762
; %bb.761:
	global_store_dword v[0:1], v2, off
.LBB79_762:
	s_mov_b64 s[8:9], 0
.LBB79_763:
	s_andn2_b64 vcc, exec, s[8:9]
	s_cbranch_vccnz .LBB79_765
; %bb.764:
	v_cvt_f16_f32_e32 v3, v2
	global_store_short v[0:1], v3, off
.LBB79_765:
	s_mov_b64 s[8:9], 0
.LBB79_766:
	s_andn2_b64 vcc, exec, s[8:9]
	s_cbranch_vccnz .LBB79_782
; %bb.767:
	v_mov_b32_e32 v3, 2
	v_cmp_lt_i16_sdwa s[10:11], s61, v3 src0_sel:BYTE_0 src1_sel:DWORD
	s_mov_b64 s[8:9], -1
	s_and_b64 vcc, exec, s[10:11]
	s_cbranch_vccnz .LBB79_777
; %bb.768:
	v_mov_b32_e32 v3, 3
	v_cmp_lt_i16_sdwa s[10:11], s61, v3 src0_sel:BYTE_0 src1_sel:DWORD
	s_and_b64 vcc, exec, s[10:11]
	s_cbranch_vccnz .LBB79_774
; %bb.769:
	v_cmp_gt_i16_sdwa s[10:11], s61, v3 src0_sel:BYTE_0 src1_sel:DWORD
	s_and_b64 vcc, exec, s[10:11]
	s_cbranch_vccz .LBB79_771
; %bb.770:
	v_trunc_f32_e32 v3, v2
	s_mov_b32 s8, 0x2f800000
	v_mul_f32_e64 v7, |v3|, s8
	v_floor_f32_e32 v7, v7
	s_mov_b32 s8, 0xcf800000
	v_cvt_u32_f32_e32 v9, v7
	v_fma_f32 v7, v7, s8, |v3|
	v_cvt_u32_f32_e32 v7, v7
	v_ashrrev_i32_e32 v3, 31, v3
	v_xor_b32_e32 v9, v9, v3
	s_mov_b64 s[8:9], 0
	v_xor_b32_e32 v7, v7, v3
	v_sub_co_u32_e32 v10, vcc, v7, v3
	v_subb_co_u32_e32 v11, vcc, v9, v3, vcc
	global_store_dwordx2 v[0:1], v[10:11], off
.LBB79_771:
	s_andn2_b64 vcc, exec, s[8:9]
	s_cbranch_vccnz .LBB79_773
; %bb.772:
	v_cvt_i32_f32_e32 v3, v2
	global_store_dword v[0:1], v3, off
.LBB79_773:
	s_mov_b64 s[8:9], 0
.LBB79_774:
	s_andn2_b64 vcc, exec, s[8:9]
	s_cbranch_vccnz .LBB79_776
; %bb.775:
	v_cvt_i32_f32_e32 v3, v2
	global_store_short v[0:1], v3, off
.LBB79_776:
	s_mov_b64 s[8:9], 0
.LBB79_777:
	s_andn2_b64 vcc, exec, s[8:9]
	s_cbranch_vccnz .LBB79_782
; %bb.778:
	v_mov_b32_e32 v3, 0
	v_cmp_gt_i16_sdwa s[10:11], s61, v3 src0_sel:BYTE_0 src1_sel:DWORD
	s_mov_b64 s[8:9], -1
	s_and_b64 vcc, exec, s[10:11]
	s_cbranch_vccz .LBB79_780
; %bb.779:
	v_cvt_i32_f32_e32 v3, v2
	s_mov_b64 s[8:9], 0
	global_store_byte v[0:1], v3, off
.LBB79_780:
	s_andn2_b64 vcc, exec, s[8:9]
	s_cbranch_vccnz .LBB79_782
; %bb.781:
	v_trunc_f32_e32 v2, v2
	s_mov_b32 s8, 0x2f800000
	v_mul_f32_e64 v3, |v2|, s8
	v_floor_f32_e32 v3, v3
	s_mov_b32 s8, 0xcf800000
	v_fma_f32 v3, v3, s8, |v2|
	v_cvt_u32_f32_e32 v3, v3
	v_ashrrev_i32_e32 v2, 31, v2
	v_xor_b32_e32 v3, v3, v2
	v_sub_u32_e32 v2, v3, v2
	global_store_byte v[0:1], v2, off
.LBB79_782:
	s_mov_b64 s[8:9], -1
.LBB79_783:
	s_andn2_b64 vcc, exec, s[8:9]
	s_cbranch_vccnz .LBB79_785
; %bb.784:
	v_add_u32_e32 v8, 0x80, v8
	s_mov_b64 s[8:9], -1
	s_branch .LBB79_787
.LBB79_785:
	s_mov_b64 s[8:9], 0
.LBB79_786:
                                        ; implicit-def: $vgpr8
.LBB79_787:
	s_andn2_b64 s[10:11], s[78:79], exec
	s_and_b64 s[0:1], s[0:1], exec
	s_or_b64 s[86:87], s[10:11], s[0:1]
	s_andn2_b64 s[0:1], s[76:77], exec
	s_and_b64 s[2:3], s[2:3], exec
	s_or_b64 s[84:85], s[0:1], s[2:3]
	s_orn2_b64 s[2:3], s[8:9], exec
.LBB79_788:
	s_or_b64 exec, exec, s[82:83]
	s_mov_b64 s[0:1], 0
	s_mov_b64 s[8:9], 0
	;; [unrolled: 1-line block ×3, first 2 shown]
                                        ; implicit-def: $vgpr2_vgpr3
                                        ; implicit-def: $vgpr0
                                        ; implicit-def: $vgpr7
	s_and_saveexec_b64 s[82:83], s[2:3]
	s_cbranch_execz .LBB79_884
; %bb.789:
	v_cmp_gt_i32_e32 vcc, s90, v8
	s_mov_b64 s[2:3], 0
	s_mov_b64 s[12:13], s[84:85]
                                        ; implicit-def: $vgpr2_vgpr3
                                        ; implicit-def: $vgpr0
                                        ; implicit-def: $vgpr7
	s_and_saveexec_b64 s[48:49], vcc
	s_cbranch_execz .LBB79_883
; %bb.790:
	s_andn2_b64 vcc, exec, s[40:41]
	s_cbranch_vccnz .LBB79_796
; %bb.791:
	s_mov_b32 s90, 0
	s_andn2_b64 vcc, exec, s[68:69]
	v_mov_b32_e32 v2, 0
	v_mov_b32_e32 v0, 0
	s_cbranch_vccnz .LBB79_802
; %bb.792:
	s_add_i32 vcc_lo, s91, 1
	s_cmp_eq_u32 s92, 2
	s_cbranch_scc1 .LBB79_797
; %bb.793:
                                        ; implicit-def: $vgpr18 : SGPR spill to VGPR lane
	s_mov_b64 s[94:95], s[44:45]
	v_writelane_b32 v18, s20, 0
	s_mov_b64 s[44:45], s[56:57]
	s_mov_b64 s[56:57], s[54:55]
	;; [unrolled: 1-line block ×3, first 2 shown]
	s_mov_b32 s52, s63
	s_mov_b32 vcc_hi, s62
	s_mov_b64 s[62:63], s[46:47]
	s_mov_b64 s[46:47], s[50:51]
	;; [unrolled: 1-line block ×3, first 2 shown]
	s_and_b32 s90, vcc_lo, 28
	s_mov_b32 s91, 0
	v_mov_b32_e32 v0, 0
	s_mov_b64 s[68:69], s[34:35]
	v_mov_b32_e32 v3, v8
	v_mov_b32_e32 v2, 0
	v_writelane_b32 v18, s21, 1
.LBB79_794:                             ; =>This Inner Loop Header: Depth=1
	s_load_dwordx8 s[16:23], s[68:69], 0x4
	s_load_dwordx4 s[0:3], s[68:69], 0x24
	s_load_dwordx8 s[8:15], s[66:67], 0x0
	s_add_u32 s68, s68, 48
	s_addc_u32 s69, s69, 0
	s_waitcnt vmcnt(0) lgkmcnt(0)
	v_mul_hi_u32 v1, s17, v3
	v_add_u32_e32 v1, v3, v1
	v_lshrrev_b32_e32 v1, s18, v1
	v_mul_lo_u32 v7, v1, s16
	v_mul_hi_u32 v9, s20, v1
	v_sub_u32_e32 v3, v3, v7
	v_add_u32_e32 v7, v1, v9
	v_lshrrev_b32_e32 v7, s21, v7
	v_mul_lo_u32 v10, v7, s19
	v_mul_hi_u32 v11, s23, v7
	v_sub_u32_e32 v1, v1, v10
	v_add_u32_e32 v10, v7, v11
	v_mul_lo_u32 v9, v3, s9
	v_mul_lo_u32 v3, v3, s8
	;; [unrolled: 1-line block ×4, first 2 shown]
	v_lshrrev_b32_e32 v10, s0, v10
	v_add3_u32 v0, v3, v0, v1
	v_mul_hi_u32 v3, s2, v10
	v_add_u32_e32 v3, v10, v3
	v_lshrrev_b32_e32 v3, s3, v3
	s_add_i32 s91, s91, 4
	v_add3_u32 v1, v9, v2, v11
	v_mul_lo_u32 v2, v10, s22
	v_mul_lo_u32 v9, v3, s1
	s_add_u32 s66, s66, 32
	v_sub_u32_e32 v2, v7, v2
	v_sub_u32_e32 v9, v10, v9
	s_addc_u32 s67, s67, 0
	v_mul_lo_u32 v7, v2, s12
	v_mul_lo_u32 v2, v2, s13
	;; [unrolled: 1-line block ×4, first 2 shown]
	s_cmp_eq_u32 s90, s91
	v_add3_u32 v2, v2, v1, v9
	v_add3_u32 v0, v7, v0, v10
	s_cbranch_scc0 .LBB79_794
; %bb.795:
	v_readlane_b32 s20, v18, 0
	v_mov_b32_e32 v1, v2
	s_mov_b64 s[18:19], s[50:51]
	s_mov_b64 s[50:51], s[46:47]
	;; [unrolled: 1-line block ×3, first 2 shown]
	s_mov_b32 s62, vcc_hi
	s_mov_b32 s63, s52
	s_mov_b64 s[52:53], s[54:55]
	s_mov_b64 s[54:55], s[56:57]
	;; [unrolled: 1-line block ×4, first 2 shown]
	v_readlane_b32 s21, v18, 1
	s_branch .LBB79_798
.LBB79_796:
	s_mov_b64 s[0:1], -1
                                        ; implicit-def: $vgpr2
                                        ; implicit-def: $vgpr0
	s_branch .LBB79_803
.LBB79_797:
	s_mov_b32 s91, s90
	s_waitcnt vmcnt(0)
	v_pk_mov_b32 v[0:1], s[90:91], s[90:91] op_sel:[0,1]
                                        ; implicit-def: $vgpr2
	v_mov_b32_e32 v3, v8
.LBB79_798:
	s_and_b32 s8, vcc_lo, 3
	s_cmp_eq_u32 s8, 0
	s_cbranch_scc1 .LBB79_802
; %bb.799:
	s_lshl_b32 s0, s90, 3
	s_add_u32 s0, s0, s34
	s_addc_u32 s1, s35, 0
	s_add_u32 s0, s0, 0xc4
	s_addc_u32 s1, s1, 0
	s_mul_i32 s2, s90, 12
	s_add_u32 s2, s34, s2
	s_addc_u32 s3, s35, 0
.LBB79_800:                             ; =>This Inner Loop Header: Depth=1
	s_load_dwordx2 s[10:11], s[2:3], 0x4
	s_load_dword s9, s[2:3], 0xc
	s_load_dwordx2 s[12:13], s[0:1], 0x0
	v_mov_b32_e32 v2, v1
	s_add_u32 s2, s2, 12
	s_waitcnt lgkmcnt(0)
	v_mul_hi_u32 v1, s11, v3
	v_add_u32_e32 v1, v3, v1
	v_lshrrev_b32_e32 v1, s9, v1
	s_addc_u32 s3, s3, 0
	v_mul_lo_u32 v7, v1, s10
	s_add_u32 s0, s0, 8
	v_sub_u32_e32 v7, v3, v7
	v_mov_b32_e32 v3, v1
	s_addc_u32 s1, s1, 0
	s_add_i32 s8, s8, -1
	v_mad_u64_u32 v[10:11], s[10:11], v7, s13, v[2:3]
	v_mad_u64_u32 v[0:1], s[10:11], v7, s12, v[0:1]
	s_cmp_lg_u32 s8, 0
	v_mov_b32_e32 v1, v10
	s_cbranch_scc1 .LBB79_800
; %bb.801:
	v_mov_b32_e32 v2, v1
.LBB79_802:
	s_mov_b64 s[0:1], 0
.LBB79_803:
	s_andn2_b64 vcc, exec, s[0:1]
	s_cbranch_vccnz .LBB79_806
; %bb.804:
	v_mul_hi_u32 v0, s29, v8
	v_add_u32_e32 v0, v8, v0
	s_waitcnt vmcnt(0)
	v_lshrrev_b32_e32 v1, s30, v0
	v_mul_lo_u32 v0, v1, s28
	v_sub_u32_e32 v0, v8, v0
	s_waitcnt lgkmcnt(0)
	v_mul_lo_u32 v2, v0, s37
	s_andn2_b64 vcc, exec, s[64:65]
	v_mul_lo_u32 v0, v0, s36
	s_cbranch_vccnz .LBB79_806
; %bb.805:
	v_mul_hi_u32 v3, s88, v1
	v_add_u32_e32 v3, v1, v3
	v_lshrrev_b32_e32 v3, s89, v3
	v_mul_lo_u32 v3, v3, s31
	v_sub_u32_e32 v3, v1, v3
	v_mad_u64_u32 v[0:1], s[0:1], v3, s38, v[0:1]
	v_mad_u64_u32 v[2:3], s[0:1], v3, s39, v[2:3]
.LBB79_806:
	s_waitcnt vmcnt(0) lgkmcnt(0)
	v_mov_b32_e32 v1, s27
	v_add_co_u32_e32 v2, vcc, s26, v2
	v_addc_co_u32_e32 v3, vcc, 0, v1, vcc
	v_cmp_gt_i16_e32 vcc, 11, v4
	s_cbranch_vccnz .LBB79_813
; %bb.807:
	v_cmp_lt_i16_e32 vcc, 25, v4
	s_mov_b64 s[2:3], 0
	s_cbranch_vccz .LBB79_814
; %bb.808:
	v_cmp_lt_i16_e32 vcc, 28, v4
	s_cbranch_vccz .LBB79_815
; %bb.809:
	v_cmp_lt_i16_e32 vcc, 43, v4
	;; [unrolled: 3-line block ×3, first 2 shown]
	s_cbranch_vccz .LBB79_817
; %bb.811:
	v_cmp_eq_u16_e32 vcc, 46, v4
	s_mov_b64 s[10:11], 0
	s_cbranch_vccz .LBB79_818
; %bb.812:
	global_load_dword v1, v[2:3], off
	s_mov_b64 s[0:1], 0
	s_mov_b64 s[8:9], -1
	s_waitcnt vmcnt(0)
	v_lshlrev_b32_e32 v7, 16, v1
	s_branch .LBB79_819
.LBB79_813:
	s_mov_b64 s[12:13], -1
	s_mov_b64 s[8:9], 0
	s_mov_b64 s[2:3], 0
	;; [unrolled: 1-line block ×3, first 2 shown]
                                        ; implicit-def: $vgpr7
	s_branch .LBB79_882
.LBB79_814:
	s_mov_b64 s[10:11], -1
	s_mov_b64 s[8:9], 0
	s_mov_b64 s[0:1], s[84:85]
                                        ; implicit-def: $vgpr7
	s_branch .LBB79_848
.LBB79_815:
	s_mov_b64 s[10:11], -1
	s_mov_b64 s[8:9], 0
	s_mov_b64 s[0:1], s[84:85]
                                        ; implicit-def: $vgpr7
	s_branch .LBB79_829
.LBB79_816:
	s_mov_b64 s[10:11], -1
	s_mov_b64 s[8:9], 0
	s_mov_b64 s[0:1], s[84:85]
                                        ; implicit-def: $vgpr7
	s_branch .LBB79_824
.LBB79_817:
	s_mov_b64 s[10:11], -1
	s_mov_b64 s[8:9], 0
	s_mov_b64 s[0:1], s[84:85]
                                        ; implicit-def: $vgpr7
	s_branch .LBB79_819
.LBB79_818:
	s_mov_b64 s[0:1], -1
                                        ; implicit-def: $vgpr7
	s_mov_b64 s[8:9], 0
.LBB79_819:
	s_and_b64 vcc, exec, s[10:11]
	s_cbranch_vccz .LBB79_823
; %bb.820:
	v_cmp_eq_u16_e32 vcc, 44, v4
	s_cbranch_vccz .LBB79_822
; %bb.821:
	global_load_ubyte v1, v[2:3], off
	s_movk_i32 s8, 0xff
	v_mov_b32_e32 v7, 0x7f800001
	v_mov_b32_e32 v8, 0x400000
	s_mov_b64 s[0:1], 0
	s_waitcnt vmcnt(0)
	v_lshlrev_b32_e32 v9, 23, v1
	v_cmp_ne_u32_e32 vcc, s8, v1
	v_cndmask_b32_e32 v7, v7, v9, vcc
	v_cmp_ne_u32_e32 vcc, 0, v1
	v_cndmask_b32_e32 v7, v8, v7, vcc
	s_mov_b64 s[8:9], -1
	s_branch .LBB79_823
.LBB79_822:
	s_mov_b64 s[0:1], -1
                                        ; implicit-def: $vgpr7
.LBB79_823:
	s_mov_b64 s[10:11], 0
.LBB79_824:
	s_and_b64 vcc, exec, s[10:11]
	s_cbranch_vccz .LBB79_828
; %bb.825:
	v_cmp_eq_u16_e32 vcc, 29, v4
	s_cbranch_vccz .LBB79_827
; %bb.826:
	global_load_dwordx2 v[8:9], v[2:3], off
	s_mov_b64 s[0:1], 0
	s_mov_b64 s[8:9], -1
	s_mov_b64 s[10:11], 0
	s_waitcnt vmcnt(0)
	v_ffbh_u32_e32 v1, v9
	v_min_u32_e32 v1, 32, v1
	v_lshlrev_b64 v[8:9], v1, v[8:9]
	v_min_u32_e32 v7, 1, v8
	v_or_b32_e32 v7, v9, v7
	v_cvt_f32_u32_e32 v7, v7
	v_sub_u32_e32 v1, 32, v1
	v_ldexp_f32 v7, v7, v1
	s_branch .LBB79_829
.LBB79_827:
	s_mov_b64 s[0:1], -1
                                        ; implicit-def: $vgpr7
.LBB79_828:
	s_mov_b64 s[10:11], 0
.LBB79_829:
	s_and_b64 vcc, exec, s[10:11]
	s_cbranch_vccz .LBB79_847
; %bb.830:
	v_cmp_gt_i16_e32 vcc, 27, v4
	s_cbranch_vccnz .LBB79_833
; %bb.831:
	v_cmp_lt_i16_e32 vcc, 27, v4
	s_cbranch_vccz .LBB79_834
; %bb.832:
	global_load_dword v1, v[2:3], off
	s_mov_b64 s[8:9], 0
	s_waitcnt vmcnt(0)
	v_cvt_f32_u32_e32 v7, v1
	s_branch .LBB79_835
.LBB79_833:
	s_mov_b64 s[8:9], -1
                                        ; implicit-def: $vgpr7
	s_branch .LBB79_838
.LBB79_834:
	s_mov_b64 s[8:9], -1
                                        ; implicit-def: $vgpr7
.LBB79_835:
	s_andn2_b64 vcc, exec, s[8:9]
	s_cbranch_vccnz .LBB79_837
; %bb.836:
	global_load_ushort v1, v[2:3], off
	s_waitcnt vmcnt(0)
	v_cvt_f32_u32_e32 v7, v1
.LBB79_837:
	s_mov_b64 s[8:9], 0
.LBB79_838:
	s_andn2_b64 vcc, exec, s[8:9]
	s_cbranch_vccnz .LBB79_846
; %bb.839:
	global_load_ubyte v1, v[2:3], off
	s_movk_i32 s8, 0x7f
                                        ; implicit-def: $sgpr14
	s_waitcnt vmcnt(0)
	v_cmp_lt_i16_e32 vcc, s8, v1
	s_mov_b64 s[8:9], 0
	s_and_saveexec_b64 s[10:11], vcc
	s_xor_b64 s[10:11], exec, s[10:11]
	s_cbranch_execz .LBB79_860
; %bb.840:
	s_movk_i32 s8, 0x80
	v_cmp_eq_u16_e32 vcc, s8, v1
	s_mov_b64 s[8:9], -1
                                        ; implicit-def: $sgpr14
	s_and_saveexec_b64 s[12:13], vcc
; %bb.841:
	s_mov_b32 s14, 0x7f800001
	s_xor_b64 s[8:9], exec, -1
; %bb.842:
	s_or_b64 exec, exec, s[12:13]
	s_and_b64 s[8:9], s[8:9], exec
	s_or_saveexec_b64 s[10:11], s[10:11]
	v_mov_b32_e32 v7, s14
	s_xor_b64 exec, exec, s[10:11]
	s_cbranch_execnz .LBB79_861
.LBB79_843:
	s_or_b64 exec, exec, s[10:11]
	s_and_saveexec_b64 s[10:11], s[8:9]
	s_cbranch_execz .LBB79_845
.LBB79_844:
	v_lshlrev_b32_e32 v7, 24, v1
	v_and_b32_e32 v1, 0xffff, v1
	v_and_b32_e32 v8, 7, v1
	v_ffbh_u32_e32 v10, v8
	v_min_u32_e32 v10, 32, v10
	v_subrev_u32_e32 v11, 28, v10
	v_bfe_u32 v9, v1, 3, 4
	v_lshlrev_b32_e32 v1, v11, v1
	v_sub_u32_e32 v10, 29, v10
	v_and_b32_e32 v1, 7, v1
	v_cmp_eq_u32_e32 vcc, 0, v9
	v_cndmask_b32_e32 v9, v9, v10, vcc
	v_cndmask_b32_e32 v1, v8, v1, vcc
	v_mov_b32_e32 v8, 0x3b800000
	v_lshlrev_b32_e32 v1, 20, v1
	v_and_b32_e32 v7, 0x80000000, v7
	v_lshl_add_u32 v8, v9, 23, v8
	v_or3_b32 v7, v7, v8, v1
.LBB79_845:
	s_or_b64 exec, exec, s[10:11]
.LBB79_846:
	s_mov_b64 s[8:9], -1
.LBB79_847:
	s_mov_b64 s[10:11], 0
.LBB79_848:
	s_and_b64 vcc, exec, s[10:11]
	s_cbranch_vccz .LBB79_881
; %bb.849:
	v_cmp_lt_i16_e32 vcc, 22, v4
	s_cbranch_vccz .LBB79_859
; %bb.850:
	v_cmp_gt_i16_e32 vcc, 24, v4
	s_cbranch_vccnz .LBB79_862
; %bb.851:
	v_cmp_lt_i16_e32 vcc, 24, v4
	s_cbranch_vccz .LBB79_863
; %bb.852:
	global_load_ubyte v1, v[2:3], off
	s_movk_i32 s2, 0x7f
                                        ; implicit-def: $sgpr12
	s_waitcnt vmcnt(0)
	v_cmp_lt_i16_e32 vcc, s2, v1
	s_mov_b64 s[2:3], 0
	s_and_saveexec_b64 s[8:9], vcc
	s_xor_b64 s[8:9], exec, s[8:9]
	s_cbranch_execz .LBB79_875
; %bb.853:
	s_movk_i32 s2, 0x80
	v_cmp_eq_u16_e32 vcc, s2, v1
	s_mov_b64 s[2:3], -1
                                        ; implicit-def: $sgpr12
	s_and_saveexec_b64 s[10:11], vcc
; %bb.854:
	s_mov_b32 s12, 0x7f800001
	s_xor_b64 s[2:3], exec, -1
; %bb.855:
	s_or_b64 exec, exec, s[10:11]
	s_and_b64 s[2:3], s[2:3], exec
	s_or_saveexec_b64 s[8:9], s[8:9]
	v_mov_b32_e32 v7, s12
	s_xor_b64 exec, exec, s[8:9]
	s_cbranch_execnz .LBB79_876
.LBB79_856:
	s_or_b64 exec, exec, s[8:9]
	s_and_saveexec_b64 s[8:9], s[2:3]
	s_cbranch_execz .LBB79_858
.LBB79_857:
	v_lshlrev_b32_e32 v7, 24, v1
	v_and_b32_e32 v1, 0xffff, v1
	v_and_b32_e32 v8, 3, v1
	v_ffbh_u32_e32 v10, v8
	v_min_u32_e32 v10, 32, v10
	v_subrev_u32_e32 v11, 29, v10
	v_bfe_u32 v9, v1, 2, 5
	v_lshlrev_b32_e32 v1, v11, v1
	v_sub_u32_e32 v10, 30, v10
	v_and_b32_e32 v1, 3, v1
	v_cmp_eq_u32_e32 vcc, 0, v9
	v_cndmask_b32_e32 v9, v9, v10, vcc
	v_cndmask_b32_e32 v1, v8, v1, vcc
	v_mov_b32_e32 v8, 0x37800000
	v_lshlrev_b32_e32 v1, 21, v1
	v_and_b32_e32 v7, 0x80000000, v7
	v_lshl_add_u32 v8, v9, 23, v8
	v_or3_b32 v7, v7, v8, v1
.LBB79_858:
	s_or_b64 exec, exec, s[8:9]
	s_mov_b64 s[2:3], 0
	s_branch .LBB79_864
.LBB79_859:
	s_mov_b64 s[2:3], -1
                                        ; implicit-def: $vgpr7
	s_branch .LBB79_870
.LBB79_860:
	s_or_saveexec_b64 s[10:11], s[10:11]
	v_mov_b32_e32 v7, s14
	s_xor_b64 exec, exec, s[10:11]
	s_cbranch_execz .LBB79_843
.LBB79_861:
	v_cmp_ne_u16_e32 vcc, 0, v1
	s_andn2_b64 s[8:9], s[8:9], exec
	s_and_b64 s[12:13], vcc, exec
	v_mov_b32_e32 v7, 0
	s_or_b64 s[8:9], s[8:9], s[12:13]
	s_or_b64 exec, exec, s[10:11]
	s_and_saveexec_b64 s[10:11], s[8:9]
	s_cbranch_execnz .LBB79_844
	s_branch .LBB79_845
.LBB79_862:
	s_mov_b64 s[2:3], -1
                                        ; implicit-def: $vgpr7
	s_branch .LBB79_867
.LBB79_863:
	s_mov_b64 s[2:3], -1
                                        ; implicit-def: $vgpr7
.LBB79_864:
	s_and_b64 vcc, exec, s[2:3]
	s_cbranch_vccz .LBB79_866
; %bb.865:
	global_load_ubyte v1, v[2:3], off
	s_mov_b32 s2, 0x7f800000
	s_waitcnt vmcnt(0)
	v_lshlrev_b32_e32 v1, 24, v1
	v_and_b32_e32 v7, 0x7f000000, v1
	v_ffbh_u32_e32 v8, v7
	v_min_u32_e32 v8, 32, v8
	v_sub_u32_e64 v8, v8, 4 clamp
	v_lshlrev_b32_e32 v10, v8, v7
	v_lshlrev_b32_e32 v8, 23, v8
	v_lshrrev_b32_e32 v10, 4, v10
	v_add_u32_e32 v9, 0x1000000, v7
	v_sub_u32_e32 v8, v10, v8
	v_ashrrev_i32_e32 v9, 8, v9
	v_add_u32_e32 v8, 0x3c000000, v8
	v_and_or_b32 v8, v9, s2, v8
	v_cmp_ne_u32_e32 vcc, 0, v7
	v_cndmask_b32_e32 v7, 0, v8, vcc
	s_brev_b32 s2, 1
	v_and_or_b32 v7, v1, s2, v7
.LBB79_866:
	s_mov_b64 s[2:3], 0
.LBB79_867:
	s_andn2_b64 vcc, exec, s[2:3]
	s_cbranch_vccnz .LBB79_869
; %bb.868:
	global_load_ubyte v1, v[2:3], off
	s_movk_i32 s2, 0x7f00
	s_brev_b32 s3, 16
	s_waitcnt vmcnt(0)
	v_lshlrev_b16_e32 v7, 8, v1
	v_lshlrev_b32_e32 v1, 25, v1
	v_lshrrev_b32_e32 v8, 4, v1
	v_and_or_b32 v9, v7, s2, 0.5
	v_or_b32_e32 v8, 0x70000000, v8
	v_add_f32_e32 v9, -0.5, v9
	v_mul_f32_e32 v8, 0x7800000, v8
	v_cmp_gt_u32_e32 vcc, s3, v1
	v_bfe_i32 v7, v7, 0, 16
	v_cndmask_b32_e32 v1, v8, v9, vcc
	s_brev_b32 s2, 1
	v_and_or_b32 v7, v7, s2, v1
.LBB79_869:
	s_mov_b64 s[2:3], 0
	s_mov_b64 s[8:9], -1
.LBB79_870:
	s_andn2_b64 vcc, exec, s[2:3]
	s_mov_b64 s[2:3], 0
	s_cbranch_vccnz .LBB79_881
; %bb.871:
	v_cmp_lt_i16_e32 vcc, 14, v4
	s_cbranch_vccz .LBB79_874
; %bb.872:
	v_cmp_eq_u16_e32 vcc, 15, v4
	s_cbranch_vccz .LBB79_877
; %bb.873:
	global_load_ushort v1, v[2:3], off
	s_mov_b64 s[0:1], 0
	s_mov_b64 s[8:9], -1
	s_waitcnt vmcnt(0)
	v_lshlrev_b32_e32 v7, 16, v1
	s_branch .LBB79_878
.LBB79_874:
	s_mov_b64 s[10:11], -1
                                        ; implicit-def: $vgpr7
	s_branch .LBB79_879
.LBB79_875:
	s_or_saveexec_b64 s[8:9], s[8:9]
	v_mov_b32_e32 v7, s12
	s_xor_b64 exec, exec, s[8:9]
	s_cbranch_execz .LBB79_856
.LBB79_876:
	v_cmp_ne_u16_e32 vcc, 0, v1
	s_andn2_b64 s[2:3], s[2:3], exec
	s_and_b64 s[10:11], vcc, exec
	v_mov_b32_e32 v7, 0
	s_or_b64 s[2:3], s[2:3], s[10:11]
	s_or_b64 exec, exec, s[8:9]
	s_and_saveexec_b64 s[8:9], s[2:3]
	s_cbranch_execnz .LBB79_857
	s_branch .LBB79_858
.LBB79_877:
	s_mov_b64 s[0:1], -1
                                        ; implicit-def: $vgpr7
.LBB79_878:
	s_mov_b64 s[10:11], 0
.LBB79_879:
	s_and_b64 vcc, exec, s[10:11]
	s_cbranch_vccz .LBB79_881
; %bb.880:
	v_cmp_ne_u16_e32 vcc, 11, v4
	s_andn2_b64 s[0:1], s[0:1], exec
	s_and_b64 s[10:11], vcc, exec
	s_mov_b64 s[2:3], -1
	s_or_b64 s[0:1], s[0:1], s[10:11]
                                        ; implicit-def: $vgpr7
.LBB79_881:
	s_mov_b64 s[12:13], 0
.LBB79_882:
	s_and_b64 s[10:11], s[8:9], exec
	s_and_b64 s[8:9], s[12:13], exec
	s_andn2_b64 s[12:13], s[84:85], exec
	s_and_b64 s[0:1], s[0:1], exec
	s_and_b64 s[2:3], s[2:3], exec
	s_or_b64 s[12:13], s[12:13], s[0:1]
.LBB79_883:
	s_or_b64 exec, exec, s[48:49]
	s_and_b64 s[0:1], s[2:3], exec
	s_andn2_b64 s[2:3], s[84:85], exec
	s_and_b64 s[12:13], s[12:13], exec
	s_and_b64 s[10:11], s[10:11], exec
	;; [unrolled: 1-line block ×3, first 2 shown]
	s_or_b64 s[84:85], s[2:3], s[12:13]
.LBB79_884:
	s_or_b64 exec, exec, s[82:83]
	s_andn2_b64 s[2:3], s[78:79], exec
	s_and_b64 s[12:13], s[86:87], exec
	s_or_b64 s[78:79], s[2:3], s[12:13]
	s_and_b64 s[2:3], s[0:1], exec
	s_andn2_b64 s[0:1], s[76:77], exec
	s_and_b64 s[12:13], s[84:85], exec
	s_and_b64 s[10:11], s[10:11], exec
	;; [unrolled: 1-line block ×3, first 2 shown]
	s_or_b64 s[76:77], s[0:1], s[12:13]
.LBB79_885:
	s_or_b64 exec, exec, s[80:81]
	s_andn2_b64 s[0:1], s[70:71], exec
	s_and_b64 s[12:13], s[78:79], exec
	s_or_b64 s[70:71], s[0:1], s[12:13]
	s_and_b64 s[0:1], s[10:11], exec
	s_and_b64 s[10:11], s[8:9], exec
	;; [unrolled: 1-line block ×3, first 2 shown]
	s_andn2_b64 s[2:3], s[72:73], exec
	s_and_b64 s[8:9], s[76:77], exec
	s_or_b64 s[72:73], s[2:3], s[8:9]
	s_or_b64 exec, exec, s[74:75]
	s_mov_b64 s[2:3], 0
	s_and_saveexec_b64 s[8:9], s[72:73]
	s_cbranch_execz .LBB79_268
.LBB79_886:
	s_mov_b64 s[2:3], exec
	s_andn2_b64 s[78:79], s[78:79], exec
	s_trap 2
                                        ; implicit-def: $vgpr7
	s_or_b64 exec, exec, s[8:9]
	s_and_saveexec_b64 s[8:9], s[78:79]
	s_xor_b64 s[8:9], exec, s[8:9]
	s_cbranch_execnz .LBB79_269
.LBB79_887:
	s_or_b64 exec, exec, s[8:9]
	s_and_saveexec_b64 s[8:9], s[10:11]
	s_cbranch_execz .LBB79_933
.LBB79_888:
	v_cmp_gt_i16_e32 vcc, 5, v4
	s_cbranch_vccnz .LBB79_893
; %bb.889:
	v_cmp_gt_i16_e32 vcc, 8, v4
	s_cbranch_vccnz .LBB79_894
; %bb.890:
	;; [unrolled: 3-line block ×3, first 2 shown]
	v_cmp_lt_i16_e32 vcc, 9, v4
	s_cbranch_vccz .LBB79_896
; %bb.892:
	global_load_dwordx2 v[8:9], v[2:3], off
	s_mov_b64 s[10:11], 0
	s_waitcnt vmcnt(0)
	v_cvt_f32_f64_e32 v7, v[8:9]
	s_branch .LBB79_897
.LBB79_893:
                                        ; implicit-def: $vgpr7
	s_branch .LBB79_914
.LBB79_894:
                                        ; implicit-def: $vgpr7
	s_branch .LBB79_903
.LBB79_895:
	s_mov_b64 s[10:11], -1
                                        ; implicit-def: $vgpr7
	s_branch .LBB79_900
.LBB79_896:
	s_mov_b64 s[10:11], -1
                                        ; implicit-def: $vgpr7
.LBB79_897:
	s_andn2_b64 vcc, exec, s[10:11]
	s_cbranch_vccnz .LBB79_899
; %bb.898:
	global_load_dword v7, v[2:3], off
.LBB79_899:
	s_mov_b64 s[10:11], 0
.LBB79_900:
	s_andn2_b64 vcc, exec, s[10:11]
	s_cbranch_vccnz .LBB79_902
; %bb.901:
	global_load_dword v1, v[2:3], off
	s_waitcnt vmcnt(0)
	v_cvt_f32_f16_e32 v7, v1
.LBB79_902:
	s_cbranch_execnz .LBB79_913
.LBB79_903:
	v_cmp_gt_i16_e32 vcc, 6, v4
	s_cbranch_vccnz .LBB79_906
; %bb.904:
	v_cmp_lt_i16_e32 vcc, 6, v4
	s_cbranch_vccz .LBB79_907
; %bb.905:
	global_load_dwordx2 v[8:9], v[2:3], off
	s_mov_b64 s[10:11], 0
	s_waitcnt vmcnt(0)
	v_cvt_f32_f64_e32 v7, v[8:9]
	s_branch .LBB79_908
.LBB79_906:
	s_mov_b64 s[10:11], -1
                                        ; implicit-def: $vgpr7
	s_branch .LBB79_911
.LBB79_907:
	s_mov_b64 s[10:11], -1
                                        ; implicit-def: $vgpr7
.LBB79_908:
	s_andn2_b64 vcc, exec, s[10:11]
	s_cbranch_vccnz .LBB79_910
; %bb.909:
	global_load_dword v7, v[2:3], off
.LBB79_910:
	s_mov_b64 s[10:11], 0
.LBB79_911:
	s_andn2_b64 vcc, exec, s[10:11]
	s_cbranch_vccnz .LBB79_913
; %bb.912:
	global_load_ushort v1, v[2:3], off
	s_waitcnt vmcnt(0)
	v_cvt_f32_f16_e32 v7, v1
.LBB79_913:
	s_cbranch_execnz .LBB79_932
.LBB79_914:
	v_cmp_gt_i16_e32 vcc, 2, v4
	s_cbranch_vccnz .LBB79_918
; %bb.915:
	v_cmp_gt_i16_e32 vcc, 3, v4
	s_cbranch_vccnz .LBB79_919
; %bb.916:
	v_cmp_lt_i16_e32 vcc, 3, v4
	s_cbranch_vccz .LBB79_920
; %bb.917:
	global_load_dwordx2 v[8:9], v[2:3], off
	s_mov_b64 s[10:11], 0
	s_waitcnt vmcnt(0)
	v_xor_b32_e32 v7, v8, v9
	v_ffbh_i32_e32 v1, v9
	v_ashrrev_i32_e32 v7, 31, v7
	v_add_u32_e32 v1, -1, v1
	v_add_u32_e32 v7, 32, v7
	v_min_u32_e32 v1, v1, v7
	v_lshlrev_b64 v[8:9], v1, v[8:9]
	v_min_u32_e32 v7, 1, v8
	v_or_b32_e32 v7, v9, v7
	v_cvt_f32_i32_e32 v7, v7
	v_sub_u32_e32 v1, 32, v1
	v_ldexp_f32 v7, v7, v1
	s_branch .LBB79_921
.LBB79_918:
                                        ; implicit-def: $vgpr7
	s_branch .LBB79_927
.LBB79_919:
	s_mov_b64 s[10:11], -1
                                        ; implicit-def: $vgpr7
	s_branch .LBB79_924
.LBB79_920:
	s_mov_b64 s[10:11], -1
                                        ; implicit-def: $vgpr7
.LBB79_921:
	s_andn2_b64 vcc, exec, s[10:11]
	s_cbranch_vccnz .LBB79_923
; %bb.922:
	global_load_dword v1, v[2:3], off
	s_waitcnt vmcnt(0)
	v_cvt_f32_i32_e32 v7, v1
.LBB79_923:
	s_mov_b64 s[10:11], 0
.LBB79_924:
	s_andn2_b64 vcc, exec, s[10:11]
	s_cbranch_vccnz .LBB79_926
; %bb.925:
	global_load_sshort v1, v[2:3], off
	s_waitcnt vmcnt(0)
	v_cvt_f32_i32_e32 v7, v1
.LBB79_926:
	s_cbranch_execnz .LBB79_932
.LBB79_927:
	v_cmp_lt_i16_e32 vcc, 0, v4
	s_cbranch_vccz .LBB79_929
; %bb.928:
	global_load_sbyte v1, v[2:3], off
	s_mov_b64 s[10:11], 0
	s_waitcnt vmcnt(0)
	v_cvt_f32_i32_e32 v7, v1
	s_branch .LBB79_930
.LBB79_929:
	s_mov_b64 s[10:11], -1
                                        ; implicit-def: $vgpr7
.LBB79_930:
	s_andn2_b64 vcc, exec, s[10:11]
	s_cbranch_vccnz .LBB79_932
; %bb.931:
	global_load_ubyte v1, v[2:3], off
	s_waitcnt vmcnt(0)
	v_cvt_f32_ubyte0_e32 v7, v1
.LBB79_932:
	s_or_b64 s[0:1], s[0:1], exec
.LBB79_933:
	s_or_b64 exec, exec, s[8:9]
	s_mov_b64 s[12:13], 0
	s_mov_b64 s[10:11], 0
                                        ; implicit-def: $vgpr1
                                        ; implicit-def: $vgpr2_vgpr3
                                        ; implicit-def: $vgpr4
	s_and_saveexec_b64 s[8:9], s[0:1]
	s_cbranch_execz .LBB79_951
; %bb.934:
	s_brev_b32 s0, -2
	s_waitcnt vmcnt(0)
	v_mov_b32_e32 v1, s60
	v_bfi_b32 v4, s0, v1, v7
	s_waitcnt lgkmcnt(0)
	v_mov_b32_e32 v1, s25
	v_add_co_u32_e32 v2, vcc, s24, v0
	v_mov_b32_e32 v0, 0xff
	v_addc_co_u32_e32 v3, vcc, 0, v1, vcc
	v_and_b32_e32 v1, s61, v0
	v_cmp_gt_i16_e32 vcc, 11, v1
	s_cbranch_vccnz .LBB79_954
; %bb.935:
	v_cmp_lt_i16_e32 vcc, 25, v1
	s_mov_b64 s[12:13], -1
	s_mov_b64 s[0:1], s[70:71]
	s_cbranch_vccz .LBB79_974
; %bb.936:
	v_cmp_lt_i16_e32 vcc, 28, v1
	s_mov_b64 s[10:11], -1
	s_mov_b64 s[0:1], s[70:71]
	s_cbranch_vccz .LBB79_956
; %bb.937:
	v_cmp_lt_i16_e32 vcc, 43, v1
	s_mov_b64 s[0:1], s[70:71]
	s_cbranch_vccz .LBB79_948
; %bb.938:
	v_cmp_lt_i16_e32 vcc, 45, v1
	s_mov_b64 s[0:1], s[70:71]
	s_cbranch_vccz .LBB79_942
; %bb.939:
	v_cmp_eq_u16_e32 vcc, 46, v1
	s_mov_b64 s[0:1], -1
	s_cbranch_vccz .LBB79_941
; %bb.940:
	v_bfe_u32 v0, v4, 16, 1
	s_movk_i32 s0, 0x7fff
	v_add3_u32 v0, v4, v0, s0
	v_lshrrev_b32_e32 v0, 16, v0
	v_mov_b32_e32 v7, 0x7fc0
	v_cmp_o_f32_e32 vcc, v4, v4
	v_cndmask_b32_e32 v0, v7, v0, vcc
	global_store_dword v[2:3], v0, off
	s_mov_b64 s[0:1], 0
.LBB79_941:
	s_mov_b64 s[10:11], 0
.LBB79_942:
	s_and_b64 vcc, exec, s[10:11]
	s_cbranch_vccz .LBB79_947
; %bb.943:
	v_cmp_eq_u16_e32 vcc, 44, v1
	s_mov_b64 s[0:1], -1
	s_cbranch_vccz .LBB79_947
; %bb.944:
	v_bfe_u32 v0, v4, 23, 8
	s_movk_i32 s0, 0xff
	v_cmp_ne_u32_e32 vcc, s0, v0
	v_mov_b32_e32 v7, 0xff
	s_and_saveexec_b64 s[10:11], vcc
; %bb.945:
	s_mov_b32 s0, 0x3fffff
	v_and_b32_e32 v8, 0x400000, v4
	v_and_or_b32 v0, v4, s0, v0
	v_cmp_ne_u32_e32 vcc, 0, v8
	v_cmp_ne_u32_e64 s[0:1], 0, v0
	s_and_b64 s[0:1], vcc, s[0:1]
	v_lshrrev_b32_e32 v7, 23, v4
	v_cndmask_b32_e64 v0, 0, 1, s[0:1]
	v_add_u32_e32 v7, v7, v0
; %bb.946:
	s_or_b64 exec, exec, s[10:11]
	s_mov_b64 s[0:1], 0
	global_store_byte v[2:3], v7, off
.LBB79_947:
	s_mov_b64 s[10:11], 0
.LBB79_948:
	s_and_b64 vcc, exec, s[10:11]
	s_cbranch_vccz .LBB79_955
; %bb.949:
	v_cmp_eq_u16_e32 vcc, 29, v1
	s_mov_b64 s[0:1], -1
	s_cbranch_vccz .LBB79_955
; %bb.950:
	v_trunc_f32_e32 v0, v4
	v_mul_f32_e32 v7, 0x2f800000, v0
	v_floor_f32_e32 v7, v7
	v_fmac_f32_e32 v0, 0xcf800000, v7
	v_cvt_u32_f32_e32 v9, v7
	v_cvt_u32_f32_e32 v8, v0
	s_mov_b64 s[0:1], 0
	s_mov_b64 s[10:11], 0
	global_store_dwordx2 v[2:3], v[8:9], off
	s_branch .LBB79_956
.LBB79_951:
	s_or_b64 exec, exec, s[8:9]
	s_and_saveexec_b64 s[0:1], s[70:71]
	s_cbranch_execnz .LBB79_1006
.LBB79_952:
	s_or_b64 exec, exec, s[0:1]
	s_and_saveexec_b64 s[0:1], s[12:13]
	s_xor_b64 s[0:1], exec, s[0:1]
	s_cbranch_execz .LBB79_1007
.LBB79_953:
	v_cmp_neq_f32_e32 vcc, 0, v4
	v_cndmask_b32_e64 v0, 0, 1, vcc
	global_store_byte v[2:3], v0, off
	s_or_b64 exec, exec, s[0:1]
	s_and_saveexec_b64 s[0:1], s[10:11]
	s_xor_b64 s[0:1], exec, s[0:1]
	s_cbranch_execz .LBB79_1045
	s_branch .LBB79_1008
.LBB79_954:
	s_mov_b64 s[10:11], -1
	s_mov_b64 s[0:1], s[70:71]
	s_branch .LBB79_1005
.LBB79_955:
	s_mov_b64 s[10:11], 0
.LBB79_956:
	s_and_b64 vcc, exec, s[10:11]
	s_cbranch_vccz .LBB79_973
; %bb.957:
	v_cmp_gt_i16_e32 vcc, 27, v1
	s_mov_b64 s[10:11], -1
	s_cbranch_vccnz .LBB79_963
; %bb.958:
	v_cmp_lt_i16_e32 vcc, 27, v1
	s_cbranch_vccz .LBB79_960
; %bb.959:
	v_cvt_u32_f32_e32 v0, v4
	s_mov_b64 s[10:11], 0
	global_store_dword v[2:3], v0, off
.LBB79_960:
	s_andn2_b64 vcc, exec, s[10:11]
	s_cbranch_vccnz .LBB79_962
; %bb.961:
	v_cvt_u32_f32_e32 v0, v4
	global_store_short v[2:3], v0, off
.LBB79_962:
	s_mov_b64 s[10:11], 0
.LBB79_963:
	s_andn2_b64 vcc, exec, s[10:11]
	s_cbranch_vccnz .LBB79_973
; %bb.964:
	s_andn2_b64 vcc, exec, s[20:21]
	v_mov_b32_e32 v7, 0x80
	s_cbranch_vccnz .LBB79_972
; %bb.965:
	s_andn2_b64 vcc, exec, s[56:57]
	s_cbranch_vccnz .LBB79_967
; %bb.966:
	v_bfe_u32 v0, v4, 20, 1
	s_mov_b32 s10, 0x487ffff
	v_add3_u32 v0, v4, v0, s10
	v_lshrrev_b32_e32 v0, 20, v0
	s_mov_b64 s[12:13], 0
	s_mov_b64 s[10:11], -1
	s_branch .LBB79_968
.LBB79_967:
	s_mov_b64 s[10:11], 0
                                        ; implicit-def: $vgpr0
.LBB79_968:
	s_andn2_b64 vcc, exec, s[12:13]
                                        ; implicit-def: $sgpr12
	s_cbranch_vccnz .LBB79_970
; %bb.969:
	s_mov_b32 s12, 0
	v_mov_b32_e32 v0, v6
	s_mov_b64 s[10:11], s[54:55]
.LBB79_970:
	s_andn2_b64 vcc, exec, s[10:11]
	v_mov_b32_e32 v7, s12
	s_cbranch_vccnz .LBB79_972
; %bb.971:
	v_lshrrev_b32_e32 v6, 24, v4
	s_movk_i32 s10, 0x80
	v_and_or_b32 v7, v6, s10, v0
.LBB79_972:
	global_store_byte v[2:3], v7, off
.LBB79_973:
	s_mov_b64 s[12:13], 0
.LBB79_974:
	s_mov_b64 s[10:11], 0
	s_and_b64 vcc, exec, s[12:13]
	s_cbranch_vccz .LBB79_981
; %bb.975:
	v_cmp_lt_i16_e32 vcc, 22, v1
	s_mov_b64 s[12:13], -1
	s_cbranch_vccz .LBB79_998
; %bb.976:
	v_cmp_gt_i16_e32 vcc, 24, v1
	s_cbranch_vccnz .LBB79_993
; %bb.977:
	v_cmp_lt_i16_e32 vcc, 24, v1
	s_cbranch_vccz .LBB79_988
; %bb.978:
	s_andn2_b64 vcc, exec, s[52:53]
	v_mov_b32_e32 v6, 0x80
	s_cbranch_vccnz .LBB79_987
; %bb.979:
	s_andn2_b64 vcc, exec, s[50:51]
	s_cbranch_vccnz .LBB79_982
; %bb.980:
	v_bfe_u32 v0, v4, 21, 1
	s_mov_b32 s12, 0x88fffff
	v_add3_u32 v0, v4, v0, s12
	v_lshrrev_b32_e32 v0, 21, v0
	s_mov_b64 s[14:15], 0
	s_mov_b64 s[12:13], -1
	s_branch .LBB79_983
.LBB79_981:
	s_mov_b64 s[12:13], 0
	s_branch .LBB79_1005
.LBB79_982:
	s_mov_b64 s[14:15], -1
	s_mov_b64 s[12:13], 0
                                        ; implicit-def: $vgpr0
.LBB79_983:
	s_andn2_b64 vcc, exec, s[14:15]
                                        ; implicit-def: $sgpr14
	s_cbranch_vccnz .LBB79_985
; %bb.984:
	s_mov_b32 s14, 0
	v_mov_b32_e32 v0, v5
	s_mov_b64 s[12:13], s[18:19]
.LBB79_985:
	s_andn2_b64 vcc, exec, s[12:13]
	v_mov_b32_e32 v6, s14
	s_cbranch_vccnz .LBB79_987
; %bb.986:
	v_lshrrev_b32_e32 v5, 24, v4
	s_movk_i32 s12, 0x80
	v_and_or_b32 v6, v5, s12, v0
.LBB79_987:
	s_mov_b64 s[12:13], 0
	global_store_byte v[2:3], v6, off
.LBB79_988:
	s_and_b64 vcc, exec, s[12:13]
	s_cbranch_vccz .LBB79_992
; %bb.989:
	s_add_i32 s14, s93, 0xbc100000
	s_and_b64 s[12:13], s[46:47], exec
	s_cselect_b32 s12, s63, s62
	s_cmp_lt_u32 s14, 0xf8900000
	v_mov_b32_e32 v0, s12
	s_cbranch_scc1 .LBB79_991
; %bb.990:
	v_bfe_u32 v0, v4, 20, 1
	s_mov_b32 s12, 0x407ffff
	v_add3_u32 v0, v4, v0, s12
	v_lshrrev_b32_e32 v5, 20, v0
	v_and_b32_e32 v0, 0xff00000, v0
	s_mov_b32 s12, 0x7f00000
	v_mov_b32_e32 v6, 0x7e
	v_cmp_ne_u32_e32 vcc, s12, v0
	v_cndmask_b32_e32 v0, v6, v5, vcc
.LBB79_991:
	v_lshrrev_b32_e32 v5, 24, v4
	s_movk_i32 s12, 0x80
	v_and_or_b32 v0, v5, s12, v0
	global_store_byte v[2:3], v0, off
.LBB79_992:
	s_mov_b64 s[12:13], 0
.LBB79_993:
	s_andn2_b64 vcc, exec, s[12:13]
	s_cbranch_vccnz .LBB79_997
; %bb.994:
	s_add_i32 s93, s93, 0xb8800000
	s_and_b64 s[12:13], s[44:45], exec
	s_cselect_b32 s12, s59, s58
	s_cmp_lt_u32 s93, 0xf1000000
	v_mov_b32_e32 v0, s12
	s_cbranch_scc1 .LBB79_996
; %bb.995:
	v_bfe_u32 v0, v4, 21, 1
	s_mov_b32 s12, 0x80fffff
	v_add3_u32 v0, v4, v0, s12
	v_lshrrev_b32_e32 v0, 21, v0
.LBB79_996:
	v_lshrrev_b32_e32 v5, 24, v4
	s_movk_i32 s12, 0x80
	v_and_or_b32 v0, v5, s12, v0
	global_store_byte v[2:3], v0, off
.LBB79_997:
	s_mov_b64 s[12:13], 0
.LBB79_998:
	s_andn2_b64 vcc, exec, s[12:13]
	s_mov_b64 s[12:13], 0
	s_cbranch_vccnz .LBB79_1005
; %bb.999:
	v_cmp_lt_i16_e32 vcc, 14, v1
	s_mov_b64 s[14:15], -1
	s_cbranch_vccz .LBB79_1003
; %bb.1000:
	v_cmp_eq_u16_e32 vcc, 15, v1
	s_mov_b64 s[0:1], -1
	s_cbranch_vccz .LBB79_1002
; %bb.1001:
	v_bfe_u32 v0, v4, 16, 1
	s_movk_i32 s0, 0x7fff
	v_add3_u32 v0, v4, v0, s0
	v_lshrrev_b32_e32 v0, 16, v0
	v_mov_b32_e32 v5, 0x7fc0
	v_cmp_o_f32_e32 vcc, v4, v4
	v_cndmask_b32_e32 v0, v5, v0, vcc
	global_store_short v[2:3], v0, off
	s_mov_b64 s[0:1], 0
.LBB79_1002:
	s_mov_b64 s[14:15], 0
.LBB79_1003:
	s_and_b64 vcc, exec, s[14:15]
	s_cbranch_vccz .LBB79_1005
; %bb.1004:
	v_cmp_ne_u16_e32 vcc, 11, v1
	s_andn2_b64 s[0:1], s[0:1], exec
	s_and_b64 s[14:15], vcc, exec
	s_mov_b64 s[12:13], -1
	s_or_b64 s[0:1], s[0:1], s[14:15]
.LBB79_1005:
	s_andn2_b64 s[14:15], s[70:71], exec
	s_and_b64 s[0:1], s[0:1], exec
	s_and_b64 s[10:11], s[10:11], exec
	;; [unrolled: 1-line block ×3, first 2 shown]
	s_or_b64 s[70:71], s[14:15], s[0:1]
	s_or_b64 exec, exec, s[8:9]
	s_and_saveexec_b64 s[0:1], s[70:71]
	s_cbranch_execz .LBB79_952
.LBB79_1006:
	s_or_b64 s[2:3], s[2:3], exec
	s_andn2_b64 s[12:13], s[12:13], exec
	s_trap 2
	s_or_b64 exec, exec, s[0:1]
	s_and_saveexec_b64 s[0:1], s[12:13]
	s_xor_b64 s[0:1], exec, s[0:1]
	s_cbranch_execnz .LBB79_953
.LBB79_1007:
	s_or_b64 exec, exec, s[0:1]
	s_and_saveexec_b64 s[0:1], s[10:11]
	s_xor_b64 s[0:1], exec, s[0:1]
	s_cbranch_execz .LBB79_1045
.LBB79_1008:
	s_waitcnt vmcnt(0)
	v_cmp_gt_i16_e32 vcc, 5, v1
	s_mov_b64 s[8:9], -1
	s_cbranch_vccnz .LBB79_1029
; %bb.1009:
	v_cmp_gt_i16_e32 vcc, 8, v1
	s_cbranch_vccnz .LBB79_1019
; %bb.1010:
	v_cmp_gt_i16_e32 vcc, 9, v1
	s_cbranch_vccnz .LBB79_1016
; %bb.1011:
	v_cmp_lt_i16_e32 vcc, 9, v1
	s_cbranch_vccz .LBB79_1013
; %bb.1012:
	v_mov_b32_e32 v8, 0
	v_cvt_f64_f32_e32 v[6:7], v4
	v_mov_b32_e32 v9, v8
	s_mov_b64 s[8:9], 0
	global_store_dwordx4 v[2:3], v[6:9], off
.LBB79_1013:
	s_andn2_b64 vcc, exec, s[8:9]
	s_cbranch_vccnz .LBB79_1015
; %bb.1014:
	v_mov_b32_e32 v5, 0
	global_store_dwordx2 v[2:3], v[4:5], off
.LBB79_1015:
	s_mov_b64 s[8:9], 0
.LBB79_1016:
	s_andn2_b64 vcc, exec, s[8:9]
	s_cbranch_vccnz .LBB79_1018
; %bb.1017:
	v_cvt_f16_f32_e32 v0, v4
	global_store_dword v[2:3], v0, off
.LBB79_1018:
	s_mov_b64 s[8:9], 0
.LBB79_1019:
	s_andn2_b64 vcc, exec, s[8:9]
	s_cbranch_vccnz .LBB79_1028
; %bb.1020:
	v_cmp_gt_i16_e32 vcc, 6, v1
	s_mov_b64 s[8:9], -1
	s_cbranch_vccnz .LBB79_1026
; %bb.1021:
	v_cmp_lt_i16_e32 vcc, 6, v1
	s_cbranch_vccz .LBB79_1023
; %bb.1022:
	v_cvt_f64_f32_e32 v[6:7], v4
	s_mov_b64 s[8:9], 0
	global_store_dwordx2 v[2:3], v[6:7], off
.LBB79_1023:
	s_andn2_b64 vcc, exec, s[8:9]
	s_cbranch_vccnz .LBB79_1025
; %bb.1024:
	global_store_dword v[2:3], v4, off
.LBB79_1025:
	s_mov_b64 s[8:9], 0
.LBB79_1026:
	s_andn2_b64 vcc, exec, s[8:9]
	s_cbranch_vccnz .LBB79_1028
; %bb.1027:
	v_cvt_f16_f32_e32 v0, v4
	global_store_short v[2:3], v0, off
.LBB79_1028:
	s_mov_b64 s[8:9], 0
.LBB79_1029:
	s_andn2_b64 vcc, exec, s[8:9]
	s_cbranch_vccnz .LBB79_1045
; %bb.1030:
	v_cmp_gt_i16_e32 vcc, 2, v1
	s_mov_b64 s[8:9], -1
	s_cbranch_vccnz .LBB79_1040
; %bb.1031:
	v_cmp_gt_i16_e32 vcc, 3, v1
	s_cbranch_vccnz .LBB79_1037
; %bb.1032:
	v_cmp_lt_i16_e32 vcc, 3, v1
	s_cbranch_vccz .LBB79_1034
; %bb.1033:
	v_trunc_f32_e32 v0, v4
	s_mov_b32 s8, 0x2f800000
	v_mul_f32_e64 v5, |v0|, s8
	v_floor_f32_e32 v5, v5
	s_mov_b32 s8, 0xcf800000
	v_cvt_u32_f32_e32 v6, v5
	v_fma_f32 v5, v5, s8, |v0|
	v_cvt_u32_f32_e32 v5, v5
	v_ashrrev_i32_e32 v0, 31, v0
	v_xor_b32_e32 v7, v6, v0
	s_mov_b64 s[8:9], 0
	v_xor_b32_e32 v5, v5, v0
	v_sub_co_u32_e32 v6, vcc, v5, v0
	v_subb_co_u32_e32 v7, vcc, v7, v0, vcc
	global_store_dwordx2 v[2:3], v[6:7], off
.LBB79_1034:
	s_andn2_b64 vcc, exec, s[8:9]
	s_cbranch_vccnz .LBB79_1036
; %bb.1035:
	v_cvt_i32_f32_e32 v0, v4
	global_store_dword v[2:3], v0, off
.LBB79_1036:
	s_mov_b64 s[8:9], 0
.LBB79_1037:
	s_andn2_b64 vcc, exec, s[8:9]
	s_cbranch_vccnz .LBB79_1039
; %bb.1038:
	v_cvt_i32_f32_e32 v0, v4
	global_store_short v[2:3], v0, off
.LBB79_1039:
	s_mov_b64 s[8:9], 0
.LBB79_1040:
	s_andn2_b64 vcc, exec, s[8:9]
	s_cbranch_vccnz .LBB79_1045
; %bb.1041:
	v_cmp_lt_i16_e32 vcc, 0, v1
	s_mov_b64 s[8:9], -1
	s_cbranch_vccz .LBB79_1043
; %bb.1042:
	v_cvt_i32_f32_e32 v0, v4
	s_mov_b64 s[8:9], 0
	global_store_byte v[2:3], v0, off
.LBB79_1043:
	s_andn2_b64 vcc, exec, s[8:9]
	s_cbranch_vccnz .LBB79_1045
; %bb.1044:
	v_trunc_f32_e32 v0, v4
	s_mov_b32 s8, 0x2f800000
	v_mul_f32_e64 v1, |v0|, s8
	v_floor_f32_e32 v1, v1
	s_mov_b32 s8, 0xcf800000
	v_fma_f32 v1, v1, s8, |v0|
	v_cvt_u32_f32_e32 v1, v1
	v_ashrrev_i32_e32 v0, 31, v0
	v_xor_b32_e32 v1, v1, v0
	v_sub_u32_e32 v0, v1, v0
	global_store_byte v[2:3], v0, off
.LBB79_1045:
	s_or_b64 exec, exec, s[0:1]
	s_and_b64 s[28:29], s[2:3], exec
                                        ; implicit-def: $vgpr9
                                        ; implicit-def: $vgpr8
.LBB79_1046:
	s_or_saveexec_b64 s[30:31], s[42:43]
	s_mov_b64 s[0:1], 0
                                        ; implicit-def: $vgpr0_vgpr1
                                        ; implicit-def: $sgpr16
                                        ; implicit-def: $vgpr2
	s_xor_b64 exec, exec, s[30:31]
	s_cbranch_execz .LBB79_2014
; %bb.1047:
	v_cndmask_b32_e64 v0, 0, 1, s[40:41]
	v_cmp_ne_u32_e64 s[0:1], 1, v0
	s_andn2_b64 vcc, exec, s[40:41]
	s_cbranch_vccnz .LBB79_1054
; %bb.1048:
	s_mov_b32 s2, 0
	s_cmp_lg_u32 s33, 0
	v_mov_b32_e32 v14, 0
	v_mov_b32_e32 v6, 0
	s_cbranch_scc0 .LBB79_1053
; %bb.1049:
	s_waitcnt lgkmcnt(0)
	s_min_u32 s38, s92, 15
	s_add_i32 s38, s38, 1
	s_cmp_eq_u32 s92, 2
	s_cbranch_scc1 .LBB79_1055
; %bb.1050:
	s_add_u32 s6, s34, 0xc4
	s_addc_u32 s7, s35, 0
	s_and_b32 s2, s38, 28
	s_mov_b32 s3, 0
	v_mov_b32_e32 v6, 0
	s_mov_b64 s[36:37], s[34:35]
	v_mov_b32_e32 v0, v8
	v_mov_b32_e32 v14, 0
.LBB79_1051:                            ; =>This Inner Loop Header: Depth=1
	s_load_dwordx8 s[16:23], s[36:37], 0x4
	s_load_dwordx4 s[24:27], s[36:37], 0x24
	s_load_dwordx8 s[8:15], s[6:7], 0x0
	s_add_u32 s36, s36, 48
	s_addc_u32 s37, s37, 0
	s_waitcnt vmcnt(0) lgkmcnt(0)
	v_mul_hi_u32 v1, s17, v0
	v_add_u32_e32 v1, v0, v1
	v_lshrrev_b32_e32 v1, s18, v1
	v_mul_lo_u32 v2, v1, s16
	v_mul_hi_u32 v3, s20, v1
	v_sub_u32_e32 v0, v0, v2
	v_add_u32_e32 v2, v1, v3
	v_lshrrev_b32_e32 v2, s21, v2
	v_mul_lo_u32 v4, v2, s19
	v_mul_hi_u32 v5, s23, v2
	v_sub_u32_e32 v1, v1, v4
	v_add_u32_e32 v4, v2, v5
	v_mul_lo_u32 v3, v0, s9
	v_mul_lo_u32 v0, v0, s8
	;; [unrolled: 1-line block ×4, first 2 shown]
	v_lshrrev_b32_e32 v4, s24, v4
	v_add3_u32 v1, v0, v6, v1
	v_add3_u32 v3, v3, v14, v5
	v_mul_lo_u32 v0, v4, s22
	v_mul_hi_u32 v5, s26, v4
	v_sub_u32_e32 v0, v2, v0
	v_add_u32_e32 v2, v4, v5
	v_mul_lo_u32 v5, v0, s12
	v_mul_lo_u32 v6, v0, s13
	v_lshrrev_b32_e32 v0, s27, v2
	s_add_i32 s3, s3, 4
	v_mul_lo_u32 v2, v0, s25
	s_add_u32 s6, s6, 32
	v_sub_u32_e32 v2, v4, v2
	s_addc_u32 s7, s7, 0
	v_mul_lo_u32 v4, v2, s14
	v_mul_lo_u32 v2, v2, s15
	s_cmp_lg_u32 s2, s3
	v_add3_u32 v14, v6, v3, v2
	v_add3_u32 v6, v5, v1, v4
	s_cbranch_scc1 .LBB79_1051
; %bb.1052:
	v_mov_b32_e32 v7, v14
	s_and_b32 s8, s38, 3
	s_cmp_eq_u32 s8, 0
	s_cbranch_scc0 .LBB79_1056
.LBB79_1053:
	s_cbranch_execz .LBB79_1059
	s_branch .LBB79_1061
.LBB79_1054:
                                        ; implicit-def: $vgpr14
                                        ; implicit-def: $vgpr6
	s_branch .LBB79_1059
.LBB79_1055:
	s_mov_b32 s3, s2
	s_waitcnt vmcnt(0)
	v_pk_mov_b32 v[6:7], s[2:3], s[2:3] op_sel:[0,1]
                                        ; implicit-def: $vgpr14
	v_mov_b32_e32 v0, v8
	s_and_b32 s8, s38, 3
	s_cmp_eq_u32 s8, 0
	s_cbranch_scc1 .LBB79_1053
.LBB79_1056:
	s_lshl_b32 s3, s2, 3
	s_add_u32 s3, s3, s34
	s_addc_u32 s7, 0, s35
	s_add_u32 s6, s3, 0xc4
	s_addc_u32 s7, s7, 0
	s_mul_i32 s2, s2, 12
	s_add_u32 s2, s34, s2
	s_addc_u32 s3, 0, s35
.LBB79_1057:                            ; =>This Inner Loop Header: Depth=1
	s_load_dwordx2 s[10:11], s[2:3], 0x4
	s_load_dword s9, s[2:3], 0xc
	s_load_dwordx2 s[12:13], s[6:7], 0x0
	s_add_u32 s2, s2, 12
	s_addc_u32 s3, s3, 0
	s_waitcnt lgkmcnt(0)
	v_mul_hi_u32 v1, s11, v0
	v_add_u32_e32 v1, v0, v1
	v_lshrrev_b32_e32 v1, s9, v1
	v_mul_lo_u32 v3, v1, s10
	v_mov_b32_e32 v2, v7
	s_add_u32 s6, s6, 8
	v_sub_u32_e32 v4, v0, v3
	s_addc_u32 s7, s7, 0
	s_add_i32 s8, s8, -1
	v_mad_u64_u32 v[2:3], s[10:11], v4, s13, v[2:3]
	v_mad_u64_u32 v[6:7], s[10:11], v4, s12, v[6:7]
	s_cmp_lg_u32 s8, 0
	v_mov_b32_e32 v0, v1
	v_mov_b32_e32 v7, v2
	s_cbranch_scc1 .LBB79_1057
; %bb.1058:
	v_mov_b32_e32 v14, v7
	s_cbranch_execnz .LBB79_1061
.LBB79_1059:
	s_load_dwordx4 s[8:11], s[34:35], 0x4
	s_load_dwordx2 s[2:3], s[34:35], 0xc4
	s_cmp_lt_u32 s33, 2
	s_waitcnt lgkmcnt(0)
	v_mul_hi_u32 v0, s9, v8
	v_add_u32_e32 v0, v8, v0
	v_lshrrev_b32_e32 v0, s10, v0
	s_waitcnt vmcnt(0)
	v_mul_lo_u32 v1, v0, s8
	v_sub_u32_e32 v1, v8, v1
	v_mul_lo_u32 v14, v1, s3
	v_mul_lo_u32 v6, v1, s2
	s_cbranch_scc1 .LBB79_1061
; %bb.1060:
	s_load_dwordx4 s[8:11], s[34:35], 0x10
	s_load_dwordx2 s[2:3], s[34:35], 0xcc
	s_waitcnt lgkmcnt(0)
	v_mul_hi_u32 v1, s9, v0
	v_add_u32_e32 v1, v0, v1
	v_lshrrev_b32_e32 v1, s10, v1
	v_mul_lo_u32 v1, v1, s8
	v_sub_u32_e32 v0, v0, v1
	v_mad_u64_u32 v[6:7], s[6:7], v0, s2, v[6:7]
	v_mad_u64_u32 v[14:15], s[2:3], v0, s3, v[14:15]
.LBB79_1061:
	s_and_b64 vcc, exec, s[0:1]
	v_add_u32_e32 v0, 0x80, v8
	s_cbranch_vccnz .LBB79_1068
; %bb.1062:
	s_mov_b32 s2, 0
	s_cmp_lg_u32 s33, 0
	v_mov_b32_e32 v12, 0
	v_mov_b32_e32 v4, 0
	s_cbranch_scc0 .LBB79_1067
; %bb.1063:
	s_waitcnt lgkmcnt(0)
	s_min_u32 s38, s92, 15
	s_add_i32 s38, s38, 1
	s_cmp_eq_u32 s92, 2
	s_cbranch_scc1 .LBB79_1069
; %bb.1064:
	s_add_u32 s6, s34, 0xc4
	s_addc_u32 s7, s35, 0
	s_and_b32 s2, s38, 28
	s_mov_b32 s3, 0
	v_mov_b32_e32 v4, 0
	s_mov_b64 s[36:37], s[34:35]
	s_waitcnt vmcnt(0)
	v_mov_b32_e32 v1, v0
	v_mov_b32_e32 v12, 0
.LBB79_1065:                            ; =>This Inner Loop Header: Depth=1
	s_load_dwordx8 s[16:23], s[36:37], 0x4
	s_load_dwordx4 s[24:27], s[36:37], 0x24
	s_load_dwordx8 s[8:15], s[6:7], 0x0
	s_add_u32 s36, s36, 48
	s_addc_u32 s37, s37, 0
	s_waitcnt lgkmcnt(0)
	v_mul_hi_u32 v2, s17, v1
	v_add_u32_e32 v2, v1, v2
	v_lshrrev_b32_e32 v2, s18, v2
	v_mul_lo_u32 v3, v2, s16
	v_mul_hi_u32 v5, s20, v2
	v_sub_u32_e32 v1, v1, v3
	v_add_u32_e32 v3, v2, v5
	v_lshrrev_b32_e32 v3, s21, v3
	v_mul_lo_u32 v7, v3, s19
	v_mul_hi_u32 v10, s23, v3
	v_sub_u32_e32 v2, v2, v7
	v_add_u32_e32 v7, v3, v10
	v_mul_lo_u32 v5, v1, s9
	v_mul_lo_u32 v1, v1, s8
	;; [unrolled: 1-line block ×4, first 2 shown]
	v_lshrrev_b32_e32 v7, s24, v7
	v_add3_u32 v2, v1, v4, v2
	v_add3_u32 v4, v5, v12, v10
	v_mul_lo_u32 v1, v7, s22
	v_mul_hi_u32 v5, s26, v7
	v_sub_u32_e32 v1, v3, v1
	v_add_u32_e32 v3, v7, v5
	v_mul_lo_u32 v5, v1, s12
	v_mul_lo_u32 v10, v1, s13
	v_lshrrev_b32_e32 v1, s27, v3
	s_add_i32 s3, s3, 4
	v_mul_lo_u32 v3, v1, s25
	s_add_u32 s6, s6, 32
	v_sub_u32_e32 v3, v7, v3
	s_addc_u32 s7, s7, 0
	v_mul_lo_u32 v7, v3, s14
	v_mul_lo_u32 v3, v3, s15
	s_cmp_lg_u32 s2, s3
	v_add3_u32 v12, v10, v4, v3
	v_add3_u32 v4, v5, v2, v7
	s_cbranch_scc1 .LBB79_1065
; %bb.1066:
	v_mov_b32_e32 v5, v12
	s_and_b32 s8, s38, 3
	s_cmp_eq_u32 s8, 0
	s_cbranch_scc0 .LBB79_1070
.LBB79_1067:
	s_cbranch_execz .LBB79_1073
	s_branch .LBB79_1075
.LBB79_1068:
                                        ; implicit-def: $vgpr12
                                        ; implicit-def: $vgpr4
	s_branch .LBB79_1073
.LBB79_1069:
	s_mov_b32 s3, s2
	v_pk_mov_b32 v[4:5], s[2:3], s[2:3] op_sel:[0,1]
                                        ; implicit-def: $vgpr12
	s_waitcnt vmcnt(0)
	v_mov_b32_e32 v1, v0
	s_and_b32 s8, s38, 3
	s_cmp_eq_u32 s8, 0
	s_cbranch_scc1 .LBB79_1067
.LBB79_1070:
	s_lshl_b32 s3, s2, 3
	s_add_u32 s3, s3, s34
	s_addc_u32 s7, 0, s35
	s_add_u32 s6, s3, 0xc4
	s_addc_u32 s7, s7, 0
	s_mul_i32 s2, s2, 12
	s_add_u32 s2, s34, s2
	s_addc_u32 s3, 0, s35
.LBB79_1071:                            ; =>This Inner Loop Header: Depth=1
	s_load_dwordx2 s[10:11], s[2:3], 0x4
	s_load_dword s9, s[2:3], 0xc
	s_load_dwordx2 s[12:13], s[6:7], 0x0
	s_add_u32 s2, s2, 12
	v_mov_b32_e32 v2, v5
	s_waitcnt lgkmcnt(0)
	v_mul_hi_u32 v3, s11, v1
	v_add_u32_e32 v3, v1, v3
	v_lshrrev_b32_e32 v3, s9, v3
	s_addc_u32 s3, s3, 0
	v_mul_lo_u32 v5, v3, s10
	s_add_u32 s6, s6, 8
	v_sub_u32_e32 v5, v1, v5
	s_addc_u32 s7, s7, 0
	s_add_i32 s8, s8, -1
	v_mov_b32_e32 v1, v3
	v_mad_u64_u32 v[2:3], s[10:11], v5, s13, v[2:3]
	v_mad_u64_u32 v[4:5], s[10:11], v5, s12, v[4:5]
	s_cmp_lg_u32 s8, 0
	v_mov_b32_e32 v5, v2
	s_cbranch_scc1 .LBB79_1071
; %bb.1072:
	v_mov_b32_e32 v12, v5
	s_cbranch_execnz .LBB79_1075
.LBB79_1073:
	s_load_dwordx4 s[8:11], s[34:35], 0x4
	s_load_dwordx2 s[2:3], s[34:35], 0xc4
	s_cmp_lt_u32 s33, 2
	s_waitcnt vmcnt(0) lgkmcnt(0)
	v_mul_hi_u32 v1, s9, v0
	v_add_u32_e32 v1, v0, v1
	v_lshrrev_b32_e32 v1, s10, v1
	v_mul_lo_u32 v2, v1, s8
	v_sub_u32_e32 v0, v0, v2
	v_mul_lo_u32 v12, v0, s3
	v_mul_lo_u32 v4, v0, s2
	s_cbranch_scc1 .LBB79_1075
; %bb.1074:
	s_load_dwordx4 s[8:11], s[34:35], 0x10
	s_load_dwordx2 s[2:3], s[34:35], 0xcc
	s_waitcnt lgkmcnt(0)
	v_mul_hi_u32 v0, s9, v1
	v_add_u32_e32 v0, v1, v0
	v_lshrrev_b32_e32 v0, s10, v0
	v_mul_lo_u32 v0, v0, s8
	v_sub_u32_e32 v0, v1, v0
	v_mad_u64_u32 v[4:5], s[6:7], v0, s2, v[4:5]
	v_mad_u64_u32 v[12:13], s[2:3], v0, s3, v[12:13]
.LBB79_1075:
	s_and_b64 vcc, exec, s[0:1]
	v_add_u32_e32 v0, 0x100, v8
	s_cbranch_vccnz .LBB79_1082
; %bb.1076:
	s_mov_b32 s2, 0
	s_cmp_lg_u32 s33, 0
	v_mov_b32_e32 v10, 0
	v_mov_b32_e32 v2, 0
	s_cbranch_scc0 .LBB79_1081
; %bb.1077:
	s_waitcnt lgkmcnt(0)
	s_min_u32 s38, s92, 15
	s_add_i32 s38, s38, 1
	s_cmp_eq_u32 s92, 2
	s_cbranch_scc1 .LBB79_1083
; %bb.1078:
	s_add_u32 s6, s34, 0xc4
	s_addc_u32 s7, s35, 0
	s_and_b32 s2, s38, 28
	s_mov_b32 s3, 0
	v_mov_b32_e32 v2, 0
	s_mov_b64 s[36:37], s[34:35]
	s_waitcnt vmcnt(0)
	v_mov_b32_e32 v1, v0
	v_mov_b32_e32 v10, 0
.LBB79_1079:                            ; =>This Inner Loop Header: Depth=1
	s_load_dwordx8 s[16:23], s[36:37], 0x4
	s_load_dwordx4 s[24:27], s[36:37], 0x24
	s_load_dwordx8 s[8:15], s[6:7], 0x0
	s_add_u32 s36, s36, 48
	s_addc_u32 s37, s37, 0
	s_waitcnt lgkmcnt(0)
	v_mul_hi_u32 v3, s17, v1
	v_add_u32_e32 v3, v1, v3
	v_lshrrev_b32_e32 v3, s18, v3
	v_mul_lo_u32 v5, v3, s16
	v_mul_hi_u32 v7, s20, v3
	v_sub_u32_e32 v1, v1, v5
	v_add_u32_e32 v5, v3, v7
	v_lshrrev_b32_e32 v5, s21, v5
	v_mul_lo_u32 v8, v5, s19
	v_mul_hi_u32 v11, s23, v5
	v_sub_u32_e32 v3, v3, v8
	v_add_u32_e32 v8, v5, v11
	v_mul_lo_u32 v7, v1, s9
	v_mul_lo_u32 v1, v1, s8
	;; [unrolled: 1-line block ×4, first 2 shown]
	v_lshrrev_b32_e32 v8, s24, v8
	v_add3_u32 v2, v1, v2, v3
	v_add3_u32 v3, v7, v10, v11
	v_mul_lo_u32 v1, v8, s22
	v_mul_hi_u32 v7, s26, v8
	v_sub_u32_e32 v1, v5, v1
	v_add_u32_e32 v5, v8, v7
	v_mul_lo_u32 v7, v1, s12
	v_mul_lo_u32 v10, v1, s13
	v_lshrrev_b32_e32 v1, s27, v5
	s_add_i32 s3, s3, 4
	v_mul_lo_u32 v5, v1, s25
	s_add_u32 s6, s6, 32
	v_sub_u32_e32 v5, v8, v5
	s_addc_u32 s7, s7, 0
	v_mul_lo_u32 v8, v5, s14
	v_mul_lo_u32 v5, v5, s15
	s_cmp_lg_u32 s2, s3
	v_add3_u32 v10, v10, v3, v5
	v_add3_u32 v2, v7, v2, v8
	s_cbranch_scc1 .LBB79_1079
; %bb.1080:
	v_mov_b32_e32 v3, v10
	s_and_b32 s8, s38, 3
	s_cmp_eq_u32 s8, 0
	s_cbranch_scc0 .LBB79_1084
.LBB79_1081:
	s_cbranch_execz .LBB79_1087
	s_branch .LBB79_1089
.LBB79_1082:
                                        ; implicit-def: $vgpr10
                                        ; implicit-def: $vgpr2
	s_branch .LBB79_1087
.LBB79_1083:
	s_mov_b32 s3, s2
	v_pk_mov_b32 v[2:3], s[2:3], s[2:3] op_sel:[0,1]
                                        ; implicit-def: $vgpr10
	s_waitcnt vmcnt(0)
	v_mov_b32_e32 v1, v0
	s_and_b32 s8, s38, 3
	s_cmp_eq_u32 s8, 0
	s_cbranch_scc1 .LBB79_1081
.LBB79_1084:
	s_lshl_b32 s3, s2, 3
	s_add_u32 s3, s3, s34
	s_addc_u32 s7, 0, s35
	s_add_u32 s6, s3, 0xc4
	s_addc_u32 s7, s7, 0
	s_mul_i32 s2, s2, 12
	s_add_u32 s2, s34, s2
	s_addc_u32 s3, 0, s35
.LBB79_1085:                            ; =>This Inner Loop Header: Depth=1
	s_load_dwordx2 s[10:11], s[2:3], 0x4
	s_load_dword s9, s[2:3], 0xc
	s_load_dwordx2 s[12:13], s[6:7], 0x0
	v_mov_b32_e32 v8, v3
	s_add_u32 s2, s2, 12
	s_waitcnt lgkmcnt(0)
	v_mul_hi_u32 v3, s11, v1
	v_add_u32_e32 v3, v1, v3
	v_lshrrev_b32_e32 v3, s9, v3
	s_addc_u32 s3, s3, 0
	v_mul_lo_u32 v5, v3, s10
	s_add_u32 s6, s6, 8
	v_sub_u32_e32 v5, v1, v5
	s_addc_u32 s7, s7, 0
	s_add_i32 s8, s8, -1
	v_mov_b32_e32 v1, v3
	v_mad_u64_u32 v[10:11], s[10:11], v5, s13, v[8:9]
	v_mad_u64_u32 v[2:3], s[10:11], v5, s12, v[2:3]
	s_cmp_lg_u32 s8, 0
	v_mov_b32_e32 v3, v10
	s_cbranch_scc1 .LBB79_1085
; %bb.1086:
	v_mov_b32_e32 v10, v3
	s_cbranch_execnz .LBB79_1089
.LBB79_1087:
	s_load_dwordx4 s[8:11], s[34:35], 0x4
	s_load_dwordx2 s[2:3], s[34:35], 0xc4
	s_cmp_lt_u32 s33, 2
	s_waitcnt vmcnt(0) lgkmcnt(0)
	v_mul_hi_u32 v1, s9, v0
	v_add_u32_e32 v1, v0, v1
	v_lshrrev_b32_e32 v1, s10, v1
	v_mul_lo_u32 v2, v1, s8
	v_sub_u32_e32 v0, v0, v2
	v_mul_lo_u32 v10, v0, s3
	v_mul_lo_u32 v2, v0, s2
	s_cbranch_scc1 .LBB79_1089
; %bb.1088:
	s_load_dwordx4 s[8:11], s[34:35], 0x10
	s_load_dwordx2 s[2:3], s[34:35], 0xcc
	s_waitcnt lgkmcnt(0)
	v_mul_hi_u32 v0, s9, v1
	v_add_u32_e32 v0, v1, v0
	v_lshrrev_b32_e32 v0, s10, v0
	v_mul_lo_u32 v0, v0, s8
	v_sub_u32_e32 v0, v1, v0
	v_mad_u64_u32 v[2:3], s[6:7], v0, s2, v[2:3]
	v_mad_u64_u32 v[10:11], s[2:3], v0, s3, v[10:11]
.LBB79_1089:
	s_and_b64 vcc, exec, s[0:1]
	s_cbranch_vccnz .LBB79_1096
; %bb.1090:
	s_mov_b32 s6, 0
	s_cmp_lg_u32 s33, 0
	v_mov_b32_e32 v8, 0
	v_mov_b32_e32 v0, 0
	s_cbranch_scc0 .LBB79_1095
; %bb.1091:
	s_waitcnt lgkmcnt(0)
	s_min_u32 s36, s92, 15
	s_add_i32 s36, s36, 1
	s_cmp_eq_u32 s92, 2
	s_cbranch_scc1 .LBB79_1097
; %bb.1092:
	s_add_u32 s24, s34, 0xc4
	s_addc_u32 s25, s35, 0
	s_and_b32 s6, s36, 28
	s_mov_b32 s7, 0
	v_mov_b32_e32 v0, 0
	s_mov_b64 s[26:27], s[34:35]
	v_mov_b32_e32 v3, v9
	v_mov_b32_e32 v8, 0
.LBB79_1093:                            ; =>This Inner Loop Header: Depth=1
	s_load_dwordx8 s[16:23], s[26:27], 0x4
	s_load_dwordx4 s[0:3], s[26:27], 0x24
	s_load_dwordx8 s[8:15], s[24:25], 0x0
	s_add_u32 s26, s26, 48
	s_addc_u32 s27, s27, 0
	s_waitcnt vmcnt(0) lgkmcnt(0)
	v_mul_hi_u32 v1, s17, v3
	v_add_u32_e32 v1, v3, v1
	v_lshrrev_b32_e32 v1, s18, v1
	v_mul_lo_u32 v5, v1, s16
	v_mul_hi_u32 v7, s20, v1
	v_sub_u32_e32 v3, v3, v5
	v_add_u32_e32 v5, v1, v7
	v_lshrrev_b32_e32 v5, s21, v5
	v_mul_lo_u32 v11, v5, s19
	v_mul_hi_u32 v13, s23, v5
	v_sub_u32_e32 v1, v1, v11
	v_add_u32_e32 v11, v5, v13
	v_mul_lo_u32 v7, v3, s9
	v_mul_lo_u32 v3, v3, s8
	;; [unrolled: 1-line block ×4, first 2 shown]
	v_lshrrev_b32_e32 v11, s0, v11
	v_add3_u32 v0, v3, v0, v1
	v_add3_u32 v1, v7, v8, v13
	v_mul_lo_u32 v3, v11, s22
	v_mul_hi_u32 v7, s2, v11
	v_sub_u32_e32 v3, v5, v3
	v_add_u32_e32 v5, v11, v7
	v_mul_lo_u32 v7, v3, s12
	v_mul_lo_u32 v8, v3, s13
	v_lshrrev_b32_e32 v3, s3, v5
	s_add_i32 s7, s7, 4
	v_mul_lo_u32 v5, v3, s1
	s_add_u32 s24, s24, 32
	v_sub_u32_e32 v5, v11, v5
	s_addc_u32 s25, s25, 0
	v_mul_lo_u32 v11, v5, s14
	v_mul_lo_u32 v5, v5, s15
	s_cmp_lg_u32 s6, s7
	v_add3_u32 v8, v8, v1, v5
	v_add3_u32 v0, v7, v0, v11
	s_cbranch_scc1 .LBB79_1093
; %bb.1094:
	v_mov_b32_e32 v1, v8
	s_and_b32 s7, s36, 3
	s_cmp_eq_u32 s7, 0
	s_cbranch_scc0 .LBB79_1098
.LBB79_1095:
	s_cbranch_execz .LBB79_1101
	s_branch .LBB79_1103
.LBB79_1096:
                                        ; implicit-def: $vgpr8
                                        ; implicit-def: $vgpr0
	s_branch .LBB79_1101
.LBB79_1097:
	s_mov_b32 s7, s6
	s_waitcnt vmcnt(0)
	v_pk_mov_b32 v[0:1], s[6:7], s[6:7] op_sel:[0,1]
                                        ; implicit-def: $vgpr8
	v_mov_b32_e32 v3, v9
	s_and_b32 s7, s36, 3
	s_cmp_eq_u32 s7, 0
	s_cbranch_scc1 .LBB79_1095
.LBB79_1098:
	s_lshl_b32 s0, s6, 3
	s_add_u32 s0, s0, s34
	s_addc_u32 s1, 0, s35
	s_add_u32 s0, s0, 0xc4
	s_addc_u32 s1, s1, 0
	s_mul_i32 s2, s6, 12
	s_add_u32 s2, s34, s2
	s_addc_u32 s3, 0, s35
.LBB79_1099:                            ; =>This Inner Loop Header: Depth=1
	s_load_dwordx2 s[8:9], s[2:3], 0x4
	s_load_dword s6, s[2:3], 0xc
	s_load_dwordx2 s[10:11], s[0:1], 0x0
	v_mov_b32_e32 v8, v1
	s_add_u32 s2, s2, 12
	s_waitcnt lgkmcnt(0)
	v_mul_hi_u32 v1, s9, v3
	v_add_u32_e32 v1, v3, v1
	v_lshrrev_b32_e32 v1, s6, v1
	s_addc_u32 s3, s3, 0
	v_mul_lo_u32 v5, v1, s8
	s_add_u32 s0, s0, 8
	v_sub_u32_e32 v5, v3, v5
	s_addc_u32 s1, s1, 0
	s_add_i32 s7, s7, -1
	v_mov_b32_e32 v3, v1
	v_mad_u64_u32 v[16:17], s[8:9], v5, s11, v[8:9]
	v_mad_u64_u32 v[0:1], s[8:9], v5, s10, v[0:1]
	s_cmp_lg_u32 s7, 0
	v_mov_b32_e32 v1, v16
	s_cbranch_scc1 .LBB79_1099
; %bb.1100:
	v_mov_b32_e32 v8, v1
	s_cbranch_execnz .LBB79_1103
.LBB79_1101:
	s_load_dwordx4 s[0:3], s[34:35], 0x4
	s_load_dwordx2 s[6:7], s[34:35], 0xc4
	s_cmp_lt_u32 s33, 2
	s_waitcnt lgkmcnt(0)
	v_mul_hi_u32 v0, s1, v9
	v_add_u32_e32 v0, v9, v0
	s_waitcnt vmcnt(0)
	v_lshrrev_b32_e32 v1, s2, v0
	v_mul_lo_u32 v0, v1, s0
	v_sub_u32_e32 v0, v9, v0
	v_mul_lo_u32 v8, v0, s7
	v_mul_lo_u32 v0, v0, s6
	s_cbranch_scc1 .LBB79_1103
; %bb.1102:
	s_load_dwordx4 s[0:3], s[34:35], 0x10
	s_load_dwordx2 s[6:7], s[34:35], 0xcc
	s_waitcnt lgkmcnt(0)
	v_mul_hi_u32 v3, s1, v1
	v_add_u32_e32 v3, v1, v3
	v_lshrrev_b32_e32 v3, s2, v3
	v_mul_lo_u32 v3, v3, s0
	v_sub_u32_e32 v3, v1, v3
	v_mad_u64_u32 v[0:1], s[0:1], v3, s6, v[0:1]
	v_mad_u64_u32 v[8:9], s[0:1], v3, s7, v[8:9]
.LBB79_1103:
	s_load_dword s0, s[4:5], 0x168
	s_load_dwordx4 s[8:11], s[34:35], 0x148
	s_waitcnt lgkmcnt(0)
	s_lshr_b32 s16, s0, 8
	s_waitcnt vmcnt(0)
	v_mov_b32_e32 v1, s11
	v_add_co_u32_e32 v14, vcc, s10, v14
	v_addc_co_u32_e32 v15, vcc, 0, v1, vcc
	v_mov_b32_e32 v1, 11
	v_cmp_lt_i16_sdwa s[0:1], s16, v1 src0_sel:BYTE_0 src1_sel:DWORD
	s_and_b64 vcc, exec, s[0:1]
	s_cbranch_vccnz .LBB79_1110
; %bb.1104:
	v_mov_b32_e32 v1, 25
	v_cmp_gt_i16_sdwa s[0:1], s16, v1 src0_sel:BYTE_0 src1_sel:DWORD
	s_mov_b64 s[4:5], 0
	s_and_b64 vcc, exec, s[0:1]
	s_cbranch_vccz .LBB79_1112
; %bb.1105:
	v_mov_b32_e32 v1, 28
	v_cmp_gt_i16_sdwa s[0:1], s16, v1 src0_sel:BYTE_0 src1_sel:DWORD
	s_and_b64 vcc, exec, s[0:1]
	s_cbranch_vccz .LBB79_1113
; %bb.1106:
	v_mov_b32_e32 v1, 43
	v_cmp_gt_i16_sdwa s[0:1], s16, v1 src0_sel:BYTE_0 src1_sel:DWORD
	;; [unrolled: 5-line block ×3, first 2 shown]
	s_and_b64 vcc, exec, s[0:1]
	s_cbranch_vccz .LBB79_1115
; %bb.1108:
	v_mov_b32_e32 v1, 46
	v_cmp_eq_u16_sdwa s[0:1], s16, v1 src0_sel:BYTE_0 src1_sel:DWORD
	s_mov_b64 s[2:3], 0
	s_and_b64 vcc, exec, s[0:1]
	s_cbranch_vccz .LBB79_1116
; %bb.1109:
	global_load_dword v1, v[14:15], off
	s_mov_b64 s[0:1], 0
	s_mov_b64 s[6:7], -1
	s_waitcnt vmcnt(0)
	v_lshlrev_b32_e32 v1, 16, v1
	s_branch .LBB79_1117
.LBB79_1110:
	s_mov_b64 s[6:7], 0
                                        ; implicit-def: $vgpr1
	s_mov_b64 s[2:3], s[28:29]
	s_cbranch_execnz .LBB79_1180
.LBB79_1111:
	s_andn2_b64 vcc, exec, s[6:7]
	s_cbranch_vccz .LBB79_1225
	s_branch .LBB79_2012
.LBB79_1112:
	s_mov_b64 s[6:7], 0
	s_mov_b64 s[0:1], 0
                                        ; implicit-def: $vgpr1
	s_cbranch_execnz .LBB79_1145
	s_branch .LBB79_1176
.LBB79_1113:
	s_mov_b64 s[2:3], -1
	s_mov_b64 s[6:7], 0
	s_mov_b64 s[0:1], 0
                                        ; implicit-def: $vgpr1
	s_branch .LBB79_1126
.LBB79_1114:
	s_mov_b64 s[6:7], 0
	s_mov_b64 s[0:1], 0
                                        ; implicit-def: $vgpr1
	s_cbranch_execnz .LBB79_1122
	s_branch .LBB79_1125
.LBB79_1115:
	s_mov_b64 s[2:3], -1
	s_mov_b64 s[6:7], 0
	s_mov_b64 s[0:1], 0
                                        ; implicit-def: $vgpr1
	s_branch .LBB79_1117
.LBB79_1116:
	s_mov_b64 s[0:1], -1
                                        ; implicit-def: $vgpr1
	s_mov_b64 s[6:7], 0
.LBB79_1117:
	s_and_b64 vcc, exec, s[2:3]
	s_cbranch_vccz .LBB79_1120
; %bb.1118:
	v_mov_b32_e32 v1, 44
	v_cmp_eq_u16_sdwa s[0:1], s16, v1 src0_sel:BYTE_0 src1_sel:DWORD
	s_and_b64 vcc, exec, s[0:1]
	s_cbranch_vccz .LBB79_1121
; %bb.1119:
	global_load_ubyte v1, v[14:15], off
	s_movk_i32 s2, 0xff
	v_mov_b32_e32 v3, 0x7f800001
	v_mov_b32_e32 v5, 0x400000
	s_mov_b64 s[0:1], 0
	s_mov_b64 s[6:7], -1
	s_waitcnt vmcnt(0)
	v_lshlrev_b32_e32 v7, 23, v1
	v_cmp_ne_u32_e32 vcc, s2, v1
	v_cndmask_b32_e32 v3, v3, v7, vcc
	v_cmp_ne_u32_e32 vcc, 0, v1
	v_cndmask_b32_e32 v1, v5, v3, vcc
.LBB79_1120:
	s_branch .LBB79_1125
.LBB79_1121:
	s_mov_b64 s[0:1], -1
                                        ; implicit-def: $vgpr1
	s_branch .LBB79_1125
.LBB79_1122:
	v_mov_b32_e32 v1, 29
	v_cmp_eq_u16_sdwa s[0:1], s16, v1 src0_sel:BYTE_0 src1_sel:DWORD
	s_and_b64 vcc, exec, s[0:1]
	s_cbranch_vccz .LBB79_1124
; %bb.1123:
	global_load_dwordx2 v[16:17], v[14:15], off
	s_mov_b64 s[0:1], 0
	s_mov_b64 s[6:7], -1
	s_mov_b64 s[2:3], 0
	s_waitcnt vmcnt(0)
	v_ffbh_u32_e32 v1, v17
	v_min_u32_e32 v1, 32, v1
	v_lshlrev_b64 v[16:17], v1, v[16:17]
	v_min_u32_e32 v3, 1, v16
	v_or_b32_e32 v3, v17, v3
	v_cvt_f32_u32_e32 v3, v3
	v_sub_u32_e32 v1, 32, v1
	v_ldexp_f32 v1, v3, v1
	s_branch .LBB79_1126
.LBB79_1124:
	s_mov_b64 s[0:1], -1
                                        ; implicit-def: $vgpr1
.LBB79_1125:
	s_mov_b64 s[2:3], 0
.LBB79_1126:
	s_and_b64 vcc, exec, s[2:3]
	s_cbranch_vccz .LBB79_1144
; %bb.1127:
	v_mov_b32_e32 v1, 27
	v_cmp_lt_i16_sdwa s[2:3], s16, v1 src0_sel:BYTE_0 src1_sel:DWORD
	s_and_b64 vcc, exec, s[2:3]
	s_cbranch_vccnz .LBB79_1130
; %bb.1128:
	v_cmp_gt_i16_sdwa s[2:3], s16, v1 src0_sel:BYTE_0 src1_sel:DWORD
	s_and_b64 vcc, exec, s[2:3]
	s_cbranch_vccz .LBB79_1131
; %bb.1129:
	global_load_dword v1, v[14:15], off
	s_mov_b64 s[2:3], 0
	s_waitcnt vmcnt(0)
	v_cvt_f32_u32_e32 v1, v1
	s_branch .LBB79_1132
.LBB79_1130:
	s_mov_b64 s[2:3], -1
                                        ; implicit-def: $vgpr1
	s_branch .LBB79_1135
.LBB79_1131:
	s_mov_b64 s[2:3], -1
                                        ; implicit-def: $vgpr1
.LBB79_1132:
	s_andn2_b64 vcc, exec, s[2:3]
	s_cbranch_vccnz .LBB79_1134
; %bb.1133:
	global_load_ushort v1, v[14:15], off
	s_waitcnt vmcnt(0)
	v_cvt_f32_u32_e32 v1, v1
.LBB79_1134:
	s_mov_b64 s[2:3], 0
.LBB79_1135:
	s_andn2_b64 vcc, exec, s[2:3]
	s_cbranch_vccnz .LBB79_1143
; %bb.1136:
	global_load_ubyte v3, v[14:15], off
	s_movk_i32 s2, 0x7f
                                        ; implicit-def: $sgpr14
	s_waitcnt vmcnt(0)
	v_cmp_lt_i16_e32 vcc, s2, v3
	s_mov_b64 s[2:3], 0
	s_and_saveexec_b64 s[6:7], vcc
	s_xor_b64 s[6:7], exec, s[6:7]
	s_cbranch_execz .LBB79_1156
; %bb.1137:
	s_movk_i32 s2, 0x80
	v_cmp_eq_u16_e32 vcc, s2, v3
	s_mov_b64 s[2:3], -1
                                        ; implicit-def: $sgpr14
	s_and_saveexec_b64 s[12:13], vcc
; %bb.1138:
	s_mov_b32 s14, 0x7f800001
	s_xor_b64 s[2:3], exec, -1
; %bb.1139:
	s_or_b64 exec, exec, s[12:13]
	s_and_b64 s[2:3], s[2:3], exec
	s_or_saveexec_b64 s[6:7], s[6:7]
	v_mov_b32_e32 v1, s14
	s_xor_b64 exec, exec, s[6:7]
	s_cbranch_execnz .LBB79_1157
.LBB79_1140:
	s_or_b64 exec, exec, s[6:7]
	s_and_saveexec_b64 s[6:7], s[2:3]
	s_cbranch_execz .LBB79_1142
.LBB79_1141:
	v_lshlrev_b32_e32 v1, 24, v3
	v_and_b32_e32 v3, 0xffff, v3
	v_and_b32_e32 v5, 7, v3
	v_ffbh_u32_e32 v9, v5
	v_min_u32_e32 v9, 32, v9
	v_subrev_u32_e32 v11, 28, v9
	v_bfe_u32 v7, v3, 3, 4
	v_lshlrev_b32_e32 v3, v11, v3
	v_sub_u32_e32 v9, 29, v9
	v_and_b32_e32 v3, 7, v3
	v_cmp_eq_u32_e32 vcc, 0, v7
	v_cndmask_b32_e32 v7, v7, v9, vcc
	v_cndmask_b32_e32 v3, v5, v3, vcc
	v_mov_b32_e32 v5, 0x3b800000
	v_lshlrev_b32_e32 v3, 20, v3
	v_and_b32_e32 v1, 0x80000000, v1
	v_lshl_add_u32 v5, v7, 23, v5
	v_or3_b32 v1, v1, v5, v3
.LBB79_1142:
	s_or_b64 exec, exec, s[6:7]
.LBB79_1143:
	s_mov_b64 s[6:7], -1
.LBB79_1144:
	s_branch .LBB79_1176
.LBB79_1145:
	v_mov_b32_e32 v1, 22
	v_cmp_gt_i16_sdwa s[2:3], s16, v1 src0_sel:BYTE_0 src1_sel:DWORD
	s_and_b64 vcc, exec, s[2:3]
	s_cbranch_vccz .LBB79_1155
; %bb.1146:
	v_mov_b32_e32 v1, 24
	v_cmp_lt_i16_sdwa s[2:3], s16, v1 src0_sel:BYTE_0 src1_sel:DWORD
	s_and_b64 vcc, exec, s[2:3]
	s_cbranch_vccnz .LBB79_1158
; %bb.1147:
	v_cmp_gt_i16_sdwa s[2:3], s16, v1 src0_sel:BYTE_0 src1_sel:DWORD
	s_and_b64 vcc, exec, s[2:3]
	s_cbranch_vccz .LBB79_1159
; %bb.1148:
	global_load_ubyte v3, v[14:15], off
	s_movk_i32 s2, 0x7f
                                        ; implicit-def: $sgpr12
	s_waitcnt vmcnt(0)
	v_cmp_lt_i16_e32 vcc, s2, v3
	s_mov_b64 s[2:3], 0
	s_and_saveexec_b64 s[4:5], vcc
	s_xor_b64 s[4:5], exec, s[4:5]
	s_cbranch_execz .LBB79_1170
; %bb.1149:
	s_movk_i32 s2, 0x80
	v_cmp_eq_u16_e32 vcc, s2, v3
	s_mov_b64 s[2:3], -1
                                        ; implicit-def: $sgpr12
	s_and_saveexec_b64 s[6:7], vcc
; %bb.1150:
	s_mov_b32 s12, 0x7f800001
	s_xor_b64 s[2:3], exec, -1
; %bb.1151:
	s_or_b64 exec, exec, s[6:7]
	s_and_b64 s[2:3], s[2:3], exec
	s_or_saveexec_b64 s[4:5], s[4:5]
	v_mov_b32_e32 v1, s12
	s_xor_b64 exec, exec, s[4:5]
	s_cbranch_execnz .LBB79_1171
.LBB79_1152:
	s_or_b64 exec, exec, s[4:5]
	s_and_saveexec_b64 s[4:5], s[2:3]
	s_cbranch_execz .LBB79_1154
.LBB79_1153:
	v_lshlrev_b32_e32 v1, 24, v3
	v_and_b32_e32 v3, 0xffff, v3
	v_and_b32_e32 v5, 3, v3
	v_ffbh_u32_e32 v9, v5
	v_min_u32_e32 v9, 32, v9
	v_subrev_u32_e32 v11, 29, v9
	v_bfe_u32 v7, v3, 2, 5
	v_lshlrev_b32_e32 v3, v11, v3
	v_sub_u32_e32 v9, 30, v9
	v_and_b32_e32 v3, 3, v3
	v_cmp_eq_u32_e32 vcc, 0, v7
	v_cndmask_b32_e32 v7, v7, v9, vcc
	v_cndmask_b32_e32 v3, v5, v3, vcc
	v_mov_b32_e32 v5, 0x37800000
	v_lshlrev_b32_e32 v3, 21, v3
	v_and_b32_e32 v1, 0x80000000, v1
	v_lshl_add_u32 v5, v7, 23, v5
	v_or3_b32 v1, v1, v5, v3
.LBB79_1154:
	s_or_b64 exec, exec, s[4:5]
	s_mov_b64 s[2:3], 0
	s_branch .LBB79_1160
.LBB79_1155:
                                        ; implicit-def: $vgpr1
	s_mov_b64 s[4:5], 0
	s_branch .LBB79_1166
.LBB79_1156:
	s_or_saveexec_b64 s[6:7], s[6:7]
	v_mov_b32_e32 v1, s14
	s_xor_b64 exec, exec, s[6:7]
	s_cbranch_execz .LBB79_1140
.LBB79_1157:
	v_cmp_ne_u16_e32 vcc, 0, v3
	s_andn2_b64 s[2:3], s[2:3], exec
	s_and_b64 s[12:13], vcc, exec
	v_mov_b32_e32 v1, 0
	s_or_b64 s[2:3], s[2:3], s[12:13]
	s_or_b64 exec, exec, s[6:7]
	s_and_saveexec_b64 s[6:7], s[2:3]
	s_cbranch_execnz .LBB79_1141
	s_branch .LBB79_1142
.LBB79_1158:
	s_mov_b64 s[2:3], -1
                                        ; implicit-def: $vgpr1
	s_branch .LBB79_1163
.LBB79_1159:
	s_mov_b64 s[2:3], -1
                                        ; implicit-def: $vgpr1
.LBB79_1160:
	s_and_b64 vcc, exec, s[2:3]
	s_cbranch_vccz .LBB79_1162
; %bb.1161:
	global_load_ubyte v1, v[14:15], off
	s_mov_b32 s2, 0x7f800000
	s_waitcnt vmcnt(0)
	v_lshlrev_b32_e32 v1, 24, v1
	v_and_b32_e32 v3, 0x7f000000, v1
	v_ffbh_u32_e32 v5, v3
	v_min_u32_e32 v5, 32, v5
	v_sub_u32_e64 v5, v5, 4 clamp
	v_lshlrev_b32_e32 v9, v5, v3
	v_lshlrev_b32_e32 v5, 23, v5
	v_lshrrev_b32_e32 v9, 4, v9
	v_add_u32_e32 v7, 0x1000000, v3
	v_sub_u32_e32 v5, v9, v5
	v_ashrrev_i32_e32 v7, 8, v7
	v_add_u32_e32 v5, 0x3c000000, v5
	v_and_or_b32 v5, v7, s2, v5
	v_cmp_ne_u32_e32 vcc, 0, v3
	v_cndmask_b32_e32 v3, 0, v5, vcc
	s_brev_b32 s2, 1
	v_and_or_b32 v1, v1, s2, v3
.LBB79_1162:
	s_mov_b64 s[2:3], 0
.LBB79_1163:
	s_andn2_b64 vcc, exec, s[2:3]
	s_cbranch_vccnz .LBB79_1165
; %bb.1164:
	global_load_ubyte v1, v[14:15], off
	s_movk_i32 s2, 0x7f00
	s_brev_b32 s3, 16
	s_waitcnt vmcnt(0)
	v_lshlrev_b16_e32 v3, 8, v1
	v_lshlrev_b32_e32 v1, 25, v1
	v_lshrrev_b32_e32 v5, 4, v1
	v_and_or_b32 v7, v3, s2, 0.5
	v_or_b32_e32 v5, 0x70000000, v5
	v_add_f32_e32 v7, -0.5, v7
	v_mul_f32_e32 v5, 0x7800000, v5
	v_cmp_gt_u32_e32 vcc, s3, v1
	v_bfe_i32 v3, v3, 0, 16
	v_cndmask_b32_e32 v1, v5, v7, vcc
	s_brev_b32 s2, 1
	v_and_or_b32 v1, v3, s2, v1
.LBB79_1165:
	s_mov_b64 s[6:7], -1
	s_mov_b64 s[4:5], 0
	s_cbranch_execnz .LBB79_1176
.LBB79_1166:
	v_mov_b32_e32 v1, 14
	v_cmp_gt_i16_sdwa s[2:3], s16, v1 src0_sel:BYTE_0 src1_sel:DWORD
	s_and_b64 vcc, exec, s[2:3]
	s_cbranch_vccz .LBB79_1169
; %bb.1167:
	v_mov_b32_e32 v1, 15
	v_cmp_eq_u16_sdwa s[0:1], s16, v1 src0_sel:BYTE_0 src1_sel:DWORD
	s_and_b64 vcc, exec, s[0:1]
	s_cbranch_vccz .LBB79_1172
; %bb.1168:
	global_load_ushort v1, v[14:15], off
	s_mov_b64 s[0:1], 0
	s_mov_b64 s[6:7], -1
	s_waitcnt vmcnt(0)
	v_lshlrev_b32_e32 v1, 16, v1
	s_branch .LBB79_1173
.LBB79_1169:
	s_mov_b64 s[2:3], -1
                                        ; implicit-def: $vgpr1
	s_branch .LBB79_1174
.LBB79_1170:
	s_or_saveexec_b64 s[4:5], s[4:5]
	v_mov_b32_e32 v1, s12
	s_xor_b64 exec, exec, s[4:5]
	s_cbranch_execz .LBB79_1152
.LBB79_1171:
	v_cmp_ne_u16_e32 vcc, 0, v3
	s_andn2_b64 s[2:3], s[2:3], exec
	s_and_b64 s[6:7], vcc, exec
	v_mov_b32_e32 v1, 0
	s_or_b64 s[2:3], s[2:3], s[6:7]
	s_or_b64 exec, exec, s[4:5]
	s_and_saveexec_b64 s[4:5], s[2:3]
	s_cbranch_execnz .LBB79_1153
	s_branch .LBB79_1154
.LBB79_1172:
	s_mov_b64 s[0:1], -1
                                        ; implicit-def: $vgpr1
.LBB79_1173:
	s_mov_b64 s[2:3], 0
.LBB79_1174:
	s_and_b64 vcc, exec, s[2:3]
	s_cbranch_vccz .LBB79_1176
; %bb.1175:
	v_mov_b32_e32 v1, 11
	v_cmp_ne_u16_sdwa s[0:1], s16, v1 src0_sel:BYTE_0 src1_sel:DWORD
	s_mov_b64 s[4:5], -1
                                        ; implicit-def: $vgpr1
.LBB79_1176:
	s_and_b64 vcc, exec, s[0:1]
	s_mov_b64 s[2:3], s[28:29]
	s_cbranch_vccnz .LBB79_1237
; %bb.1177:
	s_andn2_b64 vcc, exec, s[4:5]
	s_cbranch_vccnz .LBB79_1179
.LBB79_1178:
	global_load_ubyte v1, v[14:15], off
	s_mov_b64 s[6:7], -1
	s_waitcnt vmcnt(0)
	v_cmp_ne_u16_e32 vcc, 0, v1
	v_cndmask_b32_e64 v1, 0, 1.0, vcc
.LBB79_1179:
	s_branch .LBB79_1111
.LBB79_1180:
	v_mov_b32_e32 v1, 5
	v_cmp_lt_i16_sdwa s[0:1], s16, v1 src0_sel:BYTE_0 src1_sel:DWORD
	s_and_b64 vcc, exec, s[0:1]
	s_cbranch_vccnz .LBB79_1185
; %bb.1181:
	v_mov_b32_e32 v1, 8
	v_cmp_lt_i16_sdwa s[0:1], s16, v1 src0_sel:BYTE_0 src1_sel:DWORD
	s_and_b64 vcc, exec, s[0:1]
	s_cbranch_vccnz .LBB79_1186
; %bb.1182:
	;; [unrolled: 5-line block ×3, first 2 shown]
	v_cmp_gt_i16_sdwa s[0:1], s16, v1 src0_sel:BYTE_0 src1_sel:DWORD
	s_and_b64 vcc, exec, s[0:1]
	s_cbranch_vccz .LBB79_1188
; %bb.1184:
	global_load_dwordx2 v[16:17], v[14:15], off
	s_mov_b64 s[0:1], 0
	s_waitcnt vmcnt(0)
	v_cvt_f32_f64_e32 v1, v[16:17]
	s_branch .LBB79_1189
.LBB79_1185:
                                        ; implicit-def: $vgpr1
	s_branch .LBB79_1206
.LBB79_1186:
                                        ; implicit-def: $vgpr1
	s_branch .LBB79_1195
.LBB79_1187:
	s_mov_b64 s[0:1], -1
                                        ; implicit-def: $vgpr1
	s_branch .LBB79_1192
.LBB79_1188:
	s_mov_b64 s[0:1], -1
                                        ; implicit-def: $vgpr1
.LBB79_1189:
	s_andn2_b64 vcc, exec, s[0:1]
	s_cbranch_vccnz .LBB79_1191
; %bb.1190:
	global_load_dword v1, v[14:15], off
.LBB79_1191:
	s_mov_b64 s[0:1], 0
.LBB79_1192:
	s_andn2_b64 vcc, exec, s[0:1]
	s_cbranch_vccnz .LBB79_1194
; %bb.1193:
	global_load_dword v1, v[14:15], off
	s_waitcnt vmcnt(0)
	v_cvt_f32_f16_e32 v1, v1
.LBB79_1194:
	s_cbranch_execnz .LBB79_1205
.LBB79_1195:
	s_waitcnt vmcnt(0)
	v_mov_b32_e32 v1, 6
	v_cmp_lt_i16_sdwa s[0:1], s16, v1 src0_sel:BYTE_0 src1_sel:DWORD
	s_and_b64 vcc, exec, s[0:1]
	s_cbranch_vccnz .LBB79_1198
; %bb.1196:
	v_cmp_gt_i16_sdwa s[0:1], s16, v1 src0_sel:BYTE_0 src1_sel:DWORD
	s_and_b64 vcc, exec, s[0:1]
	s_cbranch_vccz .LBB79_1199
; %bb.1197:
	global_load_dwordx2 v[16:17], v[14:15], off
	s_mov_b64 s[0:1], 0
	s_waitcnt vmcnt(0)
	v_cvt_f32_f64_e32 v1, v[16:17]
	s_branch .LBB79_1200
.LBB79_1198:
	s_mov_b64 s[0:1], -1
                                        ; implicit-def: $vgpr1
	s_branch .LBB79_1203
.LBB79_1199:
	s_mov_b64 s[0:1], -1
                                        ; implicit-def: $vgpr1
.LBB79_1200:
	s_andn2_b64 vcc, exec, s[0:1]
	s_cbranch_vccnz .LBB79_1202
; %bb.1201:
	global_load_dword v1, v[14:15], off
.LBB79_1202:
	s_mov_b64 s[0:1], 0
.LBB79_1203:
	s_andn2_b64 vcc, exec, s[0:1]
	s_cbranch_vccnz .LBB79_1205
; %bb.1204:
	global_load_ushort v1, v[14:15], off
	s_waitcnt vmcnt(0)
	v_cvt_f32_f16_e32 v1, v1
.LBB79_1205:
	s_cbranch_execnz .LBB79_1224
.LBB79_1206:
	s_waitcnt vmcnt(0)
	v_mov_b32_e32 v1, 2
	v_cmp_lt_i16_sdwa s[0:1], s16, v1 src0_sel:BYTE_0 src1_sel:DWORD
	s_and_b64 vcc, exec, s[0:1]
	s_cbranch_vccnz .LBB79_1210
; %bb.1207:
	v_mov_b32_e32 v1, 3
	v_cmp_lt_i16_sdwa s[0:1], s16, v1 src0_sel:BYTE_0 src1_sel:DWORD
	s_and_b64 vcc, exec, s[0:1]
	s_cbranch_vccnz .LBB79_1211
; %bb.1208:
	v_cmp_gt_i16_sdwa s[0:1], s16, v1 src0_sel:BYTE_0 src1_sel:DWORD
	s_and_b64 vcc, exec, s[0:1]
	s_cbranch_vccz .LBB79_1212
; %bb.1209:
	global_load_dwordx2 v[16:17], v[14:15], off
	s_mov_b64 s[0:1], 0
	s_waitcnt vmcnt(0)
	v_xor_b32_e32 v3, v16, v17
	v_ffbh_i32_e32 v1, v17
	v_ashrrev_i32_e32 v3, 31, v3
	v_add_u32_e32 v1, -1, v1
	v_add_u32_e32 v3, 32, v3
	v_min_u32_e32 v1, v1, v3
	v_lshlrev_b64 v[16:17], v1, v[16:17]
	v_min_u32_e32 v3, 1, v16
	v_or_b32_e32 v3, v17, v3
	v_cvt_f32_i32_e32 v3, v3
	v_sub_u32_e32 v1, 32, v1
	v_ldexp_f32 v1, v3, v1
	s_branch .LBB79_1213
.LBB79_1210:
                                        ; implicit-def: $vgpr1
	s_branch .LBB79_1219
.LBB79_1211:
	s_mov_b64 s[0:1], -1
                                        ; implicit-def: $vgpr1
	s_branch .LBB79_1216
.LBB79_1212:
	s_mov_b64 s[0:1], -1
                                        ; implicit-def: $vgpr1
.LBB79_1213:
	s_andn2_b64 vcc, exec, s[0:1]
	s_cbranch_vccnz .LBB79_1215
; %bb.1214:
	global_load_dword v1, v[14:15], off
	s_waitcnt vmcnt(0)
	v_cvt_f32_i32_e32 v1, v1
.LBB79_1215:
	s_mov_b64 s[0:1], 0
.LBB79_1216:
	s_andn2_b64 vcc, exec, s[0:1]
	s_cbranch_vccnz .LBB79_1218
; %bb.1217:
	global_load_sshort v1, v[14:15], off
	s_waitcnt vmcnt(0)
	v_cvt_f32_i32_e32 v1, v1
.LBB79_1218:
	s_cbranch_execnz .LBB79_1224
.LBB79_1219:
	v_mov_b32_e32 v1, 0
	v_cmp_gt_i16_sdwa s[0:1], s16, v1 src0_sel:BYTE_0 src1_sel:DWORD
	s_and_b64 vcc, exec, s[0:1]
	s_cbranch_vccz .LBB79_1221
; %bb.1220:
	global_load_sbyte v1, v[14:15], off
	s_mov_b64 s[0:1], 0
	s_waitcnt vmcnt(0)
	v_cvt_f32_i32_e32 v1, v1
	s_branch .LBB79_1222
.LBB79_1221:
	s_mov_b64 s[0:1], -1
                                        ; implicit-def: $vgpr1
.LBB79_1222:
	s_andn2_b64 vcc, exec, s[0:1]
	s_cbranch_vccnz .LBB79_1224
; %bb.1223:
	global_load_ubyte v1, v[14:15], off
	s_waitcnt vmcnt(0)
	v_cvt_f32_ubyte0_e32 v1, v1
.LBB79_1224:
.LBB79_1225:
	v_mov_b32_e32 v3, s11
	v_add_co_u32_e32 v12, vcc, s10, v12
	v_addc_co_u32_e32 v13, vcc, 0, v3, vcc
	v_mov_b32_e32 v3, 11
	v_cmp_lt_i16_sdwa s[0:1], s16, v3 src0_sel:BYTE_0 src1_sel:DWORD
	s_and_b64 vcc, exec, s[0:1]
	s_cbranch_vccnz .LBB79_1232
; %bb.1226:
	v_mov_b32_e32 v3, 25
	v_cmp_gt_i16_sdwa s[0:1], s16, v3 src0_sel:BYTE_0 src1_sel:DWORD
	s_mov_b64 s[4:5], 0
	s_and_b64 vcc, exec, s[0:1]
	s_cbranch_vccz .LBB79_1234
; %bb.1227:
	v_mov_b32_e32 v3, 28
	v_cmp_gt_i16_sdwa s[0:1], s16, v3 src0_sel:BYTE_0 src1_sel:DWORD
	s_and_b64 vcc, exec, s[0:1]
	s_cbranch_vccz .LBB79_1235
; %bb.1228:
	v_mov_b32_e32 v3, 43
	v_cmp_gt_i16_sdwa s[0:1], s16, v3 src0_sel:BYTE_0 src1_sel:DWORD
	;; [unrolled: 5-line block ×3, first 2 shown]
	s_and_b64 vcc, exec, s[0:1]
	s_cbranch_vccz .LBB79_1238
; %bb.1230:
	v_mov_b32_e32 v3, 46
	v_cmp_eq_u16_sdwa s[0:1], s16, v3 src0_sel:BYTE_0 src1_sel:DWORD
	s_mov_b64 s[12:13], 0
	s_and_b64 vcc, exec, s[0:1]
	s_cbranch_vccz .LBB79_1239
; %bb.1231:
	global_load_dword v3, v[12:13], off
	s_mov_b64 s[0:1], 0
	s_mov_b64 s[6:7], -1
	s_waitcnt vmcnt(0)
	v_lshlrev_b32_e32 v3, 16, v3
	s_branch .LBB79_1240
.LBB79_1232:
	s_mov_b64 s[6:7], 0
                                        ; implicit-def: $vgpr3
	s_cbranch_execnz .LBB79_1305
.LBB79_1233:
	s_andn2_b64 vcc, exec, s[6:7]
	s_cbranch_vccnz .LBB79_2012
	s_branch .LBB79_1352
.LBB79_1234:
	s_mov_b64 s[6:7], 0
	s_mov_b64 s[0:1], 0
                                        ; implicit-def: $vgpr3
	s_cbranch_execnz .LBB79_1269
	s_branch .LBB79_1301
.LBB79_1235:
	s_mov_b64 s[12:13], -1
	s_mov_b64 s[6:7], 0
	s_mov_b64 s[0:1], 0
                                        ; implicit-def: $vgpr3
	s_branch .LBB79_1250
.LBB79_1236:
	s_mov_b64 s[12:13], -1
	s_mov_b64 s[6:7], 0
	s_mov_b64 s[0:1], 0
                                        ; implicit-def: $vgpr3
	s_branch .LBB79_1245
.LBB79_1237:
	s_or_b64 s[2:3], s[28:29], exec
	s_trap 2
                                        ; implicit-def: $vgpr1
	s_cbranch_execz .LBB79_1178
	s_branch .LBB79_1179
.LBB79_1238:
	s_mov_b64 s[12:13], -1
	s_mov_b64 s[6:7], 0
	s_mov_b64 s[0:1], 0
                                        ; implicit-def: $vgpr3
	s_branch .LBB79_1240
.LBB79_1239:
	s_mov_b64 s[0:1], -1
                                        ; implicit-def: $vgpr3
	s_mov_b64 s[6:7], 0
.LBB79_1240:
	s_and_b64 vcc, exec, s[12:13]
	s_cbranch_vccz .LBB79_1244
; %bb.1241:
	v_mov_b32_e32 v3, 44
	v_cmp_eq_u16_sdwa s[0:1], s16, v3 src0_sel:BYTE_0 src1_sel:DWORD
	s_and_b64 vcc, exec, s[0:1]
	s_cbranch_vccz .LBB79_1243
; %bb.1242:
	global_load_ubyte v3, v[12:13], off
	s_movk_i32 s6, 0xff
	v_mov_b32_e32 v5, 0x7f800001
	v_mov_b32_e32 v7, 0x400000
	s_mov_b64 s[0:1], 0
	s_waitcnt vmcnt(0)
	v_lshlrev_b32_e32 v9, 23, v3
	v_cmp_ne_u32_e32 vcc, s6, v3
	v_cndmask_b32_e32 v5, v5, v9, vcc
	v_cmp_ne_u32_e32 vcc, 0, v3
	v_cndmask_b32_e32 v3, v7, v5, vcc
	s_mov_b64 s[6:7], -1
	s_branch .LBB79_1244
.LBB79_1243:
	s_mov_b64 s[0:1], -1
                                        ; implicit-def: $vgpr3
.LBB79_1244:
	s_mov_b64 s[12:13], 0
.LBB79_1245:
	s_and_b64 vcc, exec, s[12:13]
	s_cbranch_vccz .LBB79_1249
; %bb.1246:
	v_mov_b32_e32 v3, 29
	v_cmp_eq_u16_sdwa s[0:1], s16, v3 src0_sel:BYTE_0 src1_sel:DWORD
	s_and_b64 vcc, exec, s[0:1]
	s_cbranch_vccz .LBB79_1248
; %bb.1247:
	global_load_dwordx2 v[14:15], v[12:13], off
	s_mov_b64 s[0:1], 0
	s_mov_b64 s[6:7], -1
	s_mov_b64 s[12:13], 0
	s_waitcnt vmcnt(0)
	v_ffbh_u32_e32 v3, v15
	v_min_u32_e32 v3, 32, v3
	v_lshlrev_b64 v[14:15], v3, v[14:15]
	v_min_u32_e32 v5, 1, v14
	v_or_b32_e32 v5, v15, v5
	v_cvt_f32_u32_e32 v5, v5
	v_sub_u32_e32 v3, 32, v3
	v_ldexp_f32 v3, v5, v3
	s_branch .LBB79_1250
.LBB79_1248:
	s_mov_b64 s[0:1], -1
                                        ; implicit-def: $vgpr3
.LBB79_1249:
	s_mov_b64 s[12:13], 0
.LBB79_1250:
	s_and_b64 vcc, exec, s[12:13]
	s_cbranch_vccz .LBB79_1268
; %bb.1251:
	v_mov_b32_e32 v3, 27
	v_cmp_lt_i16_sdwa s[6:7], s16, v3 src0_sel:BYTE_0 src1_sel:DWORD
	s_and_b64 vcc, exec, s[6:7]
	s_cbranch_vccnz .LBB79_1254
; %bb.1252:
	v_cmp_gt_i16_sdwa s[6:7], s16, v3 src0_sel:BYTE_0 src1_sel:DWORD
	s_and_b64 vcc, exec, s[6:7]
	s_cbranch_vccz .LBB79_1255
; %bb.1253:
	global_load_dword v3, v[12:13], off
	s_mov_b64 s[6:7], 0
	s_waitcnt vmcnt(0)
	v_cvt_f32_u32_e32 v3, v3
	s_branch .LBB79_1256
.LBB79_1254:
	s_mov_b64 s[6:7], -1
                                        ; implicit-def: $vgpr3
	s_branch .LBB79_1259
.LBB79_1255:
	s_mov_b64 s[6:7], -1
                                        ; implicit-def: $vgpr3
.LBB79_1256:
	s_andn2_b64 vcc, exec, s[6:7]
	s_cbranch_vccnz .LBB79_1258
; %bb.1257:
	global_load_ushort v3, v[12:13], off
	s_waitcnt vmcnt(0)
	v_cvt_f32_u32_e32 v3, v3
.LBB79_1258:
	s_mov_b64 s[6:7], 0
.LBB79_1259:
	s_andn2_b64 vcc, exec, s[6:7]
	s_cbranch_vccnz .LBB79_1267
; %bb.1260:
	global_load_ubyte v5, v[12:13], off
	s_movk_i32 s6, 0x7f
                                        ; implicit-def: $sgpr17
	s_waitcnt vmcnt(0)
	v_cmp_lt_i16_e32 vcc, s6, v5
	s_mov_b64 s[6:7], 0
	s_and_saveexec_b64 s[12:13], vcc
	s_xor_b64 s[12:13], exec, s[12:13]
	s_cbranch_execz .LBB79_1280
; %bb.1261:
	s_movk_i32 s6, 0x80
	v_cmp_eq_u16_e32 vcc, s6, v5
	s_mov_b64 s[6:7], -1
                                        ; implicit-def: $sgpr17
	s_and_saveexec_b64 s[14:15], vcc
; %bb.1262:
	s_mov_b32 s17, 0x7f800001
	s_xor_b64 s[6:7], exec, -1
; %bb.1263:
	s_or_b64 exec, exec, s[14:15]
	s_and_b64 s[6:7], s[6:7], exec
	s_or_saveexec_b64 s[12:13], s[12:13]
	v_mov_b32_e32 v3, s17
	s_xor_b64 exec, exec, s[12:13]
	s_cbranch_execnz .LBB79_1281
.LBB79_1264:
	s_or_b64 exec, exec, s[12:13]
	s_and_saveexec_b64 s[12:13], s[6:7]
	s_cbranch_execz .LBB79_1266
.LBB79_1265:
	v_lshlrev_b32_e32 v3, 24, v5
	v_and_b32_e32 v5, 0xffff, v5
	v_and_b32_e32 v7, 7, v5
	v_ffbh_u32_e32 v11, v7
	v_min_u32_e32 v11, 32, v11
	v_subrev_u32_e32 v14, 28, v11
	v_bfe_u32 v9, v5, 3, 4
	v_lshlrev_b32_e32 v5, v14, v5
	v_sub_u32_e32 v11, 29, v11
	v_and_b32_e32 v5, 7, v5
	v_cmp_eq_u32_e32 vcc, 0, v9
	v_cndmask_b32_e32 v9, v9, v11, vcc
	v_cndmask_b32_e32 v5, v7, v5, vcc
	v_mov_b32_e32 v7, 0x3b800000
	v_lshlrev_b32_e32 v5, 20, v5
	v_and_b32_e32 v3, 0x80000000, v3
	v_lshl_add_u32 v7, v9, 23, v7
	v_or3_b32 v3, v3, v7, v5
.LBB79_1266:
	s_or_b64 exec, exec, s[12:13]
.LBB79_1267:
	s_mov_b64 s[6:7], -1
.LBB79_1268:
	s_branch .LBB79_1301
.LBB79_1269:
	v_mov_b32_e32 v3, 22
	v_cmp_gt_i16_sdwa s[4:5], s16, v3 src0_sel:BYTE_0 src1_sel:DWORD
	s_and_b64 vcc, exec, s[4:5]
	s_cbranch_vccz .LBB79_1279
; %bb.1270:
	v_mov_b32_e32 v3, 24
	v_cmp_lt_i16_sdwa s[4:5], s16, v3 src0_sel:BYTE_0 src1_sel:DWORD
	s_and_b64 vcc, exec, s[4:5]
	s_cbranch_vccnz .LBB79_1282
; %bb.1271:
	v_cmp_gt_i16_sdwa s[4:5], s16, v3 src0_sel:BYTE_0 src1_sel:DWORD
	s_and_b64 vcc, exec, s[4:5]
	s_cbranch_vccz .LBB79_1283
; %bb.1272:
	global_load_ubyte v5, v[12:13], off
	s_movk_i32 s4, 0x7f
                                        ; implicit-def: $sgpr14
	s_waitcnt vmcnt(0)
	v_cmp_lt_i16_e32 vcc, s4, v5
	s_mov_b64 s[4:5], 0
	s_and_saveexec_b64 s[6:7], vcc
	s_xor_b64 s[6:7], exec, s[6:7]
	s_cbranch_execz .LBB79_1295
; %bb.1273:
	s_movk_i32 s4, 0x80
	v_cmp_eq_u16_e32 vcc, s4, v5
	s_mov_b64 s[4:5], -1
                                        ; implicit-def: $sgpr14
	s_and_saveexec_b64 s[12:13], vcc
; %bb.1274:
	s_mov_b32 s14, 0x7f800001
	s_xor_b64 s[4:5], exec, -1
; %bb.1275:
	s_or_b64 exec, exec, s[12:13]
	s_and_b64 s[4:5], s[4:5], exec
	s_or_saveexec_b64 s[6:7], s[6:7]
	v_mov_b32_e32 v3, s14
	s_xor_b64 exec, exec, s[6:7]
	s_cbranch_execnz .LBB79_1296
.LBB79_1276:
	s_or_b64 exec, exec, s[6:7]
	s_and_saveexec_b64 s[6:7], s[4:5]
	s_cbranch_execz .LBB79_1278
.LBB79_1277:
	v_lshlrev_b32_e32 v3, 24, v5
	v_and_b32_e32 v5, 0xffff, v5
	v_and_b32_e32 v7, 3, v5
	v_ffbh_u32_e32 v11, v7
	v_min_u32_e32 v11, 32, v11
	v_subrev_u32_e32 v14, 29, v11
	v_bfe_u32 v9, v5, 2, 5
	v_lshlrev_b32_e32 v5, v14, v5
	v_sub_u32_e32 v11, 30, v11
	v_and_b32_e32 v5, 3, v5
	v_cmp_eq_u32_e32 vcc, 0, v9
	v_cndmask_b32_e32 v9, v9, v11, vcc
	v_cndmask_b32_e32 v5, v7, v5, vcc
	v_mov_b32_e32 v7, 0x37800000
	v_lshlrev_b32_e32 v5, 21, v5
	v_and_b32_e32 v3, 0x80000000, v3
	v_lshl_add_u32 v7, v9, 23, v7
	v_or3_b32 v3, v3, v7, v5
.LBB79_1278:
	s_or_b64 exec, exec, s[6:7]
	s_mov_b64 s[4:5], 0
	s_branch .LBB79_1284
.LBB79_1279:
	s_mov_b64 s[4:5], -1
                                        ; implicit-def: $vgpr3
	s_branch .LBB79_1290
.LBB79_1280:
	s_or_saveexec_b64 s[12:13], s[12:13]
	v_mov_b32_e32 v3, s17
	s_xor_b64 exec, exec, s[12:13]
	s_cbranch_execz .LBB79_1264
.LBB79_1281:
	v_cmp_ne_u16_e32 vcc, 0, v5
	s_andn2_b64 s[6:7], s[6:7], exec
	s_and_b64 s[14:15], vcc, exec
	v_mov_b32_e32 v3, 0
	s_or_b64 s[6:7], s[6:7], s[14:15]
	s_or_b64 exec, exec, s[12:13]
	s_and_saveexec_b64 s[12:13], s[6:7]
	s_cbranch_execnz .LBB79_1265
	s_branch .LBB79_1266
.LBB79_1282:
	s_mov_b64 s[4:5], -1
                                        ; implicit-def: $vgpr3
	s_branch .LBB79_1287
.LBB79_1283:
	s_mov_b64 s[4:5], -1
                                        ; implicit-def: $vgpr3
.LBB79_1284:
	s_and_b64 vcc, exec, s[4:5]
	s_cbranch_vccz .LBB79_1286
; %bb.1285:
	global_load_ubyte v3, v[12:13], off
	s_mov_b32 s4, 0x7f800000
	s_waitcnt vmcnt(0)
	v_lshlrev_b32_e32 v3, 24, v3
	v_and_b32_e32 v5, 0x7f000000, v3
	v_ffbh_u32_e32 v7, v5
	v_min_u32_e32 v7, 32, v7
	v_sub_u32_e64 v7, v7, 4 clamp
	v_lshlrev_b32_e32 v11, v7, v5
	v_lshlrev_b32_e32 v7, 23, v7
	v_lshrrev_b32_e32 v11, 4, v11
	v_add_u32_e32 v9, 0x1000000, v5
	v_sub_u32_e32 v7, v11, v7
	v_ashrrev_i32_e32 v9, 8, v9
	v_add_u32_e32 v7, 0x3c000000, v7
	v_and_or_b32 v7, v9, s4, v7
	v_cmp_ne_u32_e32 vcc, 0, v5
	v_cndmask_b32_e32 v5, 0, v7, vcc
	s_brev_b32 s4, 1
	v_and_or_b32 v3, v3, s4, v5
.LBB79_1286:
	s_mov_b64 s[4:5], 0
.LBB79_1287:
	s_andn2_b64 vcc, exec, s[4:5]
	s_cbranch_vccnz .LBB79_1289
; %bb.1288:
	global_load_ubyte v3, v[12:13], off
	s_movk_i32 s4, 0x7f00
	s_brev_b32 s5, 16
	s_waitcnt vmcnt(0)
	v_lshlrev_b16_e32 v5, 8, v3
	v_lshlrev_b32_e32 v3, 25, v3
	v_lshrrev_b32_e32 v7, 4, v3
	v_and_or_b32 v9, v5, s4, 0.5
	v_or_b32_e32 v7, 0x70000000, v7
	v_add_f32_e32 v9, -0.5, v9
	v_mul_f32_e32 v7, 0x7800000, v7
	v_cmp_gt_u32_e32 vcc, s5, v3
	v_bfe_i32 v5, v5, 0, 16
	v_cndmask_b32_e32 v3, v7, v9, vcc
	s_brev_b32 s4, 1
	v_and_or_b32 v3, v5, s4, v3
.LBB79_1289:
	s_mov_b64 s[4:5], 0
	s_mov_b64 s[6:7], -1
.LBB79_1290:
	s_andn2_b64 vcc, exec, s[4:5]
	s_mov_b64 s[4:5], 0
	s_cbranch_vccnz .LBB79_1301
; %bb.1291:
	v_mov_b32_e32 v3, 14
	v_cmp_gt_i16_sdwa s[4:5], s16, v3 src0_sel:BYTE_0 src1_sel:DWORD
	s_and_b64 vcc, exec, s[4:5]
	s_cbranch_vccz .LBB79_1294
; %bb.1292:
	v_mov_b32_e32 v3, 15
	v_cmp_eq_u16_sdwa s[0:1], s16, v3 src0_sel:BYTE_0 src1_sel:DWORD
	s_and_b64 vcc, exec, s[0:1]
	s_cbranch_vccz .LBB79_1297
; %bb.1293:
	global_load_ushort v3, v[12:13], off
	s_mov_b64 s[0:1], 0
	s_mov_b64 s[6:7], -1
	s_waitcnt vmcnt(0)
	v_lshlrev_b32_e32 v3, 16, v3
	s_branch .LBB79_1298
.LBB79_1294:
	s_mov_b64 s[12:13], -1
                                        ; implicit-def: $vgpr3
	s_branch .LBB79_1299
.LBB79_1295:
	s_or_saveexec_b64 s[6:7], s[6:7]
	v_mov_b32_e32 v3, s14
	s_xor_b64 exec, exec, s[6:7]
	s_cbranch_execz .LBB79_1276
.LBB79_1296:
	v_cmp_ne_u16_e32 vcc, 0, v5
	s_andn2_b64 s[4:5], s[4:5], exec
	s_and_b64 s[12:13], vcc, exec
	v_mov_b32_e32 v3, 0
	s_or_b64 s[4:5], s[4:5], s[12:13]
	s_or_b64 exec, exec, s[6:7]
	s_and_saveexec_b64 s[6:7], s[4:5]
	s_cbranch_execnz .LBB79_1277
	s_branch .LBB79_1278
.LBB79_1297:
	s_mov_b64 s[0:1], -1
                                        ; implicit-def: $vgpr3
.LBB79_1298:
	s_mov_b64 s[12:13], 0
.LBB79_1299:
	s_mov_b64 s[4:5], 0
	s_and_b64 vcc, exec, s[12:13]
	s_cbranch_vccz .LBB79_1301
; %bb.1300:
	v_mov_b32_e32 v3, 11
	v_cmp_ne_u16_sdwa s[0:1], s16, v3 src0_sel:BYTE_0 src1_sel:DWORD
	s_mov_b64 s[4:5], -1
                                        ; implicit-def: $vgpr3
.LBB79_1301:
	s_and_b64 vcc, exec, s[0:1]
	s_cbranch_vccnz .LBB79_1364
; %bb.1302:
	s_andn2_b64 vcc, exec, s[4:5]
	s_cbranch_vccnz .LBB79_1304
.LBB79_1303:
	global_load_ubyte v3, v[12:13], off
	s_mov_b64 s[6:7], -1
	s_waitcnt vmcnt(0)
	v_cmp_ne_u16_e32 vcc, 0, v3
	v_cndmask_b32_e64 v3, 0, 1.0, vcc
.LBB79_1304:
	s_branch .LBB79_1233
.LBB79_1305:
	v_mov_b32_e32 v3, 5
	v_cmp_lt_i16_sdwa s[0:1], s16, v3 src0_sel:BYTE_0 src1_sel:DWORD
	s_and_b64 vcc, exec, s[0:1]
	s_cbranch_vccnz .LBB79_1310
; %bb.1306:
	v_mov_b32_e32 v3, 8
	v_cmp_lt_i16_sdwa s[0:1], s16, v3 src0_sel:BYTE_0 src1_sel:DWORD
	s_and_b64 vcc, exec, s[0:1]
	s_cbranch_vccnz .LBB79_1311
; %bb.1307:
	;; [unrolled: 5-line block ×3, first 2 shown]
	v_cmp_gt_i16_sdwa s[0:1], s16, v3 src0_sel:BYTE_0 src1_sel:DWORD
	s_and_b64 vcc, exec, s[0:1]
	s_cbranch_vccz .LBB79_1313
; %bb.1309:
	global_load_dwordx2 v[14:15], v[12:13], off
	s_mov_b64 s[0:1], 0
	s_waitcnt vmcnt(0)
	v_cvt_f32_f64_e32 v3, v[14:15]
	s_branch .LBB79_1314
.LBB79_1310:
                                        ; implicit-def: $vgpr3
	s_branch .LBB79_1332
.LBB79_1311:
	s_mov_b64 s[0:1], -1
                                        ; implicit-def: $vgpr3
	s_branch .LBB79_1320
.LBB79_1312:
	s_mov_b64 s[0:1], -1
                                        ; implicit-def: $vgpr3
	s_branch .LBB79_1317
.LBB79_1313:
	s_mov_b64 s[0:1], -1
                                        ; implicit-def: $vgpr3
.LBB79_1314:
	s_andn2_b64 vcc, exec, s[0:1]
	s_cbranch_vccnz .LBB79_1316
; %bb.1315:
	global_load_dword v3, v[12:13], off
.LBB79_1316:
	s_mov_b64 s[0:1], 0
.LBB79_1317:
	s_andn2_b64 vcc, exec, s[0:1]
	s_cbranch_vccnz .LBB79_1319
; %bb.1318:
	global_load_dword v3, v[12:13], off
	s_waitcnt vmcnt(0)
	v_cvt_f32_f16_e32 v3, v3
.LBB79_1319:
	s_mov_b64 s[0:1], 0
.LBB79_1320:
	s_andn2_b64 vcc, exec, s[0:1]
	s_cbranch_vccnz .LBB79_1331
; %bb.1321:
	s_waitcnt vmcnt(0)
	v_mov_b32_e32 v3, 6
	v_cmp_lt_i16_sdwa s[0:1], s16, v3 src0_sel:BYTE_0 src1_sel:DWORD
	s_and_b64 vcc, exec, s[0:1]
	s_cbranch_vccnz .LBB79_1324
; %bb.1322:
	v_cmp_gt_i16_sdwa s[0:1], s16, v3 src0_sel:BYTE_0 src1_sel:DWORD
	s_and_b64 vcc, exec, s[0:1]
	s_cbranch_vccz .LBB79_1325
; %bb.1323:
	global_load_dwordx2 v[14:15], v[12:13], off
	s_mov_b64 s[0:1], 0
	s_waitcnt vmcnt(0)
	v_cvt_f32_f64_e32 v3, v[14:15]
	s_branch .LBB79_1326
.LBB79_1324:
	s_mov_b64 s[0:1], -1
                                        ; implicit-def: $vgpr3
	s_branch .LBB79_1329
.LBB79_1325:
	s_mov_b64 s[0:1], -1
                                        ; implicit-def: $vgpr3
.LBB79_1326:
	s_andn2_b64 vcc, exec, s[0:1]
	s_cbranch_vccnz .LBB79_1328
; %bb.1327:
	global_load_dword v3, v[12:13], off
.LBB79_1328:
	s_mov_b64 s[0:1], 0
.LBB79_1329:
	s_andn2_b64 vcc, exec, s[0:1]
	s_cbranch_vccnz .LBB79_1331
; %bb.1330:
	global_load_ushort v3, v[12:13], off
	s_waitcnt vmcnt(0)
	v_cvt_f32_f16_e32 v3, v3
.LBB79_1331:
	s_cbranch_execnz .LBB79_1351
.LBB79_1332:
	s_waitcnt vmcnt(0)
	v_mov_b32_e32 v3, 2
	v_cmp_lt_i16_sdwa s[0:1], s16, v3 src0_sel:BYTE_0 src1_sel:DWORD
	s_and_b64 vcc, exec, s[0:1]
	s_cbranch_vccnz .LBB79_1336
; %bb.1333:
	v_mov_b32_e32 v3, 3
	v_cmp_lt_i16_sdwa s[0:1], s16, v3 src0_sel:BYTE_0 src1_sel:DWORD
	s_and_b64 vcc, exec, s[0:1]
	s_cbranch_vccnz .LBB79_1337
; %bb.1334:
	v_cmp_gt_i16_sdwa s[0:1], s16, v3 src0_sel:BYTE_0 src1_sel:DWORD
	s_and_b64 vcc, exec, s[0:1]
	s_cbranch_vccz .LBB79_1338
; %bb.1335:
	global_load_dwordx2 v[14:15], v[12:13], off
	s_mov_b64 s[0:1], 0
	s_waitcnt vmcnt(0)
	v_xor_b32_e32 v5, v14, v15
	v_ffbh_i32_e32 v3, v15
	v_ashrrev_i32_e32 v5, 31, v5
	v_add_u32_e32 v3, -1, v3
	v_add_u32_e32 v5, 32, v5
	v_min_u32_e32 v3, v3, v5
	v_lshlrev_b64 v[14:15], v3, v[14:15]
	v_min_u32_e32 v5, 1, v14
	v_or_b32_e32 v5, v15, v5
	v_cvt_f32_i32_e32 v5, v5
	v_sub_u32_e32 v3, 32, v3
	v_ldexp_f32 v3, v5, v3
	s_branch .LBB79_1339
.LBB79_1336:
	s_mov_b64 s[0:1], -1
                                        ; implicit-def: $vgpr3
	s_branch .LBB79_1345
.LBB79_1337:
	s_mov_b64 s[0:1], -1
                                        ; implicit-def: $vgpr3
	s_branch .LBB79_1342
.LBB79_1338:
	s_mov_b64 s[0:1], -1
                                        ; implicit-def: $vgpr3
.LBB79_1339:
	s_andn2_b64 vcc, exec, s[0:1]
	s_cbranch_vccnz .LBB79_1341
; %bb.1340:
	global_load_dword v3, v[12:13], off
	s_waitcnt vmcnt(0)
	v_cvt_f32_i32_e32 v3, v3
.LBB79_1341:
	s_mov_b64 s[0:1], 0
.LBB79_1342:
	s_andn2_b64 vcc, exec, s[0:1]
	s_cbranch_vccnz .LBB79_1344
; %bb.1343:
	global_load_sshort v3, v[12:13], off
	s_waitcnt vmcnt(0)
	v_cvt_f32_i32_e32 v3, v3
.LBB79_1344:
	s_mov_b64 s[0:1], 0
.LBB79_1345:
	s_andn2_b64 vcc, exec, s[0:1]
	s_cbranch_vccnz .LBB79_1351
; %bb.1346:
	v_mov_b32_e32 v3, 0
	v_cmp_gt_i16_sdwa s[0:1], s16, v3 src0_sel:BYTE_0 src1_sel:DWORD
	s_and_b64 vcc, exec, s[0:1]
	s_cbranch_vccz .LBB79_1348
; %bb.1347:
	global_load_sbyte v3, v[12:13], off
	s_mov_b64 s[0:1], 0
	s_waitcnt vmcnt(0)
	v_cvt_f32_i32_e32 v3, v3
	s_branch .LBB79_1349
.LBB79_1348:
	s_mov_b64 s[0:1], -1
                                        ; implicit-def: $vgpr3
.LBB79_1349:
	s_andn2_b64 vcc, exec, s[0:1]
	s_cbranch_vccnz .LBB79_1351
; %bb.1350:
	global_load_ubyte v3, v[12:13], off
	s_waitcnt vmcnt(0)
	v_cvt_f32_ubyte0_e32 v3, v3
.LBB79_1351:
.LBB79_1352:
	v_mov_b32_e32 v5, s11
	v_add_co_u32_e32 v10, vcc, s10, v10
	v_addc_co_u32_e32 v11, vcc, 0, v5, vcc
	v_mov_b32_e32 v5, 11
	v_cmp_lt_i16_sdwa s[0:1], s16, v5 src0_sel:BYTE_0 src1_sel:DWORD
	s_and_b64 vcc, exec, s[0:1]
	s_cbranch_vccnz .LBB79_1359
; %bb.1353:
	v_mov_b32_e32 v5, 25
	v_cmp_gt_i16_sdwa s[0:1], s16, v5 src0_sel:BYTE_0 src1_sel:DWORD
	s_mov_b64 s[4:5], 0
	s_and_b64 vcc, exec, s[0:1]
	s_cbranch_vccz .LBB79_1361
; %bb.1354:
	v_mov_b32_e32 v5, 28
	v_cmp_gt_i16_sdwa s[0:1], s16, v5 src0_sel:BYTE_0 src1_sel:DWORD
	s_and_b64 vcc, exec, s[0:1]
	s_cbranch_vccz .LBB79_1362
; %bb.1355:
	v_mov_b32_e32 v5, 43
	v_cmp_gt_i16_sdwa s[0:1], s16, v5 src0_sel:BYTE_0 src1_sel:DWORD
	;; [unrolled: 5-line block ×3, first 2 shown]
	s_and_b64 vcc, exec, s[0:1]
	s_cbranch_vccz .LBB79_1365
; %bb.1357:
	v_mov_b32_e32 v5, 46
	v_cmp_eq_u16_sdwa s[0:1], s16, v5 src0_sel:BYTE_0 src1_sel:DWORD
	s_mov_b64 s[12:13], 0
	s_and_b64 vcc, exec, s[0:1]
	s_cbranch_vccz .LBB79_1366
; %bb.1358:
	global_load_dword v5, v[10:11], off
	s_mov_b64 s[0:1], 0
	s_mov_b64 s[6:7], -1
	s_waitcnt vmcnt(0)
	v_lshlrev_b32_e32 v12, 16, v5
	s_branch .LBB79_1367
.LBB79_1359:
	s_mov_b64 s[6:7], 0
                                        ; implicit-def: $vgpr12
	s_cbranch_execnz .LBB79_1433
.LBB79_1360:
	s_andn2_b64 vcc, exec, s[6:7]
	s_cbranch_vccnz .LBB79_2012
	s_branch .LBB79_1481
.LBB79_1361:
	s_mov_b64 s[12:13], -1
	s_mov_b64 s[6:7], 0
	s_mov_b64 s[0:1], 0
                                        ; implicit-def: $vgpr12
	s_branch .LBB79_1396
.LBB79_1362:
	s_mov_b64 s[12:13], -1
	s_mov_b64 s[6:7], 0
	s_mov_b64 s[0:1], 0
                                        ; implicit-def: $vgpr12
	s_branch .LBB79_1377
.LBB79_1363:
	s_mov_b64 s[12:13], -1
	s_mov_b64 s[6:7], 0
	s_mov_b64 s[0:1], 0
                                        ; implicit-def: $vgpr12
	s_branch .LBB79_1372
.LBB79_1364:
	s_trap 2
	s_or_b64 s[2:3], s[2:3], exec
                                        ; implicit-def: $vgpr3
	s_cbranch_execz .LBB79_1303
	s_branch .LBB79_1304
.LBB79_1365:
	s_mov_b64 s[12:13], -1
	s_mov_b64 s[6:7], 0
	s_mov_b64 s[0:1], 0
                                        ; implicit-def: $vgpr12
	s_branch .LBB79_1367
.LBB79_1366:
	s_mov_b64 s[0:1], -1
                                        ; implicit-def: $vgpr12
	s_mov_b64 s[6:7], 0
.LBB79_1367:
	s_and_b64 vcc, exec, s[12:13]
	s_cbranch_vccz .LBB79_1371
; %bb.1368:
	v_mov_b32_e32 v5, 44
	v_cmp_eq_u16_sdwa s[0:1], s16, v5 src0_sel:BYTE_0 src1_sel:DWORD
	s_and_b64 vcc, exec, s[0:1]
	s_cbranch_vccz .LBB79_1370
; %bb.1369:
	global_load_ubyte v5, v[10:11], off
	s_movk_i32 s6, 0xff
	v_mov_b32_e32 v7, 0x7f800001
	v_mov_b32_e32 v9, 0x400000
	s_mov_b64 s[0:1], 0
	s_waitcnt vmcnt(0)
	v_lshlrev_b32_e32 v12, 23, v5
	v_cmp_ne_u32_e32 vcc, s6, v5
	v_cndmask_b32_e32 v7, v7, v12, vcc
	v_cmp_ne_u32_e32 vcc, 0, v5
	v_cndmask_b32_e32 v12, v9, v7, vcc
	s_mov_b64 s[6:7], -1
	s_branch .LBB79_1371
.LBB79_1370:
	s_mov_b64 s[0:1], -1
                                        ; implicit-def: $vgpr12
.LBB79_1371:
	s_mov_b64 s[12:13], 0
.LBB79_1372:
	s_and_b64 vcc, exec, s[12:13]
	s_cbranch_vccz .LBB79_1376
; %bb.1373:
	v_mov_b32_e32 v5, 29
	v_cmp_eq_u16_sdwa s[0:1], s16, v5 src0_sel:BYTE_0 src1_sel:DWORD
	s_and_b64 vcc, exec, s[0:1]
	s_cbranch_vccz .LBB79_1375
; %bb.1374:
	global_load_dwordx2 v[12:13], v[10:11], off
	s_mov_b64 s[0:1], 0
	s_mov_b64 s[6:7], -1
	s_mov_b64 s[12:13], 0
	s_waitcnt vmcnt(0)
	v_ffbh_u32_e32 v5, v13
	v_min_u32_e32 v5, 32, v5
	v_lshlrev_b64 v[12:13], v5, v[12:13]
	v_min_u32_e32 v7, 1, v12
	v_or_b32_e32 v7, v13, v7
	v_cvt_f32_u32_e32 v7, v7
	v_sub_u32_e32 v5, 32, v5
	v_ldexp_f32 v12, v7, v5
	s_branch .LBB79_1377
.LBB79_1375:
	s_mov_b64 s[0:1], -1
                                        ; implicit-def: $vgpr12
.LBB79_1376:
	s_mov_b64 s[12:13], 0
.LBB79_1377:
	s_and_b64 vcc, exec, s[12:13]
	s_cbranch_vccz .LBB79_1395
; %bb.1378:
	v_mov_b32_e32 v5, 27
	v_cmp_lt_i16_sdwa s[6:7], s16, v5 src0_sel:BYTE_0 src1_sel:DWORD
	s_and_b64 vcc, exec, s[6:7]
	s_cbranch_vccnz .LBB79_1381
; %bb.1379:
	v_cmp_gt_i16_sdwa s[6:7], s16, v5 src0_sel:BYTE_0 src1_sel:DWORD
	s_and_b64 vcc, exec, s[6:7]
	s_cbranch_vccz .LBB79_1382
; %bb.1380:
	global_load_dword v5, v[10:11], off
	s_mov_b64 s[6:7], 0
	s_waitcnt vmcnt(0)
	v_cvt_f32_u32_e32 v12, v5
	s_branch .LBB79_1383
.LBB79_1381:
	s_mov_b64 s[6:7], -1
                                        ; implicit-def: $vgpr12
	s_branch .LBB79_1386
.LBB79_1382:
	s_mov_b64 s[6:7], -1
                                        ; implicit-def: $vgpr12
.LBB79_1383:
	s_andn2_b64 vcc, exec, s[6:7]
	s_cbranch_vccnz .LBB79_1385
; %bb.1384:
	global_load_ushort v5, v[10:11], off
	s_waitcnt vmcnt(0)
	v_cvt_f32_u32_e32 v12, v5
.LBB79_1385:
	s_mov_b64 s[6:7], 0
.LBB79_1386:
	s_andn2_b64 vcc, exec, s[6:7]
	s_cbranch_vccnz .LBB79_1394
; %bb.1387:
	global_load_ubyte v5, v[10:11], off
	s_movk_i32 s6, 0x7f
                                        ; implicit-def: $sgpr17
	s_waitcnt vmcnt(0)
	v_cmp_lt_i16_e32 vcc, s6, v5
	s_mov_b64 s[6:7], 0
	s_and_saveexec_b64 s[12:13], vcc
	s_xor_b64 s[12:13], exec, s[12:13]
	s_cbranch_execz .LBB79_1408
; %bb.1388:
	s_movk_i32 s6, 0x80
	v_cmp_eq_u16_e32 vcc, s6, v5
	s_mov_b64 s[6:7], -1
                                        ; implicit-def: $sgpr17
	s_and_saveexec_b64 s[14:15], vcc
; %bb.1389:
	s_mov_b32 s17, 0x7f800001
	s_xor_b64 s[6:7], exec, -1
; %bb.1390:
	s_or_b64 exec, exec, s[14:15]
	s_and_b64 s[6:7], s[6:7], exec
	s_or_saveexec_b64 s[12:13], s[12:13]
	v_mov_b32_e32 v12, s17
	s_xor_b64 exec, exec, s[12:13]
	s_cbranch_execnz .LBB79_1409
.LBB79_1391:
	s_or_b64 exec, exec, s[12:13]
	s_and_saveexec_b64 s[12:13], s[6:7]
	s_cbranch_execz .LBB79_1393
.LBB79_1392:
	v_lshlrev_b32_e32 v7, 24, v5
	v_and_b32_e32 v5, 0xffff, v5
	v_and_b32_e32 v9, 7, v5
	v_ffbh_u32_e32 v13, v9
	v_min_u32_e32 v13, 32, v13
	v_subrev_u32_e32 v14, 28, v13
	v_bfe_u32 v12, v5, 3, 4
	v_lshlrev_b32_e32 v5, v14, v5
	v_sub_u32_e32 v13, 29, v13
	v_and_b32_e32 v5, 7, v5
	v_cmp_eq_u32_e32 vcc, 0, v12
	v_cndmask_b32_e32 v12, v12, v13, vcc
	v_cndmask_b32_e32 v5, v9, v5, vcc
	v_mov_b32_e32 v9, 0x3b800000
	v_lshlrev_b32_e32 v5, 20, v5
	v_and_b32_e32 v7, 0x80000000, v7
	v_lshl_add_u32 v9, v12, 23, v9
	v_or3_b32 v12, v7, v9, v5
.LBB79_1393:
	s_or_b64 exec, exec, s[12:13]
.LBB79_1394:
	s_mov_b64 s[6:7], -1
.LBB79_1395:
	s_mov_b64 s[12:13], 0
.LBB79_1396:
	s_and_b64 vcc, exec, s[12:13]
	s_cbranch_vccz .LBB79_1429
; %bb.1397:
	v_mov_b32_e32 v5, 22
	v_cmp_gt_i16_sdwa s[4:5], s16, v5 src0_sel:BYTE_0 src1_sel:DWORD
	s_and_b64 vcc, exec, s[4:5]
	s_cbranch_vccz .LBB79_1407
; %bb.1398:
	v_mov_b32_e32 v5, 24
	v_cmp_lt_i16_sdwa s[4:5], s16, v5 src0_sel:BYTE_0 src1_sel:DWORD
	s_and_b64 vcc, exec, s[4:5]
	s_cbranch_vccnz .LBB79_1410
; %bb.1399:
	v_cmp_gt_i16_sdwa s[4:5], s16, v5 src0_sel:BYTE_0 src1_sel:DWORD
	s_and_b64 vcc, exec, s[4:5]
	s_cbranch_vccz .LBB79_1411
; %bb.1400:
	global_load_ubyte v5, v[10:11], off
	s_movk_i32 s4, 0x7f
                                        ; implicit-def: $sgpr14
	s_waitcnt vmcnt(0)
	v_cmp_lt_i16_e32 vcc, s4, v5
	s_mov_b64 s[4:5], 0
	s_and_saveexec_b64 s[6:7], vcc
	s_xor_b64 s[6:7], exec, s[6:7]
	s_cbranch_execz .LBB79_1423
; %bb.1401:
	s_movk_i32 s4, 0x80
	v_cmp_eq_u16_e32 vcc, s4, v5
	s_mov_b64 s[4:5], -1
                                        ; implicit-def: $sgpr14
	s_and_saveexec_b64 s[12:13], vcc
; %bb.1402:
	s_mov_b32 s14, 0x7f800001
	s_xor_b64 s[4:5], exec, -1
; %bb.1403:
	s_or_b64 exec, exec, s[12:13]
	s_and_b64 s[4:5], s[4:5], exec
	s_or_saveexec_b64 s[6:7], s[6:7]
	v_mov_b32_e32 v12, s14
	s_xor_b64 exec, exec, s[6:7]
	s_cbranch_execnz .LBB79_1424
.LBB79_1404:
	s_or_b64 exec, exec, s[6:7]
	s_and_saveexec_b64 s[6:7], s[4:5]
	s_cbranch_execz .LBB79_1406
.LBB79_1405:
	v_lshlrev_b32_e32 v7, 24, v5
	v_and_b32_e32 v5, 0xffff, v5
	v_and_b32_e32 v9, 3, v5
	v_ffbh_u32_e32 v13, v9
	v_min_u32_e32 v13, 32, v13
	v_subrev_u32_e32 v14, 29, v13
	v_bfe_u32 v12, v5, 2, 5
	v_lshlrev_b32_e32 v5, v14, v5
	v_sub_u32_e32 v13, 30, v13
	v_and_b32_e32 v5, 3, v5
	v_cmp_eq_u32_e32 vcc, 0, v12
	v_cndmask_b32_e32 v12, v12, v13, vcc
	v_cndmask_b32_e32 v5, v9, v5, vcc
	v_mov_b32_e32 v9, 0x37800000
	v_lshlrev_b32_e32 v5, 21, v5
	v_and_b32_e32 v7, 0x80000000, v7
	v_lshl_add_u32 v9, v12, 23, v9
	v_or3_b32 v12, v7, v9, v5
.LBB79_1406:
	s_or_b64 exec, exec, s[6:7]
	s_mov_b64 s[4:5], 0
	s_branch .LBB79_1412
.LBB79_1407:
	s_mov_b64 s[4:5], -1
                                        ; implicit-def: $vgpr12
	s_branch .LBB79_1418
.LBB79_1408:
	s_or_saveexec_b64 s[12:13], s[12:13]
	v_mov_b32_e32 v12, s17
	s_xor_b64 exec, exec, s[12:13]
	s_cbranch_execz .LBB79_1391
.LBB79_1409:
	v_cmp_ne_u16_e32 vcc, 0, v5
	s_andn2_b64 s[6:7], s[6:7], exec
	s_and_b64 s[14:15], vcc, exec
	v_mov_b32_e32 v12, 0
	s_or_b64 s[6:7], s[6:7], s[14:15]
	s_or_b64 exec, exec, s[12:13]
	s_and_saveexec_b64 s[12:13], s[6:7]
	s_cbranch_execnz .LBB79_1392
	s_branch .LBB79_1393
.LBB79_1410:
	s_mov_b64 s[4:5], -1
                                        ; implicit-def: $vgpr12
	s_branch .LBB79_1415
.LBB79_1411:
	s_mov_b64 s[4:5], -1
                                        ; implicit-def: $vgpr12
.LBB79_1412:
	s_and_b64 vcc, exec, s[4:5]
	s_cbranch_vccz .LBB79_1414
; %bb.1413:
	global_load_ubyte v5, v[10:11], off
	s_mov_b32 s4, 0x7f800000
	s_waitcnt vmcnt(0)
	v_lshlrev_b32_e32 v5, 24, v5
	v_and_b32_e32 v7, 0x7f000000, v5
	v_ffbh_u32_e32 v9, v7
	v_min_u32_e32 v9, 32, v9
	v_sub_u32_e64 v9, v9, 4 clamp
	v_lshlrev_b32_e32 v13, v9, v7
	v_lshlrev_b32_e32 v9, 23, v9
	v_lshrrev_b32_e32 v13, 4, v13
	v_add_u32_e32 v12, 0x1000000, v7
	v_sub_u32_e32 v9, v13, v9
	v_ashrrev_i32_e32 v12, 8, v12
	v_add_u32_e32 v9, 0x3c000000, v9
	v_and_or_b32 v9, v12, s4, v9
	v_cmp_ne_u32_e32 vcc, 0, v7
	v_cndmask_b32_e32 v7, 0, v9, vcc
	s_brev_b32 s4, 1
	v_and_or_b32 v12, v5, s4, v7
.LBB79_1414:
	s_mov_b64 s[4:5], 0
.LBB79_1415:
	s_andn2_b64 vcc, exec, s[4:5]
	s_cbranch_vccnz .LBB79_1417
; %bb.1416:
	global_load_ubyte v5, v[10:11], off
	s_movk_i32 s4, 0x7f00
	s_brev_b32 s5, 16
	s_waitcnt vmcnt(0)
	v_lshlrev_b16_e32 v7, 8, v5
	v_lshlrev_b32_e32 v5, 25, v5
	v_lshrrev_b32_e32 v9, 4, v5
	v_and_or_b32 v12, v7, s4, 0.5
	v_or_b32_e32 v9, 0x70000000, v9
	v_add_f32_e32 v12, -0.5, v12
	v_mul_f32_e32 v9, 0x7800000, v9
	v_cmp_gt_u32_e32 vcc, s5, v5
	v_bfe_i32 v7, v7, 0, 16
	v_cndmask_b32_e32 v5, v9, v12, vcc
	s_brev_b32 s4, 1
	v_and_or_b32 v12, v7, s4, v5
.LBB79_1417:
	s_mov_b64 s[4:5], 0
	s_mov_b64 s[6:7], -1
.LBB79_1418:
	s_andn2_b64 vcc, exec, s[4:5]
	s_mov_b64 s[4:5], 0
	s_cbranch_vccnz .LBB79_1429
; %bb.1419:
	v_mov_b32_e32 v5, 14
	v_cmp_gt_i16_sdwa s[4:5], s16, v5 src0_sel:BYTE_0 src1_sel:DWORD
	s_and_b64 vcc, exec, s[4:5]
	s_cbranch_vccz .LBB79_1422
; %bb.1420:
	v_mov_b32_e32 v5, 15
	v_cmp_eq_u16_sdwa s[0:1], s16, v5 src0_sel:BYTE_0 src1_sel:DWORD
	s_and_b64 vcc, exec, s[0:1]
	s_cbranch_vccz .LBB79_1425
; %bb.1421:
	global_load_ushort v5, v[10:11], off
	s_mov_b64 s[0:1], 0
	s_mov_b64 s[6:7], -1
	s_waitcnt vmcnt(0)
	v_lshlrev_b32_e32 v12, 16, v5
	s_branch .LBB79_1426
.LBB79_1422:
	s_mov_b64 s[12:13], -1
                                        ; implicit-def: $vgpr12
	s_branch .LBB79_1427
.LBB79_1423:
	s_or_saveexec_b64 s[6:7], s[6:7]
	v_mov_b32_e32 v12, s14
	s_xor_b64 exec, exec, s[6:7]
	s_cbranch_execz .LBB79_1404
.LBB79_1424:
	v_cmp_ne_u16_e32 vcc, 0, v5
	s_andn2_b64 s[4:5], s[4:5], exec
	s_and_b64 s[12:13], vcc, exec
	v_mov_b32_e32 v12, 0
	s_or_b64 s[4:5], s[4:5], s[12:13]
	s_or_b64 exec, exec, s[6:7]
	s_and_saveexec_b64 s[6:7], s[4:5]
	s_cbranch_execnz .LBB79_1405
	s_branch .LBB79_1406
.LBB79_1425:
	s_mov_b64 s[0:1], -1
                                        ; implicit-def: $vgpr12
.LBB79_1426:
	s_mov_b64 s[12:13], 0
.LBB79_1427:
	s_mov_b64 s[4:5], 0
	s_and_b64 vcc, exec, s[12:13]
	s_cbranch_vccz .LBB79_1429
; %bb.1428:
	v_mov_b32_e32 v5, 11
	v_cmp_ne_u16_sdwa s[0:1], s16, v5 src0_sel:BYTE_0 src1_sel:DWORD
	s_mov_b64 s[4:5], -1
                                        ; implicit-def: $vgpr12
.LBB79_1429:
	s_and_b64 vcc, exec, s[0:1]
	s_cbranch_vccnz .LBB79_1492
; %bb.1430:
	s_andn2_b64 vcc, exec, s[4:5]
	s_cbranch_vccnz .LBB79_1432
.LBB79_1431:
	global_load_ubyte v5, v[10:11], off
	s_mov_b64 s[6:7], -1
	s_waitcnt vmcnt(0)
	v_cmp_ne_u16_e32 vcc, 0, v5
	v_cndmask_b32_e64 v12, 0, 1.0, vcc
.LBB79_1432:
	s_branch .LBB79_1360
.LBB79_1433:
	v_mov_b32_e32 v5, 5
	v_cmp_lt_i16_sdwa s[0:1], s16, v5 src0_sel:BYTE_0 src1_sel:DWORD
	s_and_b64 vcc, exec, s[0:1]
	s_cbranch_vccnz .LBB79_1438
; %bb.1434:
	v_mov_b32_e32 v5, 8
	v_cmp_lt_i16_sdwa s[0:1], s16, v5 src0_sel:BYTE_0 src1_sel:DWORD
	s_and_b64 vcc, exec, s[0:1]
	s_cbranch_vccnz .LBB79_1439
; %bb.1435:
	;; [unrolled: 5-line block ×3, first 2 shown]
	v_cmp_gt_i16_sdwa s[0:1], s16, v5 src0_sel:BYTE_0 src1_sel:DWORD
	s_and_b64 vcc, exec, s[0:1]
	s_cbranch_vccz .LBB79_1441
; %bb.1437:
	global_load_dwordx2 v[12:13], v[10:11], off
	s_mov_b64 s[0:1], 0
	s_waitcnt vmcnt(0)
	v_cvt_f32_f64_e32 v12, v[12:13]
	s_branch .LBB79_1442
.LBB79_1438:
	s_mov_b64 s[0:1], -1
                                        ; implicit-def: $vgpr12
	s_branch .LBB79_1460
.LBB79_1439:
	s_mov_b64 s[0:1], -1
                                        ; implicit-def: $vgpr12
	s_branch .LBB79_1448
.LBB79_1440:
	s_mov_b64 s[0:1], -1
                                        ; implicit-def: $vgpr12
	s_branch .LBB79_1445
.LBB79_1441:
	s_mov_b64 s[0:1], -1
                                        ; implicit-def: $vgpr12
.LBB79_1442:
	s_andn2_b64 vcc, exec, s[0:1]
	s_cbranch_vccnz .LBB79_1444
; %bb.1443:
	global_load_dword v12, v[10:11], off
.LBB79_1444:
	s_mov_b64 s[0:1], 0
.LBB79_1445:
	s_andn2_b64 vcc, exec, s[0:1]
	s_cbranch_vccnz .LBB79_1447
; %bb.1446:
	global_load_dword v5, v[10:11], off
	s_waitcnt vmcnt(0)
	v_cvt_f32_f16_e32 v12, v5
.LBB79_1447:
	s_mov_b64 s[0:1], 0
.LBB79_1448:
	s_andn2_b64 vcc, exec, s[0:1]
	s_cbranch_vccnz .LBB79_1459
; %bb.1449:
	v_mov_b32_e32 v5, 6
	v_cmp_lt_i16_sdwa s[0:1], s16, v5 src0_sel:BYTE_0 src1_sel:DWORD
	s_and_b64 vcc, exec, s[0:1]
	s_cbranch_vccnz .LBB79_1452
; %bb.1450:
	v_cmp_gt_i16_sdwa s[0:1], s16, v5 src0_sel:BYTE_0 src1_sel:DWORD
	s_and_b64 vcc, exec, s[0:1]
	s_cbranch_vccz .LBB79_1453
; %bb.1451:
	global_load_dwordx2 v[12:13], v[10:11], off
	s_mov_b64 s[0:1], 0
	s_waitcnt vmcnt(0)
	v_cvt_f32_f64_e32 v12, v[12:13]
	s_branch .LBB79_1454
.LBB79_1452:
	s_mov_b64 s[0:1], -1
                                        ; implicit-def: $vgpr12
	s_branch .LBB79_1457
.LBB79_1453:
	s_mov_b64 s[0:1], -1
                                        ; implicit-def: $vgpr12
.LBB79_1454:
	s_andn2_b64 vcc, exec, s[0:1]
	s_cbranch_vccnz .LBB79_1456
; %bb.1455:
	global_load_dword v12, v[10:11], off
.LBB79_1456:
	s_mov_b64 s[0:1], 0
.LBB79_1457:
	s_andn2_b64 vcc, exec, s[0:1]
	s_cbranch_vccnz .LBB79_1459
; %bb.1458:
	global_load_ushort v5, v[10:11], off
	s_waitcnt vmcnt(0)
	v_cvt_f32_f16_e32 v12, v5
.LBB79_1459:
	s_mov_b64 s[0:1], 0
.LBB79_1460:
	s_andn2_b64 vcc, exec, s[0:1]
	s_cbranch_vccnz .LBB79_1480
; %bb.1461:
	v_mov_b32_e32 v5, 2
	v_cmp_lt_i16_sdwa s[0:1], s16, v5 src0_sel:BYTE_0 src1_sel:DWORD
	s_and_b64 vcc, exec, s[0:1]
	s_cbranch_vccnz .LBB79_1465
; %bb.1462:
	v_mov_b32_e32 v5, 3
	v_cmp_lt_i16_sdwa s[0:1], s16, v5 src0_sel:BYTE_0 src1_sel:DWORD
	s_and_b64 vcc, exec, s[0:1]
	s_cbranch_vccnz .LBB79_1466
; %bb.1463:
	v_cmp_gt_i16_sdwa s[0:1], s16, v5 src0_sel:BYTE_0 src1_sel:DWORD
	s_and_b64 vcc, exec, s[0:1]
	s_cbranch_vccz .LBB79_1467
; %bb.1464:
	global_load_dwordx2 v[12:13], v[10:11], off
	s_mov_b64 s[0:1], 0
	s_waitcnt vmcnt(0)
	v_xor_b32_e32 v7, v12, v13
	v_ffbh_i32_e32 v5, v13
	v_ashrrev_i32_e32 v7, 31, v7
	v_add_u32_e32 v5, -1, v5
	v_add_u32_e32 v7, 32, v7
	v_min_u32_e32 v5, v5, v7
	v_lshlrev_b64 v[12:13], v5, v[12:13]
	v_min_u32_e32 v7, 1, v12
	v_or_b32_e32 v7, v13, v7
	v_cvt_f32_i32_e32 v7, v7
	v_sub_u32_e32 v5, 32, v5
	v_ldexp_f32 v12, v7, v5
	s_branch .LBB79_1468
.LBB79_1465:
	s_mov_b64 s[0:1], -1
                                        ; implicit-def: $vgpr12
	s_branch .LBB79_1474
.LBB79_1466:
	s_mov_b64 s[0:1], -1
                                        ; implicit-def: $vgpr12
	s_branch .LBB79_1471
.LBB79_1467:
	s_mov_b64 s[0:1], -1
                                        ; implicit-def: $vgpr12
.LBB79_1468:
	s_andn2_b64 vcc, exec, s[0:1]
	s_cbranch_vccnz .LBB79_1470
; %bb.1469:
	global_load_dword v5, v[10:11], off
	s_waitcnt vmcnt(0)
	v_cvt_f32_i32_e32 v12, v5
.LBB79_1470:
	s_mov_b64 s[0:1], 0
.LBB79_1471:
	s_andn2_b64 vcc, exec, s[0:1]
	s_cbranch_vccnz .LBB79_1473
; %bb.1472:
	global_load_sshort v5, v[10:11], off
	s_waitcnt vmcnt(0)
	v_cvt_f32_i32_e32 v12, v5
.LBB79_1473:
	s_mov_b64 s[0:1], 0
.LBB79_1474:
	s_andn2_b64 vcc, exec, s[0:1]
	s_cbranch_vccnz .LBB79_1480
; %bb.1475:
	v_mov_b32_e32 v5, 0
	v_cmp_gt_i16_sdwa s[0:1], s16, v5 src0_sel:BYTE_0 src1_sel:DWORD
	s_and_b64 vcc, exec, s[0:1]
	s_cbranch_vccz .LBB79_1477
; %bb.1476:
	global_load_sbyte v5, v[10:11], off
	s_mov_b64 s[0:1], 0
	s_waitcnt vmcnt(0)
	v_cvt_f32_i32_e32 v12, v5
	s_branch .LBB79_1478
.LBB79_1477:
	s_mov_b64 s[0:1], -1
                                        ; implicit-def: $vgpr12
.LBB79_1478:
	s_andn2_b64 vcc, exec, s[0:1]
	s_cbranch_vccnz .LBB79_1480
; %bb.1479:
	global_load_ubyte v5, v[10:11], off
	s_waitcnt vmcnt(0)
	v_cvt_f32_ubyte0_e32 v12, v5
.LBB79_1480:
.LBB79_1481:
	v_mov_b32_e32 v5, s11
	v_add_co_u32_e32 v8, vcc, s10, v8
	v_addc_co_u32_e32 v9, vcc, 0, v5, vcc
	v_mov_b32_e32 v5, 11
	v_cmp_lt_i16_sdwa s[0:1], s16, v5 src0_sel:BYTE_0 src1_sel:DWORD
	s_and_b64 vcc, exec, s[0:1]
	s_cbranch_vccnz .LBB79_1488
; %bb.1482:
	v_mov_b32_e32 v5, 25
	v_cmp_gt_i16_sdwa s[0:1], s16, v5 src0_sel:BYTE_0 src1_sel:DWORD
	s_mov_b64 s[4:5], 0
	s_and_b64 vcc, exec, s[0:1]
	s_cbranch_vccz .LBB79_1489
; %bb.1483:
	v_mov_b32_e32 v5, 28
	v_cmp_gt_i16_sdwa s[0:1], s16, v5 src0_sel:BYTE_0 src1_sel:DWORD
	s_and_b64 vcc, exec, s[0:1]
	s_cbranch_vccz .LBB79_1490
; %bb.1484:
	v_mov_b32_e32 v5, 43
	v_cmp_gt_i16_sdwa s[0:1], s16, v5 src0_sel:BYTE_0 src1_sel:DWORD
	;; [unrolled: 5-line block ×3, first 2 shown]
	s_and_b64 vcc, exec, s[0:1]
	s_cbranch_vccz .LBB79_1493
; %bb.1486:
	v_mov_b32_e32 v5, 46
	v_cmp_eq_u16_sdwa s[0:1], s16, v5 src0_sel:BYTE_0 src1_sel:DWORD
	s_mov_b64 s[10:11], 0
	s_and_b64 vcc, exec, s[0:1]
	s_cbranch_vccz .LBB79_1494
; %bb.1487:
	global_load_dword v5, v[8:9], off
	s_mov_b64 s[0:1], 0
	s_mov_b64 s[6:7], -1
	s_waitcnt vmcnt(0)
	v_lshlrev_b32_e32 v10, 16, v5
	s_branch .LBB79_1495
.LBB79_1488:
	s_mov_b64 s[0:1], -1
	s_mov_b64 s[6:7], 0
                                        ; implicit-def: $vgpr10
	s_branch .LBB79_1561
.LBB79_1489:
	s_mov_b64 s[10:11], -1
	s_mov_b64 s[6:7], 0
	s_mov_b64 s[0:1], 0
                                        ; implicit-def: $vgpr10
	s_branch .LBB79_1524
.LBB79_1490:
	s_mov_b64 s[10:11], -1
	s_mov_b64 s[6:7], 0
	s_mov_b64 s[0:1], 0
                                        ; implicit-def: $vgpr10
	s_branch .LBB79_1505
.LBB79_1491:
	s_mov_b64 s[10:11], -1
	s_mov_b64 s[6:7], 0
	s_mov_b64 s[0:1], 0
                                        ; implicit-def: $vgpr10
	s_branch .LBB79_1500
.LBB79_1492:
	s_trap 2
	s_or_b64 s[2:3], s[2:3], exec
                                        ; implicit-def: $vgpr12
	s_cbranch_execz .LBB79_1431
	s_branch .LBB79_1432
.LBB79_1493:
	s_mov_b64 s[10:11], -1
	s_mov_b64 s[6:7], 0
	s_mov_b64 s[0:1], 0
                                        ; implicit-def: $vgpr10
	s_branch .LBB79_1495
.LBB79_1494:
	s_mov_b64 s[0:1], -1
                                        ; implicit-def: $vgpr10
	s_mov_b64 s[6:7], 0
.LBB79_1495:
	s_and_b64 vcc, exec, s[10:11]
	s_cbranch_vccz .LBB79_1499
; %bb.1496:
	v_mov_b32_e32 v5, 44
	v_cmp_eq_u16_sdwa s[0:1], s16, v5 src0_sel:BYTE_0 src1_sel:DWORD
	s_and_b64 vcc, exec, s[0:1]
	s_cbranch_vccz .LBB79_1498
; %bb.1497:
	global_load_ubyte v5, v[8:9], off
	s_movk_i32 s6, 0xff
	v_mov_b32_e32 v7, 0x7f800001
	v_mov_b32_e32 v10, 0x400000
	s_mov_b64 s[0:1], 0
	s_waitcnt vmcnt(0)
	v_lshlrev_b32_e32 v11, 23, v5
	v_cmp_ne_u32_e32 vcc, s6, v5
	v_cndmask_b32_e32 v7, v7, v11, vcc
	v_cmp_ne_u32_e32 vcc, 0, v5
	v_cndmask_b32_e32 v10, v10, v7, vcc
	s_mov_b64 s[6:7], -1
	s_branch .LBB79_1499
.LBB79_1498:
	s_mov_b64 s[0:1], -1
                                        ; implicit-def: $vgpr10
.LBB79_1499:
	s_mov_b64 s[10:11], 0
.LBB79_1500:
	s_and_b64 vcc, exec, s[10:11]
	s_cbranch_vccz .LBB79_1504
; %bb.1501:
	v_mov_b32_e32 v5, 29
	v_cmp_eq_u16_sdwa s[0:1], s16, v5 src0_sel:BYTE_0 src1_sel:DWORD
	s_and_b64 vcc, exec, s[0:1]
	s_cbranch_vccz .LBB79_1503
; %bb.1502:
	global_load_dwordx2 v[10:11], v[8:9], off
	s_mov_b64 s[0:1], 0
	s_mov_b64 s[6:7], -1
	s_mov_b64 s[10:11], 0
	s_waitcnt vmcnt(0)
	v_ffbh_u32_e32 v5, v11
	v_min_u32_e32 v5, 32, v5
	v_lshlrev_b64 v[10:11], v5, v[10:11]
	v_min_u32_e32 v7, 1, v10
	v_or_b32_e32 v7, v11, v7
	v_cvt_f32_u32_e32 v7, v7
	v_sub_u32_e32 v5, 32, v5
	v_ldexp_f32 v10, v7, v5
	s_branch .LBB79_1505
.LBB79_1503:
	s_mov_b64 s[0:1], -1
                                        ; implicit-def: $vgpr10
.LBB79_1504:
	s_mov_b64 s[10:11], 0
.LBB79_1505:
	s_and_b64 vcc, exec, s[10:11]
	s_cbranch_vccz .LBB79_1523
; %bb.1506:
	v_mov_b32_e32 v5, 27
	v_cmp_lt_i16_sdwa s[6:7], s16, v5 src0_sel:BYTE_0 src1_sel:DWORD
	s_and_b64 vcc, exec, s[6:7]
	s_cbranch_vccnz .LBB79_1509
; %bb.1507:
	v_cmp_gt_i16_sdwa s[6:7], s16, v5 src0_sel:BYTE_0 src1_sel:DWORD
	s_and_b64 vcc, exec, s[6:7]
	s_cbranch_vccz .LBB79_1510
; %bb.1508:
	global_load_dword v5, v[8:9], off
	s_mov_b64 s[6:7], 0
	s_waitcnt vmcnt(0)
	v_cvt_f32_u32_e32 v10, v5
	s_branch .LBB79_1511
.LBB79_1509:
	s_mov_b64 s[6:7], -1
                                        ; implicit-def: $vgpr10
	s_branch .LBB79_1514
.LBB79_1510:
	s_mov_b64 s[6:7], -1
                                        ; implicit-def: $vgpr10
.LBB79_1511:
	s_andn2_b64 vcc, exec, s[6:7]
	s_cbranch_vccnz .LBB79_1513
; %bb.1512:
	global_load_ushort v5, v[8:9], off
	s_waitcnt vmcnt(0)
	v_cvt_f32_u32_e32 v10, v5
.LBB79_1513:
	s_mov_b64 s[6:7], 0
.LBB79_1514:
	s_andn2_b64 vcc, exec, s[6:7]
	s_cbranch_vccnz .LBB79_1522
; %bb.1515:
	global_load_ubyte v5, v[8:9], off
	s_movk_i32 s6, 0x7f
                                        ; implicit-def: $sgpr14
	s_waitcnt vmcnt(0)
	v_cmp_lt_i16_e32 vcc, s6, v5
	s_mov_b64 s[6:7], 0
	s_and_saveexec_b64 s[10:11], vcc
	s_xor_b64 s[10:11], exec, s[10:11]
	s_cbranch_execz .LBB79_1536
; %bb.1516:
	s_movk_i32 s6, 0x80
	v_cmp_eq_u16_e32 vcc, s6, v5
	s_mov_b64 s[6:7], -1
                                        ; implicit-def: $sgpr14
	s_and_saveexec_b64 s[12:13], vcc
; %bb.1517:
	s_mov_b32 s14, 0x7f800001
	s_xor_b64 s[6:7], exec, -1
; %bb.1518:
	s_or_b64 exec, exec, s[12:13]
	s_and_b64 s[6:7], s[6:7], exec
	s_or_saveexec_b64 s[10:11], s[10:11]
	v_mov_b32_e32 v10, s14
	s_xor_b64 exec, exec, s[10:11]
	s_cbranch_execnz .LBB79_1537
.LBB79_1519:
	s_or_b64 exec, exec, s[10:11]
	s_and_saveexec_b64 s[10:11], s[6:7]
	s_cbranch_execz .LBB79_1521
.LBB79_1520:
	v_lshlrev_b32_e32 v7, 24, v5
	v_and_b32_e32 v5, 0xffff, v5
	v_and_b32_e32 v10, 7, v5
	v_ffbh_u32_e32 v13, v10
	v_min_u32_e32 v13, 32, v13
	v_subrev_u32_e32 v14, 28, v13
	v_bfe_u32 v11, v5, 3, 4
	v_lshlrev_b32_e32 v5, v14, v5
	v_sub_u32_e32 v13, 29, v13
	v_and_b32_e32 v5, 7, v5
	v_cmp_eq_u32_e32 vcc, 0, v11
	v_cndmask_b32_e32 v11, v11, v13, vcc
	v_cndmask_b32_e32 v5, v10, v5, vcc
	v_mov_b32_e32 v10, 0x3b800000
	v_lshlrev_b32_e32 v5, 20, v5
	v_and_b32_e32 v7, 0x80000000, v7
	v_lshl_add_u32 v10, v11, 23, v10
	v_or3_b32 v10, v7, v10, v5
.LBB79_1521:
	s_or_b64 exec, exec, s[10:11]
.LBB79_1522:
	s_mov_b64 s[6:7], -1
.LBB79_1523:
	s_mov_b64 s[10:11], 0
.LBB79_1524:
	s_and_b64 vcc, exec, s[10:11]
	s_cbranch_vccz .LBB79_1557
; %bb.1525:
	v_mov_b32_e32 v5, 22
	v_cmp_gt_i16_sdwa s[4:5], s16, v5 src0_sel:BYTE_0 src1_sel:DWORD
	s_and_b64 vcc, exec, s[4:5]
	s_cbranch_vccz .LBB79_1535
; %bb.1526:
	v_mov_b32_e32 v5, 24
	v_cmp_lt_i16_sdwa s[4:5], s16, v5 src0_sel:BYTE_0 src1_sel:DWORD
	s_and_b64 vcc, exec, s[4:5]
	s_cbranch_vccnz .LBB79_1538
; %bb.1527:
	v_cmp_gt_i16_sdwa s[4:5], s16, v5 src0_sel:BYTE_0 src1_sel:DWORD
	s_and_b64 vcc, exec, s[4:5]
	s_cbranch_vccz .LBB79_1539
; %bb.1528:
	global_load_ubyte v5, v[8:9], off
	s_movk_i32 s4, 0x7f
                                        ; implicit-def: $sgpr12
	s_waitcnt vmcnt(0)
	v_cmp_lt_i16_e32 vcc, s4, v5
	s_mov_b64 s[4:5], 0
	s_and_saveexec_b64 s[6:7], vcc
	s_xor_b64 s[6:7], exec, s[6:7]
	s_cbranch_execz .LBB79_1551
; %bb.1529:
	s_movk_i32 s4, 0x80
	v_cmp_eq_u16_e32 vcc, s4, v5
	s_mov_b64 s[4:5], -1
                                        ; implicit-def: $sgpr12
	s_and_saveexec_b64 s[10:11], vcc
; %bb.1530:
	s_mov_b32 s12, 0x7f800001
	s_xor_b64 s[4:5], exec, -1
; %bb.1531:
	s_or_b64 exec, exec, s[10:11]
	s_and_b64 s[4:5], s[4:5], exec
	s_or_saveexec_b64 s[6:7], s[6:7]
	v_mov_b32_e32 v10, s12
	s_xor_b64 exec, exec, s[6:7]
	s_cbranch_execnz .LBB79_1552
.LBB79_1532:
	s_or_b64 exec, exec, s[6:7]
	s_and_saveexec_b64 s[6:7], s[4:5]
	s_cbranch_execz .LBB79_1534
.LBB79_1533:
	v_lshlrev_b32_e32 v7, 24, v5
	v_and_b32_e32 v5, 0xffff, v5
	v_and_b32_e32 v10, 3, v5
	v_ffbh_u32_e32 v13, v10
	v_min_u32_e32 v13, 32, v13
	v_subrev_u32_e32 v14, 29, v13
	v_bfe_u32 v11, v5, 2, 5
	v_lshlrev_b32_e32 v5, v14, v5
	v_sub_u32_e32 v13, 30, v13
	v_and_b32_e32 v5, 3, v5
	v_cmp_eq_u32_e32 vcc, 0, v11
	v_cndmask_b32_e32 v11, v11, v13, vcc
	v_cndmask_b32_e32 v5, v10, v5, vcc
	v_mov_b32_e32 v10, 0x37800000
	v_lshlrev_b32_e32 v5, 21, v5
	v_and_b32_e32 v7, 0x80000000, v7
	v_lshl_add_u32 v10, v11, 23, v10
	v_or3_b32 v10, v7, v10, v5
.LBB79_1534:
	s_or_b64 exec, exec, s[6:7]
	s_mov_b64 s[4:5], 0
	s_branch .LBB79_1540
.LBB79_1535:
	s_mov_b64 s[4:5], -1
                                        ; implicit-def: $vgpr10
	s_branch .LBB79_1546
.LBB79_1536:
	s_or_saveexec_b64 s[10:11], s[10:11]
	v_mov_b32_e32 v10, s14
	s_xor_b64 exec, exec, s[10:11]
	s_cbranch_execz .LBB79_1519
.LBB79_1537:
	v_cmp_ne_u16_e32 vcc, 0, v5
	s_andn2_b64 s[6:7], s[6:7], exec
	s_and_b64 s[12:13], vcc, exec
	v_mov_b32_e32 v10, 0
	s_or_b64 s[6:7], s[6:7], s[12:13]
	s_or_b64 exec, exec, s[10:11]
	s_and_saveexec_b64 s[10:11], s[6:7]
	s_cbranch_execnz .LBB79_1520
	s_branch .LBB79_1521
.LBB79_1538:
	s_mov_b64 s[4:5], -1
                                        ; implicit-def: $vgpr10
	s_branch .LBB79_1543
.LBB79_1539:
	s_mov_b64 s[4:5], -1
                                        ; implicit-def: $vgpr10
.LBB79_1540:
	s_and_b64 vcc, exec, s[4:5]
	s_cbranch_vccz .LBB79_1542
; %bb.1541:
	global_load_ubyte v5, v[8:9], off
	s_mov_b32 s4, 0x7f800000
	s_waitcnt vmcnt(0)
	v_lshlrev_b32_e32 v5, 24, v5
	v_and_b32_e32 v7, 0x7f000000, v5
	v_ffbh_u32_e32 v10, v7
	v_min_u32_e32 v10, 32, v10
	v_sub_u32_e64 v10, v10, 4 clamp
	v_lshlrev_b32_e32 v13, v10, v7
	v_lshlrev_b32_e32 v10, 23, v10
	v_lshrrev_b32_e32 v13, 4, v13
	v_add_u32_e32 v11, 0x1000000, v7
	v_sub_u32_e32 v10, v13, v10
	v_ashrrev_i32_e32 v11, 8, v11
	v_add_u32_e32 v10, 0x3c000000, v10
	v_and_or_b32 v10, v11, s4, v10
	v_cmp_ne_u32_e32 vcc, 0, v7
	v_cndmask_b32_e32 v7, 0, v10, vcc
	s_brev_b32 s4, 1
	v_and_or_b32 v10, v5, s4, v7
.LBB79_1542:
	s_mov_b64 s[4:5], 0
.LBB79_1543:
	s_andn2_b64 vcc, exec, s[4:5]
	s_cbranch_vccnz .LBB79_1545
; %bb.1544:
	global_load_ubyte v5, v[8:9], off
	s_movk_i32 s4, 0x7f00
	s_brev_b32 s5, 16
	s_waitcnt vmcnt(0)
	v_lshlrev_b16_e32 v7, 8, v5
	v_lshlrev_b32_e32 v5, 25, v5
	v_lshrrev_b32_e32 v10, 4, v5
	v_and_or_b32 v11, v7, s4, 0.5
	v_or_b32_e32 v10, 0x70000000, v10
	v_add_f32_e32 v11, -0.5, v11
	v_mul_f32_e32 v10, 0x7800000, v10
	v_cmp_gt_u32_e32 vcc, s5, v5
	v_bfe_i32 v7, v7, 0, 16
	v_cndmask_b32_e32 v5, v10, v11, vcc
	s_brev_b32 s4, 1
	v_and_or_b32 v10, v7, s4, v5
.LBB79_1545:
	s_mov_b64 s[4:5], 0
	s_mov_b64 s[6:7], -1
.LBB79_1546:
	s_andn2_b64 vcc, exec, s[4:5]
	s_mov_b64 s[4:5], 0
	s_cbranch_vccnz .LBB79_1557
; %bb.1547:
	v_mov_b32_e32 v5, 14
	v_cmp_gt_i16_sdwa s[4:5], s16, v5 src0_sel:BYTE_0 src1_sel:DWORD
	s_and_b64 vcc, exec, s[4:5]
	s_cbranch_vccz .LBB79_1550
; %bb.1548:
	v_mov_b32_e32 v5, 15
	v_cmp_eq_u16_sdwa s[0:1], s16, v5 src0_sel:BYTE_0 src1_sel:DWORD
	s_and_b64 vcc, exec, s[0:1]
	s_cbranch_vccz .LBB79_1553
; %bb.1549:
	global_load_ushort v5, v[8:9], off
	s_mov_b64 s[0:1], 0
	s_mov_b64 s[6:7], -1
	s_waitcnt vmcnt(0)
	v_lshlrev_b32_e32 v10, 16, v5
	s_branch .LBB79_1554
.LBB79_1550:
	s_mov_b64 s[10:11], -1
                                        ; implicit-def: $vgpr10
	s_branch .LBB79_1555
.LBB79_1551:
	s_or_saveexec_b64 s[6:7], s[6:7]
	v_mov_b32_e32 v10, s12
	s_xor_b64 exec, exec, s[6:7]
	s_cbranch_execz .LBB79_1532
.LBB79_1552:
	v_cmp_ne_u16_e32 vcc, 0, v5
	s_andn2_b64 s[4:5], s[4:5], exec
	s_and_b64 s[10:11], vcc, exec
	v_mov_b32_e32 v10, 0
	s_or_b64 s[4:5], s[4:5], s[10:11]
	s_or_b64 exec, exec, s[6:7]
	s_and_saveexec_b64 s[6:7], s[4:5]
	s_cbranch_execnz .LBB79_1533
	s_branch .LBB79_1534
.LBB79_1553:
	s_mov_b64 s[0:1], -1
                                        ; implicit-def: $vgpr10
.LBB79_1554:
	s_mov_b64 s[10:11], 0
.LBB79_1555:
	s_mov_b64 s[4:5], 0
	s_and_b64 vcc, exec, s[10:11]
	s_cbranch_vccz .LBB79_1557
; %bb.1556:
	v_mov_b32_e32 v5, 11
	v_cmp_ne_u16_sdwa s[0:1], s16, v5 src0_sel:BYTE_0 src1_sel:DWORD
	s_mov_b64 s[4:5], -1
                                        ; implicit-def: $vgpr10
.LBB79_1557:
	s_and_b64 vcc, exec, s[0:1]
	s_cbranch_vccnz .LBB79_1621
; %bb.1558:
	s_andn2_b64 vcc, exec, s[4:5]
	s_cbranch_vccnz .LBB79_1560
.LBB79_1559:
	global_load_ubyte v5, v[8:9], off
	s_mov_b64 s[6:7], -1
	s_waitcnt vmcnt(0)
	v_cmp_ne_u16_e32 vcc, 0, v5
	v_cndmask_b32_e64 v10, 0, 1.0, vcc
.LBB79_1560:
	s_mov_b64 s[0:1], 0
.LBB79_1561:
	s_and_b64 vcc, exec, s[0:1]
	s_cbranch_vccz .LBB79_1610
; %bb.1562:
	v_mov_b32_e32 v5, 5
	v_cmp_lt_i16_sdwa s[0:1], s16, v5 src0_sel:BYTE_0 src1_sel:DWORD
	s_and_b64 vcc, exec, s[0:1]
	s_cbranch_vccnz .LBB79_1567
; %bb.1563:
	v_mov_b32_e32 v5, 8
	v_cmp_lt_i16_sdwa s[0:1], s16, v5 src0_sel:BYTE_0 src1_sel:DWORD
	s_and_b64 vcc, exec, s[0:1]
	s_cbranch_vccnz .LBB79_1568
	;; [unrolled: 5-line block ×3, first 2 shown]
; %bb.1565:
	v_cmp_gt_i16_sdwa s[0:1], s16, v5 src0_sel:BYTE_0 src1_sel:DWORD
	s_and_b64 vcc, exec, s[0:1]
	s_cbranch_vccz .LBB79_1570
; %bb.1566:
	global_load_dwordx2 v[10:11], v[8:9], off
	s_mov_b64 s[0:1], 0
	s_waitcnt vmcnt(0)
	v_cvt_f32_f64_e32 v10, v[10:11]
	s_branch .LBB79_1571
.LBB79_1567:
	s_mov_b64 s[0:1], -1
                                        ; implicit-def: $vgpr10
	s_branch .LBB79_1589
.LBB79_1568:
	s_mov_b64 s[0:1], -1
                                        ; implicit-def: $vgpr10
	s_branch .LBB79_1577
.LBB79_1569:
	s_mov_b64 s[0:1], -1
                                        ; implicit-def: $vgpr10
	s_branch .LBB79_1574
.LBB79_1570:
	s_mov_b64 s[0:1], -1
                                        ; implicit-def: $vgpr10
.LBB79_1571:
	s_andn2_b64 vcc, exec, s[0:1]
	s_cbranch_vccnz .LBB79_1573
; %bb.1572:
	global_load_dword v10, v[8:9], off
.LBB79_1573:
	s_mov_b64 s[0:1], 0
.LBB79_1574:
	s_andn2_b64 vcc, exec, s[0:1]
	s_cbranch_vccnz .LBB79_1576
; %bb.1575:
	global_load_dword v5, v[8:9], off
	s_waitcnt vmcnt(0)
	v_cvt_f32_f16_e32 v10, v5
.LBB79_1576:
	s_mov_b64 s[0:1], 0
.LBB79_1577:
	s_andn2_b64 vcc, exec, s[0:1]
	s_cbranch_vccnz .LBB79_1588
; %bb.1578:
	v_mov_b32_e32 v5, 6
	v_cmp_lt_i16_sdwa s[0:1], s16, v5 src0_sel:BYTE_0 src1_sel:DWORD
	s_and_b64 vcc, exec, s[0:1]
	s_cbranch_vccnz .LBB79_1581
; %bb.1579:
	v_cmp_gt_i16_sdwa s[0:1], s16, v5 src0_sel:BYTE_0 src1_sel:DWORD
	s_and_b64 vcc, exec, s[0:1]
	s_cbranch_vccz .LBB79_1582
; %bb.1580:
	global_load_dwordx2 v[10:11], v[8:9], off
	s_mov_b64 s[0:1], 0
	s_waitcnt vmcnt(0)
	v_cvt_f32_f64_e32 v10, v[10:11]
	s_branch .LBB79_1583
.LBB79_1581:
	s_mov_b64 s[0:1], -1
                                        ; implicit-def: $vgpr10
	s_branch .LBB79_1586
.LBB79_1582:
	s_mov_b64 s[0:1], -1
                                        ; implicit-def: $vgpr10
.LBB79_1583:
	s_andn2_b64 vcc, exec, s[0:1]
	s_cbranch_vccnz .LBB79_1585
; %bb.1584:
	global_load_dword v10, v[8:9], off
.LBB79_1585:
	s_mov_b64 s[0:1], 0
.LBB79_1586:
	s_andn2_b64 vcc, exec, s[0:1]
	s_cbranch_vccnz .LBB79_1588
; %bb.1587:
	global_load_ushort v5, v[8:9], off
	s_waitcnt vmcnt(0)
	v_cvt_f32_f16_e32 v10, v5
.LBB79_1588:
	s_mov_b64 s[0:1], 0
.LBB79_1589:
	s_andn2_b64 vcc, exec, s[0:1]
	s_cbranch_vccnz .LBB79_1609
; %bb.1590:
	v_mov_b32_e32 v5, 2
	v_cmp_lt_i16_sdwa s[0:1], s16, v5 src0_sel:BYTE_0 src1_sel:DWORD
	s_and_b64 vcc, exec, s[0:1]
	s_cbranch_vccnz .LBB79_1594
; %bb.1591:
	v_mov_b32_e32 v5, 3
	v_cmp_lt_i16_sdwa s[0:1], s16, v5 src0_sel:BYTE_0 src1_sel:DWORD
	s_and_b64 vcc, exec, s[0:1]
	s_cbranch_vccnz .LBB79_1595
; %bb.1592:
	v_cmp_gt_i16_sdwa s[0:1], s16, v5 src0_sel:BYTE_0 src1_sel:DWORD
	s_and_b64 vcc, exec, s[0:1]
	s_cbranch_vccz .LBB79_1596
; %bb.1593:
	global_load_dwordx2 v[10:11], v[8:9], off
	s_mov_b64 s[0:1], 0
	s_waitcnt vmcnt(0)
	v_xor_b32_e32 v7, v10, v11
	v_ffbh_i32_e32 v5, v11
	v_ashrrev_i32_e32 v7, 31, v7
	v_add_u32_e32 v5, -1, v5
	v_add_u32_e32 v7, 32, v7
	v_min_u32_e32 v5, v5, v7
	v_lshlrev_b64 v[10:11], v5, v[10:11]
	v_min_u32_e32 v7, 1, v10
	v_or_b32_e32 v7, v11, v7
	v_cvt_f32_i32_e32 v7, v7
	v_sub_u32_e32 v5, 32, v5
	v_ldexp_f32 v10, v7, v5
	s_branch .LBB79_1597
.LBB79_1594:
	s_mov_b64 s[0:1], -1
                                        ; implicit-def: $vgpr10
	s_branch .LBB79_1603
.LBB79_1595:
	s_mov_b64 s[0:1], -1
                                        ; implicit-def: $vgpr10
	s_branch .LBB79_1600
.LBB79_1596:
	s_mov_b64 s[0:1], -1
                                        ; implicit-def: $vgpr10
.LBB79_1597:
	s_andn2_b64 vcc, exec, s[0:1]
	s_cbranch_vccnz .LBB79_1599
; %bb.1598:
	global_load_dword v5, v[8:9], off
	s_waitcnt vmcnt(0)
	v_cvt_f32_i32_e32 v10, v5
.LBB79_1599:
	s_mov_b64 s[0:1], 0
.LBB79_1600:
	s_andn2_b64 vcc, exec, s[0:1]
	s_cbranch_vccnz .LBB79_1602
; %bb.1601:
	global_load_sshort v5, v[8:9], off
	s_waitcnt vmcnt(0)
	v_cvt_f32_i32_e32 v10, v5
.LBB79_1602:
	s_mov_b64 s[0:1], 0
.LBB79_1603:
	s_andn2_b64 vcc, exec, s[0:1]
	s_cbranch_vccnz .LBB79_1609
; %bb.1604:
	v_mov_b32_e32 v5, 0
	v_cmp_gt_i16_sdwa s[0:1], s16, v5 src0_sel:BYTE_0 src1_sel:DWORD
	s_and_b64 vcc, exec, s[0:1]
	s_cbranch_vccz .LBB79_1606
; %bb.1605:
	global_load_sbyte v5, v[8:9], off
	s_mov_b64 s[0:1], 0
	s_waitcnt vmcnt(0)
	v_cvt_f32_i32_e32 v10, v5
	s_branch .LBB79_1607
.LBB79_1606:
	s_mov_b64 s[0:1], -1
                                        ; implicit-def: $vgpr10
.LBB79_1607:
	s_andn2_b64 vcc, exec, s[0:1]
	s_cbranch_vccnz .LBB79_1609
; %bb.1608:
	global_load_ubyte v5, v[8:9], off
	s_waitcnt vmcnt(0)
	v_cvt_f32_ubyte0_e32 v10, v5
.LBB79_1609:
	s_mov_b64 s[6:7], -1
.LBB79_1610:
	s_andn2_b64 vcc, exec, s[6:7]
	s_cbranch_vccnz .LBB79_2012
; %bb.1611:
	s_load_dwordx2 s[4:5], s[34:35], 0x15c
	s_brev_b32 s0, -2
	v_mov_b32_e32 v5, s9
	v_add_co_u32_e32 v6, vcc, s8, v6
	s_waitcnt lgkmcnt(0)
	s_and_b32 s16, s5, 0xff
	v_mov_b32_e32 v7, s4
	s_waitcnt vmcnt(0)
	v_bfi_b32 v8, s0, v7, v1
	v_addc_co_u32_e32 v7, vcc, 0, v5, vcc
	v_cmp_lt_i16_e64 s[6:7], s16, 11
	s_and_b64 vcc, exec, s[6:7]
	s_cbranch_vccnz .LBB79_1618
; %bb.1612:
	v_cmp_gt_i16_e64 s[0:1], s16, 25
	s_mov_b64 s[14:15], -1
	s_mov_b64 s[10:11], 0
	s_and_b64 vcc, exec, s[0:1]
	s_mov_b64 s[12:13], 0
	s_mov_b64 s[0:1], 0
	s_cbranch_vccz .LBB79_1652
; %bb.1613:
	v_cmp_gt_i16_e64 s[0:1], s16, 28
	s_and_b64 vcc, exec, s[0:1]
	s_cbranch_vccz .LBB79_1619
; %bb.1614:
	v_cmp_gt_i16_e64 s[0:1], s16, 43
	s_and_b64 vcc, exec, s[0:1]
	;; [unrolled: 4-line block ×3, first 2 shown]
	s_cbranch_vccz .LBB79_1622
; %bb.1616:
	v_cmp_eq_u16_e64 s[12:13], s16, 46
	s_mov_b64 s[0:1], -1
	s_mov_b64 s[14:15], 0
	s_and_b64 vcc, exec, s[12:13]
	s_mov_b64 s[12:13], 0
	s_cbranch_vccz .LBB79_1623
; %bb.1617:
	v_bfe_u32 v1, v8, 16, 1
	s_movk_i32 s0, 0x7fff
	v_add3_u32 v1, v8, v1, s0
	v_lshrrev_b32_e32 v1, 16, v1
	v_mov_b32_e32 v5, 0x7fc0
	v_cmp_o_f32_e32 vcc, v8, v8
	v_cndmask_b32_e32 v1, v5, v1, vcc
	global_store_dword v[6:7], v1, off
	s_mov_b64 s[0:1], 0
	s_mov_b64 s[12:13], -1
	s_branch .LBB79_1623
.LBB79_1618:
	s_mov_b64 s[0:1], -1
	s_mov_b64 s[12:13], 0
	s_branch .LBB79_1702
.LBB79_1619:
	s_mov_b64 s[0:1], 0
	s_branch .LBB79_1633
.LBB79_1620:
	s_mov_b64 s[0:1], 0
	s_branch .LBB79_1629
.LBB79_1621:
	s_trap 2
	s_or_b64 s[2:3], s[2:3], exec
                                        ; implicit-def: $vgpr10
	s_cbranch_execz .LBB79_1559
	s_branch .LBB79_1560
.LBB79_1622:
	s_mov_b64 s[0:1], 0
.LBB79_1623:
	s_and_b64 vcc, exec, s[14:15]
	s_cbranch_vccz .LBB79_1628
; %bb.1624:
	v_cmp_eq_u16_e64 s[14:15], s16, 44
	s_mov_b64 s[0:1], -1
	s_and_b64 vcc, exec, s[14:15]
	s_cbranch_vccz .LBB79_1628
; %bb.1625:
	v_bfe_u32 v1, v8, 23, 8
	s_movk_i32 s0, 0xff
	v_cmp_ne_u32_e32 vcc, s0, v1
	v_mov_b32_e32 v5, 0xff
	s_and_saveexec_b64 s[12:13], vcc
; %bb.1626:
	s_mov_b32 s0, 0x3fffff
	v_and_b32_e32 v9, 0x400000, v8
	v_and_or_b32 v1, v8, s0, v1
	v_cmp_ne_u32_e32 vcc, 0, v9
	v_cmp_ne_u32_e64 s[0:1], 0, v1
	s_and_b64 s[0:1], vcc, s[0:1]
	v_lshrrev_b32_e32 v5, 23, v8
	v_cndmask_b32_e64 v1, 0, 1, s[0:1]
	v_add_u32_e32 v5, v5, v1
; %bb.1627:
	s_or_b64 exec, exec, s[12:13]
	s_mov_b64 s[0:1], 0
	s_mov_b64 s[12:13], -1
	global_store_byte v[6:7], v5, off
.LBB79_1628:
	s_mov_b64 s[14:15], 0
.LBB79_1629:
	s_and_b64 vcc, exec, s[14:15]
	s_cbranch_vccz .LBB79_1632
; %bb.1630:
	v_cmp_eq_u16_e64 s[14:15], s16, 29
	s_mov_b64 s[0:1], -1
	s_and_b64 vcc, exec, s[14:15]
	s_cbranch_vccz .LBB79_1632
; %bb.1631:
	v_trunc_f32_e32 v1, v8
	v_mul_f32_e32 v5, 0x2f800000, v1
	v_floor_f32_e32 v5, v5
	v_fmac_f32_e32 v1, 0xcf800000, v5
	v_cvt_u32_f32_e32 v15, v5
	v_cvt_u32_f32_e32 v14, v1
	s_mov_b64 s[0:1], 0
	s_mov_b64 s[12:13], -1
	s_mov_b64 s[14:15], 0
	global_store_dwordx2 v[6:7], v[14:15], off
	s_branch .LBB79_1633
.LBB79_1632:
	s_mov_b64 s[14:15], 0
.LBB79_1633:
	s_and_b64 vcc, exec, s[14:15]
	s_cbranch_vccz .LBB79_1651
; %bb.1634:
	v_cmp_lt_i16_e64 s[14:15], s16, 27
	s_mov_b64 s[12:13], -1
	s_and_b64 vcc, exec, s[14:15]
	s_cbranch_vccnz .LBB79_1640
; %bb.1635:
	v_cvt_u32_f32_e32 v1, v8
	v_cmp_gt_i16_e64 s[14:15], s16, 27
	s_and_b64 vcc, exec, s[14:15]
	s_cbranch_vccz .LBB79_1637
; %bb.1636:
	s_mov_b64 s[12:13], 0
	global_store_dword v[6:7], v1, off
.LBB79_1637:
	s_andn2_b64 vcc, exec, s[12:13]
	s_cbranch_vccnz .LBB79_1639
; %bb.1638:
	global_store_short v[6:7], v1, off
.LBB79_1639:
	s_mov_b64 s[12:13], 0
.LBB79_1640:
	s_andn2_b64 vcc, exec, s[12:13]
	s_cbranch_vccnz .LBB79_1650
; %bb.1641:
	s_and_b32 s5, s4, 0x7fffffff
	s_cmp_gt_u32 s5, 0x437fffff
	v_mov_b32_e32 v5, 0x80
	s_cbranch_scc1 .LBB79_1649
; %bb.1642:
	s_cmp_gt_u32 s5, 0x3bffffff
	s_cbranch_scc0 .LBB79_1644
; %bb.1643:
	v_bfe_u32 v1, v8, 20, 1
	s_mov_b32 s5, 0x487ffff
	v_add3_u32 v1, v8, v1, s5
	v_lshrrev_b32_e32 v1, 20, v1
	s_mov_b64 s[14:15], 0
	s_mov_b64 s[12:13], -1
	s_branch .LBB79_1645
.LBB79_1644:
	s_mov_b64 s[14:15], -1
	s_mov_b64 s[12:13], 0
                                        ; implicit-def: $vgpr1
.LBB79_1645:
	s_andn2_b64 vcc, exec, s[14:15]
                                        ; implicit-def: $sgpr5
	s_cbranch_vccnz .LBB79_1647
; %bb.1646:
	v_mov_b32_e32 v1, 0x46000000
	v_add_f32_e64 v1, |s4|, v1
	v_and_b32_e32 v1, 0xff, v1
	s_mov_b32 s5, 0
	v_cmp_ne_u32_e64 s[12:13], 0, v1
.LBB79_1647:
	s_andn2_b64 vcc, exec, s[12:13]
	v_mov_b32_e32 v5, s5
	s_cbranch_vccnz .LBB79_1649
; %bb.1648:
	v_lshrrev_b32_e32 v5, 24, v8
	s_movk_i32 s5, 0x80
	v_and_or_b32 v5, v5, s5, v1
.LBB79_1649:
	global_store_byte v[6:7], v5, off
.LBB79_1650:
	s_mov_b64 s[12:13], -1
.LBB79_1651:
	s_mov_b64 s[14:15], 0
.LBB79_1652:
	s_and_b64 vcc, exec, s[14:15]
	s_cbranch_vccz .LBB79_1698
; %bb.1653:
	v_cmp_gt_i16_e64 s[14:15], s16, 22
	s_mov_b64 s[10:11], -1
	s_and_b64 vcc, exec, s[14:15]
	s_cbranch_vccz .LBB79_1691
; %bb.1654:
	v_cmp_lt_i16_e64 s[12:13], s16, 24
	s_and_b64 vcc, exec, s[12:13]
	s_cbranch_vccnz .LBB79_1678
; %bb.1655:
	v_cmp_gt_i16_e64 s[12:13], s16, 24
	s_and_b64 vcc, exec, s[12:13]
	s_cbranch_vccz .LBB79_1665
; %bb.1656:
	s_and_b32 s5, s4, 0x7fffffff
	s_cmp_gt_u32 s5, 0x477fffff
	v_mov_b32_e32 v5, 0x80
	s_cbranch_scc1 .LBB79_1664
; %bb.1657:
	s_cmp_gt_u32 s5, 0x37ffffff
	s_cbranch_scc0 .LBB79_1659
; %bb.1658:
	v_bfe_u32 v1, v8, 21, 1
	s_mov_b32 s5, 0x88fffff
	v_add3_u32 v1, v8, v1, s5
	v_lshrrev_b32_e32 v1, 21, v1
	s_mov_b64 s[12:13], 0
	s_branch .LBB79_1660
.LBB79_1659:
	s_mov_b64 s[12:13], -1
	s_mov_b64 s[10:11], 0
                                        ; implicit-def: $vgpr1
.LBB79_1660:
	s_andn2_b64 vcc, exec, s[12:13]
                                        ; implicit-def: $sgpr5
	s_cbranch_vccnz .LBB79_1662
; %bb.1661:
	v_mov_b32_e32 v1, 0x42800000
	v_add_f32_e64 v1, |s4|, v1
	v_and_b32_e32 v1, 0xff, v1
	s_mov_b32 s5, 0
	v_cmp_ne_u32_e64 s[10:11], 0, v1
.LBB79_1662:
	s_andn2_b64 vcc, exec, s[10:11]
	v_mov_b32_e32 v5, s5
	s_cbranch_vccnz .LBB79_1664
; %bb.1663:
	v_lshrrev_b32_e32 v5, 24, v8
	s_movk_i32 s5, 0x80
	v_and_or_b32 v5, v5, s5, v1
.LBB79_1664:
	s_mov_b64 s[10:11], 0
	global_store_byte v[6:7], v5, off
.LBB79_1665:
	s_and_b64 vcc, exec, s[10:11]
	s_cbranch_vccz .LBB79_1677
; %bb.1666:
	s_and_b32 s5, s4, 0x7fffffff
	s_cmp_lt_u32 s5, 0x43f00000
	s_cbranch_scc0 .LBB79_1669
; %bb.1667:
	s_cmp_gt_u32 s5, 0x3c7fffff
	s_cbranch_scc0 .LBB79_1670
; %bb.1668:
	v_bfe_u32 v1, v8, 20, 1
	s_mov_b32 s10, 0x407ffff
	v_add3_u32 v1, v8, v1, s10
	v_lshrrev_b32_e32 v5, 20, v1
	v_and_b32_e32 v1, 0xff00000, v1
	s_mov_b32 s10, 0x7f00000
	v_mov_b32_e32 v9, 0x7e
	v_cmp_ne_u32_e32 vcc, s10, v1
	v_cndmask_b32_e32 v1, v9, v5, vcc
	s_mov_b64 s[10:11], 0
	s_branch .LBB79_1671
.LBB79_1669:
	s_mov_b64 s[10:11], -1
                                        ; implicit-def: $vgpr1
	s_branch .LBB79_1674
.LBB79_1670:
	s_mov_b64 s[10:11], -1
                                        ; implicit-def: $vgpr1
.LBB79_1671:
	s_andn2_b64 vcc, exec, s[10:11]
	s_cbranch_vccnz .LBB79_1673
; %bb.1672:
	v_mov_b32_e32 v1, 0x46800000
	v_add_f32_e64 v1, |s4|, v1
.LBB79_1673:
	s_mov_b64 s[10:11], 0
.LBB79_1674:
	s_andn2_b64 vcc, exec, s[10:11]
	s_cbranch_vccnz .LBB79_1676
; %bb.1675:
	s_cmp_gt_u32 s5, 0x7f800000
	s_movk_i32 s5, 0x7f
	s_cselect_b32 s5, s5, 0x7e
	v_mov_b32_e32 v1, s5
.LBB79_1676:
	v_lshrrev_b32_e32 v5, 24, v8
	s_movk_i32 s5, 0x80
	v_and_or_b32 v1, v5, s5, v1
	global_store_byte v[6:7], v1, off
.LBB79_1677:
	s_mov_b64 s[10:11], 0
.LBB79_1678:
	s_andn2_b64 vcc, exec, s[10:11]
	s_cbranch_vccnz .LBB79_1690
; %bb.1679:
	s_and_b32 s5, s4, 0x7fffffff
	s_cmp_lt_u32 s5, 0x47800000
	s_cbranch_scc0 .LBB79_1682
; %bb.1680:
	s_cmp_gt_u32 s5, 0x387fffff
	s_cbranch_scc0 .LBB79_1683
; %bb.1681:
	v_bfe_u32 v1, v8, 21, 1
	s_mov_b32 s10, 0x80fffff
	v_add3_u32 v1, v8, v1, s10
	v_lshrrev_b32_e32 v1, 21, v1
	s_mov_b64 s[10:11], 0
	s_branch .LBB79_1684
.LBB79_1682:
	s_mov_b64 s[10:11], -1
                                        ; implicit-def: $vgpr1
	s_branch .LBB79_1687
.LBB79_1683:
	s_mov_b64 s[10:11], -1
                                        ; implicit-def: $vgpr1
.LBB79_1684:
	s_andn2_b64 vcc, exec, s[10:11]
	s_cbranch_vccnz .LBB79_1686
; %bb.1685:
	v_mov_b32_e32 v1, 0x43000000
	v_add_f32_e64 v1, |s4|, v1
.LBB79_1686:
	s_mov_b64 s[10:11], 0
.LBB79_1687:
	s_andn2_b64 vcc, exec, s[10:11]
	s_cbranch_vccnz .LBB79_1689
; %bb.1688:
	s_cmp_gt_u32 s5, 0x7f800000
	s_movk_i32 s5, 0x7f
	s_cselect_b32 s5, s5, 0x7c
	v_mov_b32_e32 v1, s5
.LBB79_1689:
	v_lshrrev_b32_e32 v5, 24, v8
	s_movk_i32 s5, 0x80
	v_and_or_b32 v1, v5, s5, v1
	global_store_byte v[6:7], v1, off
.LBB79_1690:
	s_mov_b64 s[10:11], 0
	s_mov_b64 s[12:13], -1
.LBB79_1691:
	s_andn2_b64 vcc, exec, s[10:11]
	s_mov_b64 s[10:11], 0
	s_cbranch_vccnz .LBB79_1698
; %bb.1692:
	v_cmp_gt_i16_e64 s[10:11], s16, 14
	s_mov_b64 s[14:15], -1
	s_and_b64 vcc, exec, s[10:11]
	s_cbranch_vccz .LBB79_1696
; %bb.1693:
	v_cmp_eq_u16_e64 s[10:11], s16, 15
	s_mov_b64 s[0:1], -1
	s_and_b64 vcc, exec, s[10:11]
	s_cbranch_vccz .LBB79_1695
; %bb.1694:
	v_bfe_u32 v1, v8, 16, 1
	s_movk_i32 s0, 0x7fff
	v_add3_u32 v1, v8, v1, s0
	v_lshrrev_b32_e32 v1, 16, v1
	v_mov_b32_e32 v5, 0x7fc0
	v_cmp_o_f32_e32 vcc, v8, v8
	v_cndmask_b32_e32 v1, v5, v1, vcc
	global_store_short v[6:7], v1, off
	s_mov_b64 s[0:1], 0
	s_mov_b64 s[12:13], -1
.LBB79_1695:
	s_mov_b64 s[14:15], 0
.LBB79_1696:
	s_mov_b64 s[10:11], 0
	s_and_b64 vcc, exec, s[14:15]
	s_cbranch_vccz .LBB79_1698
; %bb.1697:
	v_cmp_ne_u16_e64 s[0:1], s16, 11
	s_mov_b64 s[10:11], -1
.LBB79_1698:
	s_and_b64 vcc, exec, s[0:1]
	s_cbranch_vccnz .LBB79_1752
; %bb.1699:
	s_andn2_b64 vcc, exec, s[10:11]
	s_cbranch_vccnz .LBB79_1701
.LBB79_1700:
	v_cmp_neq_f32_e32 vcc, 0, v8
	v_cndmask_b32_e64 v1, 0, 1, vcc
	s_mov_b64 s[12:13], -1
	global_store_byte v[6:7], v1, off
.LBB79_1701:
	s_mov_b64 s[0:1], 0
.LBB79_1702:
	s_and_b64 vcc, exec, s[0:1]
	s_cbranch_vccz .LBB79_1741
; %bb.1703:
	v_cmp_lt_i16_e64 s[10:11], s16, 5
	s_mov_b64 s[0:1], -1
	s_and_b64 vcc, exec, s[10:11]
	s_cbranch_vccnz .LBB79_1724
; %bb.1704:
	v_cmp_lt_i16_e64 s[10:11], s16, 8
	s_and_b64 vcc, exec, s[10:11]
	s_cbranch_vccnz .LBB79_1714
; %bb.1705:
	v_cmp_lt_i16_e64 s[10:11], s16, 9
	s_and_b64 vcc, exec, s[10:11]
	s_cbranch_vccnz .LBB79_1711
; %bb.1706:
	v_cmp_gt_i16_e64 s[10:11], s16, 9
	s_and_b64 vcc, exec, s[10:11]
	s_cbranch_vccz .LBB79_1708
; %bb.1707:
	v_mov_b32_e32 v16, 0
	v_cvt_f64_f32_e32 v[14:15], v8
	v_mov_b32_e32 v17, v16
	global_store_dwordx4 v[6:7], v[14:17], off
	s_mov_b64 s[0:1], 0
.LBB79_1708:
	s_andn2_b64 vcc, exec, s[0:1]
	s_cbranch_vccnz .LBB79_1710
; %bb.1709:
	v_mov_b32_e32 v9, 0
	global_store_dwordx2 v[6:7], v[8:9], off
.LBB79_1710:
	s_mov_b64 s[0:1], 0
.LBB79_1711:
	s_andn2_b64 vcc, exec, s[0:1]
	s_cbranch_vccnz .LBB79_1713
; %bb.1712:
	v_cvt_f16_f32_e32 v1, v8
	global_store_dword v[6:7], v1, off
.LBB79_1713:
	s_mov_b64 s[0:1], 0
.LBB79_1714:
	s_andn2_b64 vcc, exec, s[0:1]
	s_cbranch_vccnz .LBB79_1723
; %bb.1715:
	v_cmp_lt_i16_e64 s[10:11], s16, 6
	s_mov_b64 s[0:1], -1
	s_and_b64 vcc, exec, s[10:11]
	s_cbranch_vccnz .LBB79_1721
; %bb.1716:
	v_cmp_gt_i16_e64 s[10:11], s16, 6
	s_and_b64 vcc, exec, s[10:11]
	s_cbranch_vccz .LBB79_1718
; %bb.1717:
	v_cvt_f64_f32_e32 v[14:15], v8
	global_store_dwordx2 v[6:7], v[14:15], off
	s_mov_b64 s[0:1], 0
.LBB79_1718:
	s_andn2_b64 vcc, exec, s[0:1]
	s_cbranch_vccnz .LBB79_1720
; %bb.1719:
	global_store_dword v[6:7], v8, off
.LBB79_1720:
	s_mov_b64 s[0:1], 0
.LBB79_1721:
	s_andn2_b64 vcc, exec, s[0:1]
	s_cbranch_vccnz .LBB79_1723
; %bb.1722:
	v_cvt_f16_f32_e32 v1, v8
	global_store_short v[6:7], v1, off
.LBB79_1723:
	s_mov_b64 s[0:1], 0
.LBB79_1724:
	s_andn2_b64 vcc, exec, s[0:1]
	s_cbranch_vccnz .LBB79_1740
; %bb.1725:
	v_cmp_lt_i16_e64 s[10:11], s16, 2
	s_mov_b64 s[0:1], -1
	s_and_b64 vcc, exec, s[10:11]
	s_cbranch_vccnz .LBB79_1735
; %bb.1726:
	v_cmp_lt_i16_e64 s[10:11], s16, 3
	s_and_b64 vcc, exec, s[10:11]
	s_cbranch_vccnz .LBB79_1732
; %bb.1727:
	v_cmp_gt_i16_e64 s[10:11], s16, 3
	s_and_b64 vcc, exec, s[10:11]
	s_cbranch_vccz .LBB79_1729
; %bb.1728:
	v_trunc_f32_e32 v1, v8
	s_mov_b32 s0, 0x2f800000
	v_mul_f32_e64 v5, |v1|, s0
	v_floor_f32_e32 v5, v5
	s_mov_b32 s0, 0xcf800000
	v_cvt_u32_f32_e32 v9, v5
	v_fma_f32 v5, v5, s0, |v1|
	v_cvt_u32_f32_e32 v5, v5
	v_ashrrev_i32_e32 v1, 31, v1
	v_xor_b32_e32 v9, v9, v1
	s_mov_b64 s[0:1], 0
	v_xor_b32_e32 v5, v5, v1
	v_sub_co_u32_e32 v14, vcc, v5, v1
	v_subb_co_u32_e32 v15, vcc, v9, v1, vcc
	global_store_dwordx2 v[6:7], v[14:15], off
.LBB79_1729:
	s_andn2_b64 vcc, exec, s[0:1]
	s_cbranch_vccnz .LBB79_1731
; %bb.1730:
	v_cvt_i32_f32_e32 v1, v8
	global_store_dword v[6:7], v1, off
.LBB79_1731:
	s_mov_b64 s[0:1], 0
.LBB79_1732:
	s_andn2_b64 vcc, exec, s[0:1]
	s_cbranch_vccnz .LBB79_1734
; %bb.1733:
	v_cvt_i32_f32_e32 v1, v8
	global_store_short v[6:7], v1, off
.LBB79_1734:
	s_mov_b64 s[0:1], 0
.LBB79_1735:
	s_andn2_b64 vcc, exec, s[0:1]
	s_cbranch_vccnz .LBB79_1740
; %bb.1736:
	v_cmp_gt_i16_e64 s[10:11], s16, 0
	s_mov_b64 s[0:1], -1
	s_and_b64 vcc, exec, s[10:11]
	s_cbranch_vccz .LBB79_1738
; %bb.1737:
	v_cvt_i32_f32_e32 v1, v8
	s_mov_b64 s[0:1], 0
	global_store_byte v[6:7], v1, off
.LBB79_1738:
	s_andn2_b64 vcc, exec, s[0:1]
	s_cbranch_vccnz .LBB79_1740
; %bb.1739:
	v_trunc_f32_e32 v1, v8
	s_mov_b32 s0, 0x2f800000
	v_mul_f32_e64 v5, |v1|, s0
	v_floor_f32_e32 v5, v5
	s_mov_b32 s0, 0xcf800000
	v_fma_f32 v5, v5, s0, |v1|
	v_cvt_u32_f32_e32 v5, v5
	v_ashrrev_i32_e32 v1, 31, v1
	v_xor_b32_e32 v5, v5, v1
	v_sub_u32_e32 v1, v5, v1
	global_store_byte v[6:7], v1, off
.LBB79_1740:
	s_mov_b64 s[12:13], -1
.LBB79_1741:
	s_andn2_b64 vcc, exec, s[12:13]
	s_cbranch_vccnz .LBB79_2012
; %bb.1742:
	s_brev_b32 s0, -2
	v_mov_b32_e32 v1, s4
	v_bfi_b32 v6, s0, v1, v3
	v_mov_b32_e32 v1, s9
	v_add_co_u32_e32 v4, vcc, s8, v4
	v_addc_co_u32_e32 v5, vcc, 0, v1, vcc
	s_and_b64 vcc, exec, s[6:7]
	s_cbranch_vccnz .LBB79_1749
; %bb.1743:
	v_cmp_gt_i16_e64 s[0:1], s16, 25
	s_mov_b64 s[14:15], -1
	s_mov_b64 s[10:11], 0
	s_and_b64 vcc, exec, s[0:1]
	s_mov_b64 s[12:13], 0
	s_mov_b64 s[0:1], 0
	s_cbranch_vccz .LBB79_1783
; %bb.1744:
	v_cmp_gt_i16_e64 s[0:1], s16, 28
	s_and_b64 vcc, exec, s[0:1]
	s_cbranch_vccz .LBB79_1750
; %bb.1745:
	v_cmp_gt_i16_e64 s[0:1], s16, 43
	s_and_b64 vcc, exec, s[0:1]
	;; [unrolled: 4-line block ×3, first 2 shown]
	s_cbranch_vccz .LBB79_1753
; %bb.1747:
	v_cmp_eq_u16_e64 s[12:13], s16, 46
	s_mov_b64 s[0:1], -1
	s_mov_b64 s[14:15], 0
	s_and_b64 vcc, exec, s[12:13]
	s_mov_b64 s[12:13], 0
	s_cbranch_vccz .LBB79_1754
; %bb.1748:
	v_bfe_u32 v1, v6, 16, 1
	s_movk_i32 s0, 0x7fff
	v_add3_u32 v1, v6, v1, s0
	v_lshrrev_b32_e32 v1, 16, v1
	v_mov_b32_e32 v3, 0x7fc0
	v_cmp_o_f32_e32 vcc, v6, v6
	v_cndmask_b32_e32 v1, v3, v1, vcc
	global_store_dword v[4:5], v1, off
	s_mov_b64 s[0:1], 0
	s_mov_b64 s[12:13], -1
	s_branch .LBB79_1754
.LBB79_1749:
	s_mov_b64 s[0:1], -1
	s_mov_b64 s[12:13], 0
	s_branch .LBB79_1833
.LBB79_1750:
	s_mov_b64 s[0:1], 0
	s_branch .LBB79_1764
.LBB79_1751:
	s_mov_b64 s[0:1], 0
	s_branch .LBB79_1760
.LBB79_1752:
	s_trap 2
	s_or_b64 s[2:3], s[2:3], exec
	s_cbranch_execz .LBB79_1700
	s_branch .LBB79_1701
.LBB79_1753:
	s_mov_b64 s[0:1], 0
.LBB79_1754:
	s_and_b64 vcc, exec, s[14:15]
	s_cbranch_vccz .LBB79_1759
; %bb.1755:
	v_cmp_eq_u16_e64 s[14:15], s16, 44
	s_mov_b64 s[0:1], -1
	s_and_b64 vcc, exec, s[14:15]
	s_cbranch_vccz .LBB79_1759
; %bb.1756:
	v_bfe_u32 v1, v6, 23, 8
	s_movk_i32 s0, 0xff
	v_cmp_ne_u32_e32 vcc, s0, v1
	v_mov_b32_e32 v3, 0xff
	s_and_saveexec_b64 s[12:13], vcc
; %bb.1757:
	s_mov_b32 s0, 0x3fffff
	v_and_b32_e32 v7, 0x400000, v6
	v_and_or_b32 v1, v6, s0, v1
	v_cmp_ne_u32_e32 vcc, 0, v7
	v_cmp_ne_u32_e64 s[0:1], 0, v1
	s_and_b64 s[0:1], vcc, s[0:1]
	v_lshrrev_b32_e32 v3, 23, v6
	v_cndmask_b32_e64 v1, 0, 1, s[0:1]
	v_add_u32_e32 v3, v3, v1
; %bb.1758:
	s_or_b64 exec, exec, s[12:13]
	s_mov_b64 s[0:1], 0
	s_mov_b64 s[12:13], -1
	global_store_byte v[4:5], v3, off
.LBB79_1759:
	s_mov_b64 s[14:15], 0
.LBB79_1760:
	s_and_b64 vcc, exec, s[14:15]
	s_cbranch_vccz .LBB79_1763
; %bb.1761:
	v_cmp_eq_u16_e64 s[14:15], s16, 29
	s_mov_b64 s[0:1], -1
	s_and_b64 vcc, exec, s[14:15]
	s_cbranch_vccz .LBB79_1763
; %bb.1762:
	v_trunc_f32_e32 v1, v6
	v_mul_f32_e32 v3, 0x2f800000, v1
	v_floor_f32_e32 v3, v3
	v_fmac_f32_e32 v1, 0xcf800000, v3
	v_cvt_u32_f32_e32 v9, v3
	v_cvt_u32_f32_e32 v8, v1
	s_mov_b64 s[0:1], 0
	s_mov_b64 s[12:13], -1
	s_mov_b64 s[14:15], 0
	global_store_dwordx2 v[4:5], v[8:9], off
	s_branch .LBB79_1764
.LBB79_1763:
	s_mov_b64 s[14:15], 0
.LBB79_1764:
	s_and_b64 vcc, exec, s[14:15]
	s_cbranch_vccz .LBB79_1782
; %bb.1765:
	v_cmp_lt_i16_e64 s[14:15], s16, 27
	s_mov_b64 s[12:13], -1
	s_and_b64 vcc, exec, s[14:15]
	s_cbranch_vccnz .LBB79_1771
; %bb.1766:
	v_cmp_gt_i16_e64 s[14:15], s16, 27
	s_and_b64 vcc, exec, s[14:15]
	s_cbranch_vccz .LBB79_1768
; %bb.1767:
	v_cvt_u32_f32_e32 v1, v6
	s_mov_b64 s[12:13], 0
	global_store_dword v[4:5], v1, off
.LBB79_1768:
	s_andn2_b64 vcc, exec, s[12:13]
	s_cbranch_vccnz .LBB79_1770
; %bb.1769:
	v_cvt_u32_f32_e32 v1, v6
	global_store_short v[4:5], v1, off
.LBB79_1770:
	s_mov_b64 s[12:13], 0
.LBB79_1771:
	s_andn2_b64 vcc, exec, s[12:13]
	s_cbranch_vccnz .LBB79_1781
; %bb.1772:
	s_and_b32 s5, s4, 0x7fffffff
	s_cmp_gt_u32 s5, 0x437fffff
	v_mov_b32_e32 v3, 0x80
	s_cbranch_scc1 .LBB79_1780
; %bb.1773:
	s_cmp_gt_u32 s5, 0x3bffffff
	s_cbranch_scc0 .LBB79_1775
; %bb.1774:
	v_bfe_u32 v1, v6, 20, 1
	s_mov_b32 s5, 0x487ffff
	v_add3_u32 v1, v6, v1, s5
	v_lshrrev_b32_e32 v1, 20, v1
	s_mov_b64 s[14:15], 0
	s_mov_b64 s[12:13], -1
	s_branch .LBB79_1776
.LBB79_1775:
	s_mov_b64 s[14:15], -1
	s_mov_b64 s[12:13], 0
                                        ; implicit-def: $vgpr1
.LBB79_1776:
	s_andn2_b64 vcc, exec, s[14:15]
                                        ; implicit-def: $sgpr5
	s_cbranch_vccnz .LBB79_1778
; %bb.1777:
	v_mov_b32_e32 v1, 0x46000000
	v_add_f32_e64 v1, |s4|, v1
	v_and_b32_e32 v1, 0xff, v1
	s_mov_b32 s5, 0
	v_cmp_ne_u32_e64 s[12:13], 0, v1
.LBB79_1778:
	s_andn2_b64 vcc, exec, s[12:13]
	v_mov_b32_e32 v3, s5
	s_cbranch_vccnz .LBB79_1780
; %bb.1779:
	v_lshrrev_b32_e32 v3, 24, v6
	s_movk_i32 s5, 0x80
	v_and_or_b32 v3, v3, s5, v1
.LBB79_1780:
	global_store_byte v[4:5], v3, off
.LBB79_1781:
	s_mov_b64 s[12:13], -1
.LBB79_1782:
	s_mov_b64 s[14:15], 0
.LBB79_1783:
	s_and_b64 vcc, exec, s[14:15]
	s_cbranch_vccz .LBB79_1829
; %bb.1784:
	v_cmp_gt_i16_e64 s[14:15], s16, 22
	s_mov_b64 s[10:11], -1
	s_and_b64 vcc, exec, s[14:15]
	s_cbranch_vccz .LBB79_1822
; %bb.1785:
	v_cmp_lt_i16_e64 s[12:13], s16, 24
	s_and_b64 vcc, exec, s[12:13]
	s_cbranch_vccnz .LBB79_1809
; %bb.1786:
	v_cmp_gt_i16_e64 s[12:13], s16, 24
	s_and_b64 vcc, exec, s[12:13]
	s_cbranch_vccz .LBB79_1796
; %bb.1787:
	s_and_b32 s5, s4, 0x7fffffff
	s_cmp_gt_u32 s5, 0x477fffff
	v_mov_b32_e32 v3, 0x80
	s_cbranch_scc1 .LBB79_1795
; %bb.1788:
	s_cmp_gt_u32 s5, 0x37ffffff
	s_cbranch_scc0 .LBB79_1790
; %bb.1789:
	v_bfe_u32 v1, v6, 21, 1
	s_mov_b32 s5, 0x88fffff
	v_add3_u32 v1, v6, v1, s5
	v_lshrrev_b32_e32 v1, 21, v1
	s_mov_b64 s[12:13], 0
	s_branch .LBB79_1791
.LBB79_1790:
	s_mov_b64 s[12:13], -1
	s_mov_b64 s[10:11], 0
                                        ; implicit-def: $vgpr1
.LBB79_1791:
	s_andn2_b64 vcc, exec, s[12:13]
                                        ; implicit-def: $sgpr5
	s_cbranch_vccnz .LBB79_1793
; %bb.1792:
	v_mov_b32_e32 v1, 0x42800000
	v_add_f32_e64 v1, |s4|, v1
	v_and_b32_e32 v1, 0xff, v1
	s_mov_b32 s5, 0
	v_cmp_ne_u32_e64 s[10:11], 0, v1
.LBB79_1793:
	s_andn2_b64 vcc, exec, s[10:11]
	v_mov_b32_e32 v3, s5
	s_cbranch_vccnz .LBB79_1795
; %bb.1794:
	v_lshrrev_b32_e32 v3, 24, v6
	s_movk_i32 s5, 0x80
	v_and_or_b32 v3, v3, s5, v1
.LBB79_1795:
	s_mov_b64 s[10:11], 0
	global_store_byte v[4:5], v3, off
.LBB79_1796:
	s_and_b64 vcc, exec, s[10:11]
	s_cbranch_vccz .LBB79_1808
; %bb.1797:
	s_and_b32 s5, s4, 0x7fffffff
	s_cmp_lt_u32 s5, 0x43f00000
	s_cbranch_scc0 .LBB79_1800
; %bb.1798:
	s_cmp_gt_u32 s5, 0x3c7fffff
	s_cbranch_scc0 .LBB79_1801
; %bb.1799:
	v_bfe_u32 v1, v6, 20, 1
	s_mov_b32 s10, 0x407ffff
	v_add3_u32 v1, v6, v1, s10
	v_lshrrev_b32_e32 v3, 20, v1
	v_and_b32_e32 v1, 0xff00000, v1
	s_mov_b32 s10, 0x7f00000
	v_mov_b32_e32 v7, 0x7e
	v_cmp_ne_u32_e32 vcc, s10, v1
	v_cndmask_b32_e32 v1, v7, v3, vcc
	s_mov_b64 s[10:11], 0
	s_branch .LBB79_1802
.LBB79_1800:
	s_mov_b64 s[10:11], -1
                                        ; implicit-def: $vgpr1
	s_branch .LBB79_1805
.LBB79_1801:
	s_mov_b64 s[10:11], -1
                                        ; implicit-def: $vgpr1
.LBB79_1802:
	s_andn2_b64 vcc, exec, s[10:11]
	s_cbranch_vccnz .LBB79_1804
; %bb.1803:
	v_mov_b32_e32 v1, 0x46800000
	v_add_f32_e64 v1, |s4|, v1
.LBB79_1804:
	s_mov_b64 s[10:11], 0
.LBB79_1805:
	s_andn2_b64 vcc, exec, s[10:11]
	s_cbranch_vccnz .LBB79_1807
; %bb.1806:
	s_cmp_gt_u32 s5, 0x7f800000
	s_movk_i32 s5, 0x7f
	s_cselect_b32 s5, s5, 0x7e
	v_mov_b32_e32 v1, s5
.LBB79_1807:
	v_lshrrev_b32_e32 v3, 24, v6
	s_movk_i32 s5, 0x80
	v_and_or_b32 v1, v3, s5, v1
	global_store_byte v[4:5], v1, off
.LBB79_1808:
	s_mov_b64 s[10:11], 0
.LBB79_1809:
	s_andn2_b64 vcc, exec, s[10:11]
	s_cbranch_vccnz .LBB79_1821
; %bb.1810:
	s_and_b32 s5, s4, 0x7fffffff
	s_cmp_lt_u32 s5, 0x47800000
	s_cbranch_scc0 .LBB79_1813
; %bb.1811:
	s_cmp_gt_u32 s5, 0x387fffff
	s_cbranch_scc0 .LBB79_1814
; %bb.1812:
	v_bfe_u32 v1, v6, 21, 1
	s_mov_b32 s10, 0x80fffff
	v_add3_u32 v1, v6, v1, s10
	v_lshrrev_b32_e32 v1, 21, v1
	s_mov_b64 s[10:11], 0
	s_branch .LBB79_1815
.LBB79_1813:
	s_mov_b64 s[10:11], -1
                                        ; implicit-def: $vgpr1
	s_branch .LBB79_1818
.LBB79_1814:
	s_mov_b64 s[10:11], -1
                                        ; implicit-def: $vgpr1
.LBB79_1815:
	s_andn2_b64 vcc, exec, s[10:11]
	s_cbranch_vccnz .LBB79_1817
; %bb.1816:
	v_mov_b32_e32 v1, 0x43000000
	v_add_f32_e64 v1, |s4|, v1
.LBB79_1817:
	s_mov_b64 s[10:11], 0
.LBB79_1818:
	s_andn2_b64 vcc, exec, s[10:11]
	s_cbranch_vccnz .LBB79_1820
; %bb.1819:
	s_cmp_gt_u32 s5, 0x7f800000
	s_movk_i32 s5, 0x7f
	s_cselect_b32 s5, s5, 0x7c
	v_mov_b32_e32 v1, s5
.LBB79_1820:
	v_lshrrev_b32_e32 v3, 24, v6
	s_movk_i32 s5, 0x80
	v_and_or_b32 v1, v3, s5, v1
	global_store_byte v[4:5], v1, off
.LBB79_1821:
	s_mov_b64 s[10:11], 0
	s_mov_b64 s[12:13], -1
.LBB79_1822:
	s_andn2_b64 vcc, exec, s[10:11]
	s_mov_b64 s[10:11], 0
	s_cbranch_vccnz .LBB79_1829
; %bb.1823:
	v_cmp_gt_i16_e64 s[10:11], s16, 14
	s_mov_b64 s[14:15], -1
	s_and_b64 vcc, exec, s[10:11]
	s_cbranch_vccz .LBB79_1827
; %bb.1824:
	v_cmp_eq_u16_e64 s[10:11], s16, 15
	s_mov_b64 s[0:1], -1
	s_and_b64 vcc, exec, s[10:11]
	s_cbranch_vccz .LBB79_1826
; %bb.1825:
	v_bfe_u32 v1, v6, 16, 1
	s_movk_i32 s0, 0x7fff
	v_add3_u32 v1, v6, v1, s0
	v_lshrrev_b32_e32 v1, 16, v1
	v_mov_b32_e32 v3, 0x7fc0
	v_cmp_o_f32_e32 vcc, v6, v6
	v_cndmask_b32_e32 v1, v3, v1, vcc
	global_store_short v[4:5], v1, off
	s_mov_b64 s[0:1], 0
	s_mov_b64 s[12:13], -1
.LBB79_1826:
	s_mov_b64 s[14:15], 0
.LBB79_1827:
	s_mov_b64 s[10:11], 0
	s_and_b64 vcc, exec, s[14:15]
	s_cbranch_vccz .LBB79_1829
; %bb.1828:
	v_cmp_ne_u16_e64 s[0:1], s16, 11
	s_mov_b64 s[10:11], -1
.LBB79_1829:
	s_and_b64 vcc, exec, s[0:1]
	s_cbranch_vccnz .LBB79_1883
; %bb.1830:
	s_andn2_b64 vcc, exec, s[10:11]
	s_cbranch_vccnz .LBB79_1832
.LBB79_1831:
	v_cmp_neq_f32_e32 vcc, 0, v6
	v_cndmask_b32_e64 v1, 0, 1, vcc
	s_mov_b64 s[12:13], -1
	global_store_byte v[4:5], v1, off
.LBB79_1832:
	s_mov_b64 s[0:1], 0
.LBB79_1833:
	s_and_b64 vcc, exec, s[0:1]
	s_cbranch_vccz .LBB79_1872
; %bb.1834:
	v_cmp_lt_i16_e64 s[10:11], s16, 5
	s_mov_b64 s[0:1], -1
	s_and_b64 vcc, exec, s[10:11]
	s_cbranch_vccnz .LBB79_1855
; %bb.1835:
	v_cmp_lt_i16_e64 s[10:11], s16, 8
	s_and_b64 vcc, exec, s[10:11]
	s_cbranch_vccnz .LBB79_1845
; %bb.1836:
	v_cmp_lt_i16_e64 s[10:11], s16, 9
	s_and_b64 vcc, exec, s[10:11]
	s_cbranch_vccnz .LBB79_1842
; %bb.1837:
	v_cmp_gt_i16_e64 s[10:11], s16, 9
	s_and_b64 vcc, exec, s[10:11]
	s_cbranch_vccz .LBB79_1839
; %bb.1838:
	v_mov_b32_e32 v16, 0
	v_cvt_f64_f32_e32 v[14:15], v6
	v_mov_b32_e32 v17, v16
	global_store_dwordx4 v[4:5], v[14:17], off
	s_mov_b64 s[0:1], 0
.LBB79_1839:
	s_andn2_b64 vcc, exec, s[0:1]
	s_cbranch_vccnz .LBB79_1841
; %bb.1840:
	v_mov_b32_e32 v7, 0
	global_store_dwordx2 v[4:5], v[6:7], off
.LBB79_1841:
	s_mov_b64 s[0:1], 0
.LBB79_1842:
	s_andn2_b64 vcc, exec, s[0:1]
	s_cbranch_vccnz .LBB79_1844
; %bb.1843:
	v_cvt_f16_f32_e32 v1, v6
	global_store_dword v[4:5], v1, off
.LBB79_1844:
	s_mov_b64 s[0:1], 0
.LBB79_1845:
	s_andn2_b64 vcc, exec, s[0:1]
	s_cbranch_vccnz .LBB79_1854
; %bb.1846:
	v_cmp_lt_i16_e64 s[10:11], s16, 6
	s_mov_b64 s[0:1], -1
	s_and_b64 vcc, exec, s[10:11]
	s_cbranch_vccnz .LBB79_1852
; %bb.1847:
	v_cmp_gt_i16_e64 s[10:11], s16, 6
	s_and_b64 vcc, exec, s[10:11]
	s_cbranch_vccz .LBB79_1849
; %bb.1848:
	v_cvt_f64_f32_e32 v[8:9], v6
	global_store_dwordx2 v[4:5], v[8:9], off
	s_mov_b64 s[0:1], 0
.LBB79_1849:
	s_andn2_b64 vcc, exec, s[0:1]
	s_cbranch_vccnz .LBB79_1851
; %bb.1850:
	global_store_dword v[4:5], v6, off
.LBB79_1851:
	s_mov_b64 s[0:1], 0
.LBB79_1852:
	s_andn2_b64 vcc, exec, s[0:1]
	s_cbranch_vccnz .LBB79_1854
; %bb.1853:
	v_cvt_f16_f32_e32 v1, v6
	global_store_short v[4:5], v1, off
.LBB79_1854:
	s_mov_b64 s[0:1], 0
.LBB79_1855:
	s_andn2_b64 vcc, exec, s[0:1]
	s_cbranch_vccnz .LBB79_1871
; %bb.1856:
	v_cmp_lt_i16_e64 s[10:11], s16, 2
	s_mov_b64 s[0:1], -1
	s_and_b64 vcc, exec, s[10:11]
	s_cbranch_vccnz .LBB79_1866
; %bb.1857:
	v_cmp_lt_i16_e64 s[10:11], s16, 3
	s_and_b64 vcc, exec, s[10:11]
	s_cbranch_vccnz .LBB79_1863
; %bb.1858:
	v_cmp_gt_i16_e64 s[10:11], s16, 3
	s_and_b64 vcc, exec, s[10:11]
	s_cbranch_vccz .LBB79_1860
; %bb.1859:
	v_trunc_f32_e32 v1, v6
	s_mov_b32 s0, 0x2f800000
	v_mul_f32_e64 v3, |v1|, s0
	v_floor_f32_e32 v3, v3
	s_mov_b32 s0, 0xcf800000
	v_cvt_u32_f32_e32 v7, v3
	v_fma_f32 v3, v3, s0, |v1|
	v_cvt_u32_f32_e32 v3, v3
	v_ashrrev_i32_e32 v1, 31, v1
	v_xor_b32_e32 v7, v7, v1
	s_mov_b64 s[0:1], 0
	v_xor_b32_e32 v3, v3, v1
	v_sub_co_u32_e32 v8, vcc, v3, v1
	v_subb_co_u32_e32 v9, vcc, v7, v1, vcc
	global_store_dwordx2 v[4:5], v[8:9], off
.LBB79_1860:
	s_andn2_b64 vcc, exec, s[0:1]
	s_cbranch_vccnz .LBB79_1862
; %bb.1861:
	v_cvt_i32_f32_e32 v1, v6
	global_store_dword v[4:5], v1, off
.LBB79_1862:
	s_mov_b64 s[0:1], 0
.LBB79_1863:
	s_andn2_b64 vcc, exec, s[0:1]
	s_cbranch_vccnz .LBB79_1865
; %bb.1864:
	v_cvt_i32_f32_e32 v1, v6
	global_store_short v[4:5], v1, off
.LBB79_1865:
	s_mov_b64 s[0:1], 0
.LBB79_1866:
	s_andn2_b64 vcc, exec, s[0:1]
	s_cbranch_vccnz .LBB79_1871
; %bb.1867:
	v_cmp_gt_i16_e64 s[10:11], s16, 0
	s_mov_b64 s[0:1], -1
	s_and_b64 vcc, exec, s[10:11]
	s_cbranch_vccz .LBB79_1869
; %bb.1868:
	v_cvt_i32_f32_e32 v1, v6
	s_mov_b64 s[0:1], 0
	global_store_byte v[4:5], v1, off
.LBB79_1869:
	s_andn2_b64 vcc, exec, s[0:1]
	s_cbranch_vccnz .LBB79_1871
; %bb.1870:
	v_trunc_f32_e32 v1, v6
	s_mov_b32 s0, 0x2f800000
	v_mul_f32_e64 v3, |v1|, s0
	v_floor_f32_e32 v3, v3
	s_mov_b32 s0, 0xcf800000
	v_fma_f32 v3, v3, s0, |v1|
	v_cvt_u32_f32_e32 v3, v3
	v_ashrrev_i32_e32 v1, 31, v1
	v_xor_b32_e32 v3, v3, v1
	v_sub_u32_e32 v1, v3, v1
	global_store_byte v[4:5], v1, off
.LBB79_1871:
	s_mov_b64 s[12:13], -1
.LBB79_1872:
	s_andn2_b64 vcc, exec, s[12:13]
	s_cbranch_vccnz .LBB79_2012
; %bb.1873:
	s_brev_b32 s0, -2
	v_mov_b32_e32 v1, s4
	v_bfi_b32 v4, s0, v1, v12
	v_mov_b32_e32 v1, s9
	v_add_co_u32_e32 v2, vcc, s8, v2
	v_addc_co_u32_e32 v3, vcc, 0, v1, vcc
	s_and_b64 vcc, exec, s[6:7]
	s_cbranch_vccnz .LBB79_1880
; %bb.1874:
	v_cmp_gt_i16_e64 s[0:1], s16, 25
	s_mov_b64 s[14:15], -1
	s_mov_b64 s[10:11], 0
	s_and_b64 vcc, exec, s[0:1]
	s_mov_b64 s[12:13], 0
	s_mov_b64 s[0:1], 0
	s_cbranch_vccz .LBB79_1914
; %bb.1875:
	v_cmp_gt_i16_e64 s[0:1], s16, 28
	s_and_b64 vcc, exec, s[0:1]
	s_cbranch_vccz .LBB79_1881
; %bb.1876:
	v_cmp_gt_i16_e64 s[0:1], s16, 43
	s_and_b64 vcc, exec, s[0:1]
	;; [unrolled: 4-line block ×3, first 2 shown]
	s_cbranch_vccz .LBB79_1884
; %bb.1878:
	v_cmp_eq_u16_e64 s[12:13], s16, 46
	s_mov_b64 s[0:1], -1
	s_mov_b64 s[14:15], 0
	s_and_b64 vcc, exec, s[12:13]
	s_mov_b64 s[12:13], 0
	s_cbranch_vccz .LBB79_1885
; %bb.1879:
	v_bfe_u32 v1, v4, 16, 1
	s_movk_i32 s0, 0x7fff
	v_add3_u32 v1, v4, v1, s0
	v_lshrrev_b32_e32 v1, 16, v1
	v_mov_b32_e32 v5, 0x7fc0
	v_cmp_o_f32_e32 vcc, v4, v4
	v_cndmask_b32_e32 v1, v5, v1, vcc
	global_store_dword v[2:3], v1, off
	s_mov_b64 s[0:1], 0
	s_mov_b64 s[12:13], -1
	s_branch .LBB79_1885
.LBB79_1880:
	s_mov_b64 s[0:1], -1
	s_mov_b64 s[12:13], 0
	s_branch .LBB79_1964
.LBB79_1881:
	s_mov_b64 s[0:1], 0
	s_branch .LBB79_1895
.LBB79_1882:
	s_mov_b64 s[0:1], 0
	s_branch .LBB79_1891
.LBB79_1883:
	s_trap 2
	s_or_b64 s[2:3], s[2:3], exec
	s_cbranch_execz .LBB79_1831
	s_branch .LBB79_1832
.LBB79_1884:
	s_mov_b64 s[0:1], 0
.LBB79_1885:
	s_and_b64 vcc, exec, s[14:15]
	s_cbranch_vccz .LBB79_1890
; %bb.1886:
	v_cmp_eq_u16_e64 s[14:15], s16, 44
	s_mov_b64 s[0:1], -1
	s_and_b64 vcc, exec, s[14:15]
	s_cbranch_vccz .LBB79_1890
; %bb.1887:
	v_bfe_u32 v1, v4, 23, 8
	s_movk_i32 s0, 0xff
	v_cmp_ne_u32_e32 vcc, s0, v1
	v_mov_b32_e32 v5, 0xff
	s_and_saveexec_b64 s[12:13], vcc
; %bb.1888:
	s_mov_b32 s0, 0x3fffff
	v_and_b32_e32 v6, 0x400000, v4
	v_and_or_b32 v1, v4, s0, v1
	v_cmp_ne_u32_e32 vcc, 0, v6
	v_cmp_ne_u32_e64 s[0:1], 0, v1
	s_and_b64 s[0:1], vcc, s[0:1]
	v_lshrrev_b32_e32 v5, 23, v4
	v_cndmask_b32_e64 v1, 0, 1, s[0:1]
	v_add_u32_e32 v5, v5, v1
; %bb.1889:
	s_or_b64 exec, exec, s[12:13]
	s_mov_b64 s[0:1], 0
	s_mov_b64 s[12:13], -1
	global_store_byte v[2:3], v5, off
.LBB79_1890:
	s_mov_b64 s[14:15], 0
.LBB79_1891:
	s_and_b64 vcc, exec, s[14:15]
	s_cbranch_vccz .LBB79_1894
; %bb.1892:
	v_cmp_eq_u16_e64 s[14:15], s16, 29
	s_mov_b64 s[0:1], -1
	s_and_b64 vcc, exec, s[14:15]
	s_cbranch_vccz .LBB79_1894
; %bb.1893:
	v_trunc_f32_e32 v1, v4
	v_mul_f32_e32 v5, 0x2f800000, v1
	v_floor_f32_e32 v5, v5
	v_fmac_f32_e32 v1, 0xcf800000, v5
	v_cvt_u32_f32_e32 v7, v5
	v_cvt_u32_f32_e32 v6, v1
	s_mov_b64 s[0:1], 0
	s_mov_b64 s[12:13], -1
	s_mov_b64 s[14:15], 0
	global_store_dwordx2 v[2:3], v[6:7], off
	s_branch .LBB79_1895
.LBB79_1894:
	s_mov_b64 s[14:15], 0
.LBB79_1895:
	s_and_b64 vcc, exec, s[14:15]
	s_cbranch_vccz .LBB79_1913
; %bb.1896:
	v_cmp_lt_i16_e64 s[14:15], s16, 27
	s_mov_b64 s[12:13], -1
	s_and_b64 vcc, exec, s[14:15]
	s_cbranch_vccnz .LBB79_1902
; %bb.1897:
	v_cvt_u32_f32_e32 v1, v4
	v_cmp_gt_i16_e64 s[14:15], s16, 27
	s_and_b64 vcc, exec, s[14:15]
	s_cbranch_vccz .LBB79_1899
; %bb.1898:
	s_mov_b64 s[12:13], 0
	global_store_dword v[2:3], v1, off
.LBB79_1899:
	s_andn2_b64 vcc, exec, s[12:13]
	s_cbranch_vccnz .LBB79_1901
; %bb.1900:
	global_store_short v[2:3], v1, off
.LBB79_1901:
	s_mov_b64 s[12:13], 0
.LBB79_1902:
	s_andn2_b64 vcc, exec, s[12:13]
	s_cbranch_vccnz .LBB79_1912
; %bb.1903:
	s_and_b32 s5, s4, 0x7fffffff
	s_cmp_gt_u32 s5, 0x437fffff
	v_mov_b32_e32 v5, 0x80
	s_cbranch_scc1 .LBB79_1911
; %bb.1904:
	s_cmp_gt_u32 s5, 0x3bffffff
	s_cbranch_scc0 .LBB79_1906
; %bb.1905:
	v_bfe_u32 v1, v4, 20, 1
	s_mov_b32 s5, 0x487ffff
	v_add3_u32 v1, v4, v1, s5
	v_lshrrev_b32_e32 v1, 20, v1
	s_mov_b64 s[14:15], 0
	s_mov_b64 s[12:13], -1
	s_branch .LBB79_1907
.LBB79_1906:
	s_mov_b64 s[14:15], -1
	s_mov_b64 s[12:13], 0
                                        ; implicit-def: $vgpr1
.LBB79_1907:
	s_andn2_b64 vcc, exec, s[14:15]
                                        ; implicit-def: $sgpr5
	s_cbranch_vccnz .LBB79_1909
; %bb.1908:
	v_mov_b32_e32 v1, 0x46000000
	v_add_f32_e64 v1, |s4|, v1
	v_and_b32_e32 v1, 0xff, v1
	s_mov_b32 s5, 0
	v_cmp_ne_u32_e64 s[12:13], 0, v1
.LBB79_1909:
	s_andn2_b64 vcc, exec, s[12:13]
	v_mov_b32_e32 v5, s5
	s_cbranch_vccnz .LBB79_1911
; %bb.1910:
	v_lshrrev_b32_e32 v5, 24, v4
	s_movk_i32 s5, 0x80
	v_and_or_b32 v5, v5, s5, v1
.LBB79_1911:
	global_store_byte v[2:3], v5, off
.LBB79_1912:
	s_mov_b64 s[12:13], -1
.LBB79_1913:
	s_mov_b64 s[14:15], 0
.LBB79_1914:
	s_and_b64 vcc, exec, s[14:15]
	s_cbranch_vccz .LBB79_1960
; %bb.1915:
	v_cmp_gt_i16_e64 s[14:15], s16, 22
	s_mov_b64 s[10:11], -1
	s_and_b64 vcc, exec, s[14:15]
	s_cbranch_vccz .LBB79_1953
; %bb.1916:
	v_cmp_lt_i16_e64 s[12:13], s16, 24
	s_and_b64 vcc, exec, s[12:13]
	s_cbranch_vccnz .LBB79_1940
; %bb.1917:
	v_cmp_gt_i16_e64 s[12:13], s16, 24
	s_and_b64 vcc, exec, s[12:13]
	s_cbranch_vccz .LBB79_1927
; %bb.1918:
	s_and_b32 s5, s4, 0x7fffffff
	s_cmp_gt_u32 s5, 0x477fffff
	v_mov_b32_e32 v5, 0x80
	s_cbranch_scc1 .LBB79_1926
; %bb.1919:
	s_cmp_gt_u32 s5, 0x37ffffff
	s_cbranch_scc0 .LBB79_1921
; %bb.1920:
	v_bfe_u32 v1, v4, 21, 1
	s_mov_b32 s5, 0x88fffff
	v_add3_u32 v1, v4, v1, s5
	v_lshrrev_b32_e32 v1, 21, v1
	s_mov_b64 s[12:13], 0
	s_branch .LBB79_1922
.LBB79_1921:
	s_mov_b64 s[12:13], -1
	s_mov_b64 s[10:11], 0
                                        ; implicit-def: $vgpr1
.LBB79_1922:
	s_andn2_b64 vcc, exec, s[12:13]
                                        ; implicit-def: $sgpr5
	s_cbranch_vccnz .LBB79_1924
; %bb.1923:
	v_mov_b32_e32 v1, 0x42800000
	v_add_f32_e64 v1, |s4|, v1
	v_and_b32_e32 v1, 0xff, v1
	s_mov_b32 s5, 0
	v_cmp_ne_u32_e64 s[10:11], 0, v1
.LBB79_1924:
	s_andn2_b64 vcc, exec, s[10:11]
	v_mov_b32_e32 v5, s5
	s_cbranch_vccnz .LBB79_1926
; %bb.1925:
	v_lshrrev_b32_e32 v5, 24, v4
	s_movk_i32 s5, 0x80
	v_and_or_b32 v5, v5, s5, v1
.LBB79_1926:
	s_mov_b64 s[10:11], 0
	global_store_byte v[2:3], v5, off
.LBB79_1927:
	s_and_b64 vcc, exec, s[10:11]
	s_cbranch_vccz .LBB79_1939
; %bb.1928:
	s_and_b32 s5, s4, 0x7fffffff
	s_cmp_lt_u32 s5, 0x43f00000
	s_cbranch_scc0 .LBB79_1931
; %bb.1929:
	s_cmp_gt_u32 s5, 0x3c7fffff
	s_cbranch_scc0 .LBB79_1932
; %bb.1930:
	v_bfe_u32 v1, v4, 20, 1
	s_mov_b32 s10, 0x407ffff
	v_add3_u32 v1, v4, v1, s10
	v_lshrrev_b32_e32 v5, 20, v1
	v_and_b32_e32 v1, 0xff00000, v1
	s_mov_b32 s10, 0x7f00000
	v_mov_b32_e32 v6, 0x7e
	v_cmp_ne_u32_e32 vcc, s10, v1
	v_cndmask_b32_e32 v1, v6, v5, vcc
	s_mov_b64 s[10:11], 0
	s_branch .LBB79_1933
.LBB79_1931:
	s_mov_b64 s[10:11], -1
                                        ; implicit-def: $vgpr1
	s_branch .LBB79_1936
.LBB79_1932:
	s_mov_b64 s[10:11], -1
                                        ; implicit-def: $vgpr1
.LBB79_1933:
	s_andn2_b64 vcc, exec, s[10:11]
	s_cbranch_vccnz .LBB79_1935
; %bb.1934:
	v_mov_b32_e32 v1, 0x46800000
	v_add_f32_e64 v1, |s4|, v1
.LBB79_1935:
	s_mov_b64 s[10:11], 0
.LBB79_1936:
	s_andn2_b64 vcc, exec, s[10:11]
	s_cbranch_vccnz .LBB79_1938
; %bb.1937:
	s_cmp_gt_u32 s5, 0x7f800000
	s_movk_i32 s5, 0x7f
	s_cselect_b32 s5, s5, 0x7e
	v_mov_b32_e32 v1, s5
.LBB79_1938:
	v_lshrrev_b32_e32 v5, 24, v4
	s_movk_i32 s5, 0x80
	v_and_or_b32 v1, v5, s5, v1
	global_store_byte v[2:3], v1, off
.LBB79_1939:
	s_mov_b64 s[10:11], 0
.LBB79_1940:
	s_andn2_b64 vcc, exec, s[10:11]
	s_cbranch_vccnz .LBB79_1952
; %bb.1941:
	s_and_b32 s5, s4, 0x7fffffff
	s_cmp_lt_u32 s5, 0x47800000
	s_cbranch_scc0 .LBB79_1944
; %bb.1942:
	s_cmp_gt_u32 s5, 0x387fffff
	s_cbranch_scc0 .LBB79_1945
; %bb.1943:
	v_bfe_u32 v1, v4, 21, 1
	s_mov_b32 s10, 0x80fffff
	v_add3_u32 v1, v4, v1, s10
	v_lshrrev_b32_e32 v1, 21, v1
	s_mov_b64 s[10:11], 0
	s_branch .LBB79_1946
.LBB79_1944:
	s_mov_b64 s[10:11], -1
                                        ; implicit-def: $vgpr1
	s_branch .LBB79_1949
.LBB79_1945:
	s_mov_b64 s[10:11], -1
                                        ; implicit-def: $vgpr1
.LBB79_1946:
	s_andn2_b64 vcc, exec, s[10:11]
	s_cbranch_vccnz .LBB79_1948
; %bb.1947:
	v_mov_b32_e32 v1, 0x43000000
	v_add_f32_e64 v1, |s4|, v1
.LBB79_1948:
	s_mov_b64 s[10:11], 0
.LBB79_1949:
	s_andn2_b64 vcc, exec, s[10:11]
	s_cbranch_vccnz .LBB79_1951
; %bb.1950:
	s_cmp_gt_u32 s5, 0x7f800000
	s_movk_i32 s5, 0x7f
	s_cselect_b32 s5, s5, 0x7c
	v_mov_b32_e32 v1, s5
.LBB79_1951:
	v_lshrrev_b32_e32 v5, 24, v4
	s_movk_i32 s5, 0x80
	v_and_or_b32 v1, v5, s5, v1
	global_store_byte v[2:3], v1, off
.LBB79_1952:
	s_mov_b64 s[10:11], 0
	s_mov_b64 s[12:13], -1
.LBB79_1953:
	s_andn2_b64 vcc, exec, s[10:11]
	s_mov_b64 s[10:11], 0
	s_cbranch_vccnz .LBB79_1960
; %bb.1954:
	v_cmp_gt_i16_e64 s[10:11], s16, 14
	s_mov_b64 s[14:15], -1
	s_and_b64 vcc, exec, s[10:11]
	s_cbranch_vccz .LBB79_1958
; %bb.1955:
	v_cmp_eq_u16_e64 s[10:11], s16, 15
	s_mov_b64 s[0:1], -1
	s_and_b64 vcc, exec, s[10:11]
	s_cbranch_vccz .LBB79_1957
; %bb.1956:
	v_bfe_u32 v1, v4, 16, 1
	s_movk_i32 s0, 0x7fff
	v_add3_u32 v1, v4, v1, s0
	v_lshrrev_b32_e32 v1, 16, v1
	v_mov_b32_e32 v5, 0x7fc0
	v_cmp_o_f32_e32 vcc, v4, v4
	v_cndmask_b32_e32 v1, v5, v1, vcc
	global_store_short v[2:3], v1, off
	s_mov_b64 s[0:1], 0
	s_mov_b64 s[12:13], -1
.LBB79_1957:
	s_mov_b64 s[14:15], 0
.LBB79_1958:
	s_mov_b64 s[10:11], 0
	s_and_b64 vcc, exec, s[14:15]
	s_cbranch_vccz .LBB79_1960
; %bb.1959:
	v_cmp_ne_u16_e64 s[0:1], s16, 11
	s_mov_b64 s[10:11], -1
.LBB79_1960:
	s_and_b64 vcc, exec, s[0:1]
	s_cbranch_vccnz .LBB79_2060
; %bb.1961:
	s_andn2_b64 vcc, exec, s[10:11]
	s_cbranch_vccnz .LBB79_1963
.LBB79_1962:
	v_cmp_neq_f32_e32 vcc, 0, v4
	v_cndmask_b32_e64 v1, 0, 1, vcc
	s_mov_b64 s[12:13], -1
	global_store_byte v[2:3], v1, off
.LBB79_1963:
	s_mov_b64 s[0:1], 0
.LBB79_1964:
	s_and_b64 vcc, exec, s[0:1]
	s_cbranch_vccz .LBB79_2003
; %bb.1965:
	v_cmp_lt_i16_e64 s[10:11], s16, 5
	s_mov_b64 s[0:1], -1
	s_and_b64 vcc, exec, s[10:11]
	s_cbranch_vccnz .LBB79_1986
; %bb.1966:
	v_cmp_lt_i16_e64 s[10:11], s16, 8
	s_and_b64 vcc, exec, s[10:11]
	s_cbranch_vccnz .LBB79_1976
; %bb.1967:
	v_cmp_lt_i16_e64 s[10:11], s16, 9
	s_and_b64 vcc, exec, s[10:11]
	s_cbranch_vccnz .LBB79_1973
; %bb.1968:
	v_cmp_gt_i16_e64 s[10:11], s16, 9
	s_and_b64 vcc, exec, s[10:11]
	s_cbranch_vccz .LBB79_1970
; %bb.1969:
	v_mov_b32_e32 v8, 0
	v_cvt_f64_f32_e32 v[6:7], v4
	v_mov_b32_e32 v9, v8
	global_store_dwordx4 v[2:3], v[6:9], off
	s_mov_b64 s[0:1], 0
.LBB79_1970:
	s_andn2_b64 vcc, exec, s[0:1]
	s_cbranch_vccnz .LBB79_1972
; %bb.1971:
	v_mov_b32_e32 v5, 0
	global_store_dwordx2 v[2:3], v[4:5], off
.LBB79_1972:
	s_mov_b64 s[0:1], 0
.LBB79_1973:
	s_andn2_b64 vcc, exec, s[0:1]
	s_cbranch_vccnz .LBB79_1975
; %bb.1974:
	v_cvt_f16_f32_e32 v1, v4
	global_store_dword v[2:3], v1, off
.LBB79_1975:
	s_mov_b64 s[0:1], 0
.LBB79_1976:
	s_andn2_b64 vcc, exec, s[0:1]
	s_cbranch_vccnz .LBB79_1985
; %bb.1977:
	v_cmp_lt_i16_e64 s[10:11], s16, 6
	s_mov_b64 s[0:1], -1
	s_and_b64 vcc, exec, s[10:11]
	s_cbranch_vccnz .LBB79_1983
; %bb.1978:
	v_cmp_gt_i16_e64 s[10:11], s16, 6
	s_and_b64 vcc, exec, s[10:11]
	s_cbranch_vccz .LBB79_1980
; %bb.1979:
	v_cvt_f64_f32_e32 v[6:7], v4
	global_store_dwordx2 v[2:3], v[6:7], off
	s_mov_b64 s[0:1], 0
.LBB79_1980:
	s_andn2_b64 vcc, exec, s[0:1]
	s_cbranch_vccnz .LBB79_1982
; %bb.1981:
	global_store_dword v[2:3], v4, off
.LBB79_1982:
	s_mov_b64 s[0:1], 0
.LBB79_1983:
	s_andn2_b64 vcc, exec, s[0:1]
	s_cbranch_vccnz .LBB79_1985
; %bb.1984:
	v_cvt_f16_f32_e32 v1, v4
	global_store_short v[2:3], v1, off
.LBB79_1985:
	s_mov_b64 s[0:1], 0
.LBB79_1986:
	s_andn2_b64 vcc, exec, s[0:1]
	s_cbranch_vccnz .LBB79_2002
; %bb.1987:
	v_cmp_lt_i16_e64 s[10:11], s16, 2
	s_mov_b64 s[0:1], -1
	s_and_b64 vcc, exec, s[10:11]
	s_cbranch_vccnz .LBB79_1997
; %bb.1988:
	v_cmp_lt_i16_e64 s[10:11], s16, 3
	s_and_b64 vcc, exec, s[10:11]
	s_cbranch_vccnz .LBB79_1994
; %bb.1989:
	v_cmp_gt_i16_e64 s[10:11], s16, 3
	s_and_b64 vcc, exec, s[10:11]
	s_cbranch_vccz .LBB79_1991
; %bb.1990:
	v_trunc_f32_e32 v1, v4
	s_mov_b32 s0, 0x2f800000
	v_mul_f32_e64 v5, |v1|, s0
	v_floor_f32_e32 v5, v5
	s_mov_b32 s0, 0xcf800000
	v_cvt_u32_f32_e32 v6, v5
	v_fma_f32 v5, v5, s0, |v1|
	v_cvt_u32_f32_e32 v5, v5
	v_ashrrev_i32_e32 v1, 31, v1
	v_xor_b32_e32 v7, v6, v1
	s_mov_b64 s[0:1], 0
	v_xor_b32_e32 v5, v5, v1
	v_sub_co_u32_e32 v6, vcc, v5, v1
	v_subb_co_u32_e32 v7, vcc, v7, v1, vcc
	global_store_dwordx2 v[2:3], v[6:7], off
.LBB79_1991:
	s_andn2_b64 vcc, exec, s[0:1]
	s_cbranch_vccnz .LBB79_1993
; %bb.1992:
	v_cvt_i32_f32_e32 v1, v4
	global_store_dword v[2:3], v1, off
.LBB79_1993:
	s_mov_b64 s[0:1], 0
.LBB79_1994:
	s_andn2_b64 vcc, exec, s[0:1]
	s_cbranch_vccnz .LBB79_1996
; %bb.1995:
	v_cvt_i32_f32_e32 v1, v4
	global_store_short v[2:3], v1, off
.LBB79_1996:
	s_mov_b64 s[0:1], 0
.LBB79_1997:
	s_andn2_b64 vcc, exec, s[0:1]
	s_cbranch_vccnz .LBB79_2002
; %bb.1998:
	v_cmp_gt_i16_e64 s[10:11], s16, 0
	s_mov_b64 s[0:1], -1
	s_and_b64 vcc, exec, s[10:11]
	s_cbranch_vccz .LBB79_2000
; %bb.1999:
	v_cvt_i32_f32_e32 v1, v4
	s_mov_b64 s[0:1], 0
	global_store_byte v[2:3], v1, off
.LBB79_2000:
	s_andn2_b64 vcc, exec, s[0:1]
	s_cbranch_vccnz .LBB79_2002
; %bb.2001:
	v_trunc_f32_e32 v1, v4
	s_mov_b32 s0, 0x2f800000
	v_mul_f32_e64 v4, |v1|, s0
	v_floor_f32_e32 v4, v4
	s_mov_b32 s0, 0xcf800000
	v_fma_f32 v4, v4, s0, |v1|
	v_cvt_u32_f32_e32 v4, v4
	v_ashrrev_i32_e32 v1, 31, v1
	v_xor_b32_e32 v4, v4, v1
	v_sub_u32_e32 v1, v4, v1
	global_store_byte v[2:3], v1, off
.LBB79_2002:
	s_mov_b64 s[12:13], -1
.LBB79_2003:
	s_andn2_b64 vcc, exec, s[12:13]
	s_cbranch_vccnz .LBB79_2012
; %bb.2004:
	s_brev_b32 s0, -2
	v_mov_b32_e32 v1, s4
	v_bfi_b32 v2, s0, v1, v10
	v_mov_b32_e32 v1, s9
	v_add_co_u32_e32 v0, vcc, s8, v0
	v_addc_co_u32_e32 v1, vcc, 0, v1, vcc
	s_and_b64 vcc, exec, s[6:7]
	s_cbranch_vccnz .LBB79_2057
; %bb.2005:
	v_cmp_gt_i16_e64 s[0:1], s16, 25
	s_mov_b64 s[8:9], -1
	s_mov_b64 s[6:7], 0
	s_and_b64 vcc, exec, s[0:1]
	s_mov_b64 s[0:1], 0
	s_cbranch_vccz .LBB79_2090
; %bb.2006:
	v_cmp_gt_i16_e64 s[0:1], s16, 28
	s_and_b64 vcc, exec, s[0:1]
	s_cbranch_vccz .LBB79_2058
; %bb.2007:
	v_cmp_gt_i16_e64 s[0:1], s16, 43
	s_and_b64 vcc, exec, s[0:1]
	s_cbranch_vccz .LBB79_2059
; %bb.2008:
	v_cmp_gt_i16_e64 s[0:1], s16, 45
	s_and_b64 vcc, exec, s[0:1]
	s_cbranch_vccz .LBB79_2061
; %bb.2009:
	v_cmp_eq_u16_e64 s[8:9], s16, 46
	s_mov_b64 s[0:1], -1
	s_and_b64 vcc, exec, s[8:9]
	s_cbranch_vccz .LBB79_2011
; %bb.2010:
	v_bfe_u32 v3, v2, 16, 1
	s_movk_i32 s0, 0x7fff
	v_add3_u32 v3, v2, v3, s0
	v_lshrrev_b32_e32 v3, 16, v3
	v_mov_b32_e32 v4, 0x7fc0
	v_cmp_o_f32_e32 vcc, v2, v2
	v_cndmask_b32_e32 v3, v4, v3, vcc
	global_store_dword v[0:1], v3, off
	s_mov_b64 s[0:1], 0
.LBB79_2011:
	s_mov_b64 s[8:9], 0
	s_branch .LBB79_2062
.LBB79_2012:
	s_mov_b64 s[0:1], 0
	s_mov_b64 s[6:7], 0
                                        ; implicit-def: $vgpr0_vgpr1
                                        ; implicit-def: $sgpr16
                                        ; implicit-def: $vgpr2
.LBB79_2013:
	s_andn2_b64 s[4:5], s[28:29], exec
	s_and_b64 s[2:3], s[2:3], exec
	s_and_b64 s[0:1], s[0:1], exec
	;; [unrolled: 1-line block ×3, first 2 shown]
	s_or_b64 s[28:29], s[4:5], s[2:3]
.LBB79_2014:
	s_or_b64 exec, exec, s[30:31]
	s_and_saveexec_b64 s[2:3], s[28:29]
	s_cbranch_execz .LBB79_2017
; %bb.2015:
	; divergent unreachable
	s_or_b64 exec, exec, s[2:3]
	s_and_saveexec_b64 s[2:3], s[6:7]
	s_xor_b64 s[2:3], exec, s[2:3]
	s_cbranch_execnz .LBB79_2018
.LBB79_2016:
	s_or_b64 exec, exec, s[2:3]
	s_and_saveexec_b64 s[2:3], s[0:1]
	s_cbranch_execnz .LBB79_2019
	s_branch .LBB79_2056
.LBB79_2017:
	s_or_b64 exec, exec, s[2:3]
	s_and_saveexec_b64 s[2:3], s[6:7]
	s_xor_b64 s[2:3], exec, s[2:3]
	s_cbranch_execz .LBB79_2016
.LBB79_2018:
	v_cmp_neq_f32_e32 vcc, 0, v2
	s_waitcnt vmcnt(0)
	v_cndmask_b32_e64 v3, 0, 1, vcc
	global_store_byte v[0:1], v3, off
	s_or_b64 exec, exec, s[2:3]
	s_and_saveexec_b64 s[2:3], s[0:1]
	s_cbranch_execz .LBB79_2056
.LBB79_2019:
	v_cmp_lt_i16_e64 s[2:3], s16, 5
	s_mov_b64 s[0:1], -1
	s_and_b64 vcc, exec, s[2:3]
	s_cbranch_vccnz .LBB79_2040
; %bb.2020:
	v_cmp_lt_i16_e64 s[2:3], s16, 8
	s_and_b64 vcc, exec, s[2:3]
	s_cbranch_vccnz .LBB79_2030
; %bb.2021:
	v_cmp_lt_i16_e64 s[2:3], s16, 9
	s_and_b64 vcc, exec, s[2:3]
	s_cbranch_vccnz .LBB79_2027
; %bb.2022:
	v_cmp_gt_i16_e64 s[2:3], s16, 9
	s_and_b64 vcc, exec, s[2:3]
	s_cbranch_vccz .LBB79_2024
; %bb.2023:
	v_mov_b32_e32 v6, 0
	v_cvt_f64_f32_e32 v[4:5], v2
	s_waitcnt vmcnt(0)
	v_mov_b32_e32 v7, v6
	global_store_dwordx4 v[0:1], v[4:7], off
	s_mov_b64 s[0:1], 0
.LBB79_2024:
	s_andn2_b64 vcc, exec, s[0:1]
	s_cbranch_vccnz .LBB79_2026
; %bb.2025:
	s_waitcnt vmcnt(0)
	v_mov_b32_e32 v3, 0
	global_store_dwordx2 v[0:1], v[2:3], off
.LBB79_2026:
	s_mov_b64 s[0:1], 0
.LBB79_2027:
	s_andn2_b64 vcc, exec, s[0:1]
	s_cbranch_vccnz .LBB79_2029
; %bb.2028:
	s_waitcnt vmcnt(0)
	v_cvt_f16_f32_e32 v3, v2
	global_store_dword v[0:1], v3, off
.LBB79_2029:
	s_mov_b64 s[0:1], 0
.LBB79_2030:
	s_andn2_b64 vcc, exec, s[0:1]
	s_cbranch_vccnz .LBB79_2039
; %bb.2031:
	v_cmp_lt_i16_e64 s[2:3], s16, 6
	s_mov_b64 s[0:1], -1
	s_and_b64 vcc, exec, s[2:3]
	s_cbranch_vccnz .LBB79_2037
; %bb.2032:
	v_cmp_gt_i16_e64 s[2:3], s16, 6
	s_and_b64 vcc, exec, s[2:3]
	s_cbranch_vccz .LBB79_2034
; %bb.2033:
	v_cvt_f64_f32_e32 v[4:5], v2
	s_waitcnt vmcnt(0)
	global_store_dwordx2 v[0:1], v[4:5], off
	s_mov_b64 s[0:1], 0
.LBB79_2034:
	s_andn2_b64 vcc, exec, s[0:1]
	s_cbranch_vccnz .LBB79_2036
; %bb.2035:
	s_waitcnt vmcnt(0)
	global_store_dword v[0:1], v2, off
.LBB79_2036:
	s_mov_b64 s[0:1], 0
.LBB79_2037:
	s_andn2_b64 vcc, exec, s[0:1]
	s_cbranch_vccnz .LBB79_2039
; %bb.2038:
	s_waitcnt vmcnt(0)
	v_cvt_f16_f32_e32 v3, v2
	global_store_short v[0:1], v3, off
.LBB79_2039:
	s_mov_b64 s[0:1], 0
.LBB79_2040:
	s_andn2_b64 vcc, exec, s[0:1]
	s_cbranch_vccnz .LBB79_2056
; %bb.2041:
	v_cmp_lt_i16_e64 s[2:3], s16, 2
	s_mov_b64 s[0:1], -1
	s_and_b64 vcc, exec, s[2:3]
	s_cbranch_vccnz .LBB79_2051
; %bb.2042:
	v_cmp_lt_i16_e64 s[2:3], s16, 3
	s_and_b64 vcc, exec, s[2:3]
	s_cbranch_vccnz .LBB79_2048
; %bb.2043:
	v_cmp_gt_i16_e64 s[2:3], s16, 3
	s_and_b64 vcc, exec, s[2:3]
	s_cbranch_vccz .LBB79_2045
; %bb.2044:
	s_waitcnt vmcnt(0)
	v_trunc_f32_e32 v3, v2
	s_mov_b32 s0, 0x2f800000
	v_mul_f32_e64 v4, |v3|, s0
	v_floor_f32_e32 v4, v4
	s_mov_b32 s0, 0xcf800000
	v_cvt_u32_f32_e32 v5, v4
	v_fma_f32 v4, v4, s0, |v3|
	v_cvt_u32_f32_e32 v4, v4
	v_ashrrev_i32_e32 v3, 31, v3
	v_xor_b32_e32 v5, v5, v3
	s_mov_b64 s[0:1], 0
	v_xor_b32_e32 v4, v4, v3
	v_sub_co_u32_e32 v4, vcc, v4, v3
	v_subb_co_u32_e32 v5, vcc, v5, v3, vcc
	global_store_dwordx2 v[0:1], v[4:5], off
.LBB79_2045:
	s_andn2_b64 vcc, exec, s[0:1]
	s_cbranch_vccnz .LBB79_2047
; %bb.2046:
	s_waitcnt vmcnt(0)
	v_cvt_i32_f32_e32 v3, v2
	global_store_dword v[0:1], v3, off
.LBB79_2047:
	s_mov_b64 s[0:1], 0
.LBB79_2048:
	s_andn2_b64 vcc, exec, s[0:1]
	s_cbranch_vccnz .LBB79_2050
; %bb.2049:
	s_waitcnt vmcnt(0)
	v_cvt_i32_f32_e32 v3, v2
	global_store_short v[0:1], v3, off
.LBB79_2050:
	s_mov_b64 s[0:1], 0
.LBB79_2051:
	s_andn2_b64 vcc, exec, s[0:1]
	s_cbranch_vccnz .LBB79_2056
; %bb.2052:
	v_cmp_gt_i16_e64 s[2:3], s16, 0
	s_mov_b64 s[0:1], -1
	s_and_b64 vcc, exec, s[2:3]
	s_cbranch_vccz .LBB79_2054
; %bb.2053:
	s_waitcnt vmcnt(0)
	v_cvt_i32_f32_e32 v3, v2
	s_mov_b64 s[0:1], 0
	global_store_byte v[0:1], v3, off
.LBB79_2054:
	s_andn2_b64 vcc, exec, s[0:1]
	s_cbranch_vccnz .LBB79_2056
; %bb.2055:
	v_trunc_f32_e32 v2, v2
	s_mov_b32 s0, 0x2f800000
	s_waitcnt vmcnt(0)
	v_mul_f32_e64 v3, |v2|, s0
	v_floor_f32_e32 v3, v3
	s_mov_b32 s0, 0xcf800000
	v_fma_f32 v3, v3, s0, |v2|
	v_cvt_u32_f32_e32 v3, v3
	v_ashrrev_i32_e32 v2, 31, v2
	v_xor_b32_e32 v3, v3, v2
	v_sub_u32_e32 v2, v3, v2
	global_store_byte v[0:1], v2, off
	s_endpgm
.LBB79_2056:
	s_endpgm
.LBB79_2057:
	s_mov_b64 s[6:7], 0
	s_mov_b64 s[0:1], -1
	s_branch .LBB79_2013
.LBB79_2058:
	s_mov_b64 s[0:1], 0
	s_branch .LBB79_2072
.LBB79_2059:
	s_mov_b64 s[0:1], 0
	s_branch .LBB79_2068
.LBB79_2060:
	s_trap 2
	s_or_b64 s[2:3], s[2:3], exec
	s_cbranch_execz .LBB79_1962
	s_branch .LBB79_1963
.LBB79_2061:
	s_mov_b64 s[0:1], 0
.LBB79_2062:
	s_and_b64 vcc, exec, s[8:9]
	s_cbranch_vccz .LBB79_2067
; %bb.2063:
	v_cmp_eq_u16_e64 s[8:9], s16, 44
	s_mov_b64 s[0:1], -1
	s_and_b64 vcc, exec, s[8:9]
	s_cbranch_vccz .LBB79_2067
; %bb.2064:
	v_bfe_u32 v3, v2, 23, 8
	s_movk_i32 s0, 0xff
	v_cmp_ne_u32_e32 vcc, s0, v3
	v_mov_b32_e32 v4, 0xff
	s_and_saveexec_b64 s[8:9], vcc
; %bb.2065:
	s_mov_b32 s0, 0x3fffff
	v_and_b32_e32 v5, 0x400000, v2
	v_and_or_b32 v3, v2, s0, v3
	v_cmp_ne_u32_e32 vcc, 0, v5
	v_cmp_ne_u32_e64 s[0:1], 0, v3
	s_and_b64 s[0:1], vcc, s[0:1]
	v_lshrrev_b32_e32 v4, 23, v2
	v_cndmask_b32_e64 v3, 0, 1, s[0:1]
	v_add_u32_e32 v4, v4, v3
; %bb.2066:
	s_or_b64 exec, exec, s[8:9]
	s_mov_b64 s[0:1], 0
	global_store_byte v[0:1], v4, off
.LBB79_2067:
	s_mov_b64 s[8:9], 0
.LBB79_2068:
	s_and_b64 vcc, exec, s[8:9]
	s_cbranch_vccz .LBB79_2071
; %bb.2069:
	v_cmp_eq_u16_e64 s[8:9], s16, 29
	s_mov_b64 s[0:1], -1
	s_and_b64 vcc, exec, s[8:9]
	s_cbranch_vccz .LBB79_2071
; %bb.2070:
	v_trunc_f32_e32 v3, v2
	v_mul_f32_e32 v4, 0x2f800000, v3
	v_floor_f32_e32 v4, v4
	v_fmac_f32_e32 v3, 0xcf800000, v4
	v_cvt_u32_f32_e32 v5, v4
	v_cvt_u32_f32_e32 v4, v3
	s_mov_b64 s[0:1], 0
	global_store_dwordx2 v[0:1], v[4:5], off
.LBB79_2071:
	s_mov_b64 s[8:9], 0
.LBB79_2072:
	s_and_b64 vcc, exec, s[8:9]
	s_cbranch_vccz .LBB79_2089
; %bb.2073:
	v_cmp_lt_i16_e64 s[10:11], s16, 27
	s_mov_b64 s[8:9], -1
	s_and_b64 vcc, exec, s[10:11]
	s_cbranch_vccnz .LBB79_2079
; %bb.2074:
	v_cmp_gt_i16_e64 s[10:11], s16, 27
	s_and_b64 vcc, exec, s[10:11]
	s_cbranch_vccz .LBB79_2076
; %bb.2075:
	v_cvt_u32_f32_e32 v3, v2
	s_mov_b64 s[8:9], 0
	global_store_dword v[0:1], v3, off
.LBB79_2076:
	s_andn2_b64 vcc, exec, s[8:9]
	s_cbranch_vccnz .LBB79_2078
; %bb.2077:
	v_cvt_u32_f32_e32 v3, v2
	global_store_short v[0:1], v3, off
.LBB79_2078:
	s_mov_b64 s[8:9], 0
.LBB79_2079:
	s_andn2_b64 vcc, exec, s[8:9]
	s_cbranch_vccnz .LBB79_2089
; %bb.2080:
	s_and_b32 s5, s4, 0x7fffffff
	s_cmp_gt_u32 s5, 0x437fffff
	v_mov_b32_e32 v4, 0x80
	s_cbranch_scc1 .LBB79_2088
; %bb.2081:
	s_cmp_gt_u32 s5, 0x3bffffff
	s_cbranch_scc0 .LBB79_2083
; %bb.2082:
	v_bfe_u32 v3, v2, 20, 1
	s_mov_b32 s5, 0x487ffff
	v_add3_u32 v3, v2, v3, s5
	v_lshrrev_b32_e32 v3, 20, v3
	s_mov_b64 s[10:11], 0
	s_mov_b64 s[8:9], -1
	s_branch .LBB79_2084
.LBB79_2083:
	s_mov_b64 s[10:11], -1
	s_mov_b64 s[8:9], 0
                                        ; implicit-def: $vgpr3
.LBB79_2084:
	s_andn2_b64 vcc, exec, s[10:11]
                                        ; implicit-def: $sgpr5
	s_cbranch_vccnz .LBB79_2086
; %bb.2085:
	v_mov_b32_e32 v3, 0x46000000
	v_add_f32_e64 v3, |s4|, v3
	v_and_b32_e32 v3, 0xff, v3
	s_mov_b32 s5, 0
	v_cmp_ne_u32_e64 s[8:9], 0, v3
.LBB79_2086:
	s_andn2_b64 vcc, exec, s[8:9]
	v_mov_b32_e32 v4, s5
	s_cbranch_vccnz .LBB79_2088
; %bb.2087:
	v_lshrrev_b32_e32 v4, 24, v2
	s_movk_i32 s5, 0x80
	v_and_or_b32 v4, v4, s5, v3
.LBB79_2088:
	global_store_byte v[0:1], v4, off
.LBB79_2089:
	s_mov_b64 s[8:9], 0
.LBB79_2090:
	s_and_b64 vcc, exec, s[8:9]
	s_cbranch_vccz .LBB79_2136
; %bb.2091:
	v_cmp_gt_i16_e64 s[8:9], s16, 22
	s_mov_b64 s[6:7], -1
	s_and_b64 vcc, exec, s[8:9]
	s_cbranch_vccz .LBB79_2129
; %bb.2092:
	v_cmp_lt_i16_e64 s[8:9], s16, 24
	s_and_b64 vcc, exec, s[8:9]
	s_cbranch_vccnz .LBB79_2116
; %bb.2093:
	v_cmp_gt_i16_e64 s[8:9], s16, 24
	s_and_b64 vcc, exec, s[8:9]
	s_cbranch_vccz .LBB79_2103
; %bb.2094:
	s_and_b32 s5, s4, 0x7fffffff
	s_cmp_gt_u32 s5, 0x477fffff
	v_mov_b32_e32 v4, 0x80
	s_cbranch_scc1 .LBB79_2102
; %bb.2095:
	s_cmp_gt_u32 s5, 0x37ffffff
	s_cbranch_scc0 .LBB79_2097
; %bb.2096:
	v_bfe_u32 v3, v2, 21, 1
	s_mov_b32 s5, 0x88fffff
	v_add3_u32 v3, v2, v3, s5
	v_lshrrev_b32_e32 v3, 21, v3
	s_mov_b64 s[8:9], 0
	s_branch .LBB79_2098
.LBB79_2097:
	s_mov_b64 s[8:9], -1
	s_mov_b64 s[6:7], 0
                                        ; implicit-def: $vgpr3
.LBB79_2098:
	s_andn2_b64 vcc, exec, s[8:9]
                                        ; implicit-def: $sgpr5
	s_cbranch_vccnz .LBB79_2100
; %bb.2099:
	v_mov_b32_e32 v3, 0x42800000
	v_add_f32_e64 v3, |s4|, v3
	v_and_b32_e32 v3, 0xff, v3
	s_mov_b32 s5, 0
	v_cmp_ne_u32_e64 s[6:7], 0, v3
.LBB79_2100:
	s_andn2_b64 vcc, exec, s[6:7]
	v_mov_b32_e32 v4, s5
	s_cbranch_vccnz .LBB79_2102
; %bb.2101:
	v_lshrrev_b32_e32 v4, 24, v2
	s_movk_i32 s5, 0x80
	v_and_or_b32 v4, v4, s5, v3
.LBB79_2102:
	s_mov_b64 s[6:7], 0
	global_store_byte v[0:1], v4, off
.LBB79_2103:
	s_and_b64 vcc, exec, s[6:7]
	s_cbranch_vccz .LBB79_2115
; %bb.2104:
	s_and_b32 s5, s4, 0x7fffffff
	s_cmp_lt_u32 s5, 0x43f00000
	s_cbranch_scc0 .LBB79_2107
; %bb.2105:
	s_cmp_gt_u32 s5, 0x3c7fffff
	s_cbranch_scc0 .LBB79_2108
; %bb.2106:
	v_bfe_u32 v3, v2, 20, 1
	s_mov_b32 s6, 0x407ffff
	v_add3_u32 v3, v2, v3, s6
	v_lshrrev_b32_e32 v4, 20, v3
	v_and_b32_e32 v3, 0xff00000, v3
	s_mov_b32 s6, 0x7f00000
	v_mov_b32_e32 v5, 0x7e
	v_cmp_ne_u32_e32 vcc, s6, v3
	v_cndmask_b32_e32 v3, v5, v4, vcc
	s_mov_b64 s[6:7], 0
	s_branch .LBB79_2109
.LBB79_2107:
	s_mov_b64 s[6:7], -1
                                        ; implicit-def: $vgpr3
	s_branch .LBB79_2112
.LBB79_2108:
	s_mov_b64 s[6:7], -1
                                        ; implicit-def: $vgpr3
.LBB79_2109:
	s_andn2_b64 vcc, exec, s[6:7]
	s_cbranch_vccnz .LBB79_2111
; %bb.2110:
	v_mov_b32_e32 v3, 0x46800000
	v_add_f32_e64 v3, |s4|, v3
.LBB79_2111:
	s_mov_b64 s[6:7], 0
.LBB79_2112:
	s_andn2_b64 vcc, exec, s[6:7]
	s_cbranch_vccnz .LBB79_2114
; %bb.2113:
	s_cmp_gt_u32 s5, 0x7f800000
	s_movk_i32 s5, 0x7f
	s_cselect_b32 s5, s5, 0x7e
	v_mov_b32_e32 v3, s5
.LBB79_2114:
	v_lshrrev_b32_e32 v4, 24, v2
	s_movk_i32 s5, 0x80
	v_and_or_b32 v3, v4, s5, v3
	global_store_byte v[0:1], v3, off
.LBB79_2115:
	s_mov_b64 s[6:7], 0
.LBB79_2116:
	s_andn2_b64 vcc, exec, s[6:7]
	s_cbranch_vccnz .LBB79_2128
; %bb.2117:
	s_and_b32 s8, s4, 0x7fffffff
	s_cmp_lt_u32 s8, 0x47800000
	s_cbranch_scc0 .LBB79_2120
; %bb.2118:
	s_cmp_gt_u32 s8, 0x387fffff
	s_cbranch_scc0 .LBB79_2121
; %bb.2119:
	v_bfe_u32 v3, v2, 21, 1
	s_mov_b32 s5, 0x80fffff
	v_add3_u32 v3, v2, v3, s5
	v_lshrrev_b32_e32 v3, 21, v3
	s_mov_b64 s[6:7], 0
	s_branch .LBB79_2122
.LBB79_2120:
	s_mov_b64 s[4:5], -1
                                        ; implicit-def: $vgpr3
	s_branch .LBB79_2125
.LBB79_2121:
	s_mov_b64 s[6:7], -1
                                        ; implicit-def: $vgpr3
.LBB79_2122:
	s_andn2_b64 vcc, exec, s[6:7]
	s_cbranch_vccnz .LBB79_2124
; %bb.2123:
	v_mov_b32_e32 v3, 0x43000000
	v_add_f32_e64 v3, |s4|, v3
.LBB79_2124:
	s_mov_b64 s[4:5], 0
.LBB79_2125:
	s_andn2_b64 vcc, exec, s[4:5]
	s_cbranch_vccnz .LBB79_2127
; %bb.2126:
	s_cmp_gt_u32 s8, 0x7f800000
	s_movk_i32 s4, 0x7f
	s_cselect_b32 s4, s4, 0x7c
	v_mov_b32_e32 v3, s4
.LBB79_2127:
	v_lshrrev_b32_e32 v4, 24, v2
	s_movk_i32 s4, 0x80
	v_and_or_b32 v3, v4, s4, v3
	global_store_byte v[0:1], v3, off
.LBB79_2128:
	s_mov_b64 s[6:7], 0
.LBB79_2129:
	s_andn2_b64 vcc, exec, s[6:7]
	s_mov_b64 s[6:7], 0
	s_cbranch_vccnz .LBB79_2136
; %bb.2130:
	v_cmp_gt_i16_e64 s[6:7], s16, 14
	s_mov_b64 s[4:5], -1
	s_and_b64 vcc, exec, s[6:7]
	s_cbranch_vccz .LBB79_2134
; %bb.2131:
	v_cmp_eq_u16_e64 s[4:5], s16, 15
	s_mov_b64 s[0:1], -1
	s_and_b64 vcc, exec, s[4:5]
	s_cbranch_vccz .LBB79_2133
; %bb.2132:
	v_bfe_u32 v3, v2, 16, 1
	s_movk_i32 s0, 0x7fff
	v_add3_u32 v3, v2, v3, s0
	v_lshrrev_b32_e32 v3, 16, v3
	v_mov_b32_e32 v4, 0x7fc0
	v_cmp_o_f32_e32 vcc, v2, v2
	v_cndmask_b32_e32 v3, v4, v3, vcc
	global_store_short v[0:1], v3, off
	s_mov_b64 s[0:1], 0
.LBB79_2133:
	s_mov_b64 s[4:5], 0
.LBB79_2134:
	s_mov_b64 s[6:7], 0
	s_and_b64 vcc, exec, s[4:5]
	s_cbranch_vccz .LBB79_2136
; %bb.2135:
	v_cmp_ne_u16_e64 s[0:1], s16, 11
	s_mov_b64 s[6:7], -1
.LBB79_2136:
	s_and_b64 vcc, exec, s[0:1]
	s_cbranch_vccnz .LBB79_2138
.LBB79_2137:
	s_mov_b64 s[0:1], 0
	s_branch .LBB79_2013
.LBB79_2138:
	s_mov_b64 s[6:7], 0
	s_or_b64 s[2:3], s[2:3], exec
	s_trap 2
	s_branch .LBB79_2137
	.section	.rodata,"a",@progbits
	.p2align	6, 0x0
	.amdhsa_kernel _ZN2at6native32elementwise_kernel_manual_unrollILi128ELi4EZNS0_15gpu_kernel_implINS0_13AUnaryFunctorIfffZZZNS0_20copysign_kernel_cudaERNS_18TensorIteratorBaseEENKUlvE_clEvENKUlvE0_clEvEUlffE_EEEEvS5_RKT_EUlibE0_EEviT1_
		.amdhsa_group_segment_fixed_size 0
		.amdhsa_private_segment_fixed_size 0
		.amdhsa_kernarg_size 368
		.amdhsa_user_sgpr_count 6
		.amdhsa_user_sgpr_private_segment_buffer 1
		.amdhsa_user_sgpr_dispatch_ptr 0
		.amdhsa_user_sgpr_queue_ptr 0
		.amdhsa_user_sgpr_kernarg_segment_ptr 1
		.amdhsa_user_sgpr_dispatch_id 0
		.amdhsa_user_sgpr_flat_scratch_init 0
		.amdhsa_user_sgpr_kernarg_preload_length 0
		.amdhsa_user_sgpr_kernarg_preload_offset 0
		.amdhsa_user_sgpr_private_segment_size 0
		.amdhsa_uses_dynamic_stack 0
		.amdhsa_system_sgpr_private_segment_wavefront_offset 0
		.amdhsa_system_sgpr_workgroup_id_x 1
		.amdhsa_system_sgpr_workgroup_id_y 0
		.amdhsa_system_sgpr_workgroup_id_z 0
		.amdhsa_system_sgpr_workgroup_info 0
		.amdhsa_system_vgpr_workitem_id 0
		.amdhsa_next_free_vgpr 19
		.amdhsa_next_free_sgpr 96
		.amdhsa_accum_offset 20
		.amdhsa_reserve_vcc 1
		.amdhsa_reserve_flat_scratch 0
		.amdhsa_float_round_mode_32 0
		.amdhsa_float_round_mode_16_64 0
		.amdhsa_float_denorm_mode_32 3
		.amdhsa_float_denorm_mode_16_64 3
		.amdhsa_dx10_clamp 1
		.amdhsa_ieee_mode 1
		.amdhsa_fp16_overflow 0
		.amdhsa_tg_split 0
		.amdhsa_exception_fp_ieee_invalid_op 0
		.amdhsa_exception_fp_denorm_src 0
		.amdhsa_exception_fp_ieee_div_zero 0
		.amdhsa_exception_fp_ieee_overflow 0
		.amdhsa_exception_fp_ieee_underflow 0
		.amdhsa_exception_fp_ieee_inexact 0
		.amdhsa_exception_int_div_zero 0
	.end_amdhsa_kernel
	.section	.text._ZN2at6native32elementwise_kernel_manual_unrollILi128ELi4EZNS0_15gpu_kernel_implINS0_13AUnaryFunctorIfffZZZNS0_20copysign_kernel_cudaERNS_18TensorIteratorBaseEENKUlvE_clEvENKUlvE0_clEvEUlffE_EEEEvS5_RKT_EUlibE0_EEviT1_,"axG",@progbits,_ZN2at6native32elementwise_kernel_manual_unrollILi128ELi4EZNS0_15gpu_kernel_implINS0_13AUnaryFunctorIfffZZZNS0_20copysign_kernel_cudaERNS_18TensorIteratorBaseEENKUlvE_clEvENKUlvE0_clEvEUlffE_EEEEvS5_RKT_EUlibE0_EEviT1_,comdat
.Lfunc_end79:
	.size	_ZN2at6native32elementwise_kernel_manual_unrollILi128ELi4EZNS0_15gpu_kernel_implINS0_13AUnaryFunctorIfffZZZNS0_20copysign_kernel_cudaERNS_18TensorIteratorBaseEENKUlvE_clEvENKUlvE0_clEvEUlffE_EEEEvS5_RKT_EUlibE0_EEviT1_, .Lfunc_end79-_ZN2at6native32elementwise_kernel_manual_unrollILi128ELi4EZNS0_15gpu_kernel_implINS0_13AUnaryFunctorIfffZZZNS0_20copysign_kernel_cudaERNS_18TensorIteratorBaseEENKUlvE_clEvENKUlvE0_clEvEUlffE_EEEEvS5_RKT_EUlibE0_EEviT1_
                                        ; -- End function
	.section	.AMDGPU.csdata,"",@progbits
; Kernel info:
; codeLenInByte = 39080
; NumSgprs: 100
; NumVgprs: 19
; NumAgprs: 0
; TotalNumVgprs: 19
; ScratchSize: 0
; MemoryBound: 1
; FloatMode: 240
; IeeeMode: 1
; LDSByteSize: 0 bytes/workgroup (compile time only)
; SGPRBlocks: 12
; VGPRBlocks: 2
; NumSGPRsForWavesPerEU: 100
; NumVGPRsForWavesPerEU: 19
; AccumOffset: 20
; Occupancy: 8
; WaveLimiterHint : 1
; COMPUTE_PGM_RSRC2:SCRATCH_EN: 0
; COMPUTE_PGM_RSRC2:USER_SGPR: 6
; COMPUTE_PGM_RSRC2:TRAP_HANDLER: 0
; COMPUTE_PGM_RSRC2:TGID_X_EN: 1
; COMPUTE_PGM_RSRC2:TGID_Y_EN: 0
; COMPUTE_PGM_RSRC2:TGID_Z_EN: 0
; COMPUTE_PGM_RSRC2:TIDIG_COMP_CNT: 0
; COMPUTE_PGM_RSRC3_GFX90A:ACCUM_OFFSET: 4
; COMPUTE_PGM_RSRC3_GFX90A:TG_SPLIT: 0
	.section	.text._ZN2at6native29vectorized_elementwise_kernelILi16ENS0_13BUnaryFunctorIfffZZZNS0_20copysign_kernel_cudaERNS_18TensorIteratorBaseEENKUlvE_clEvENKUlvE0_clEvEUlffE_EESt5arrayIPcLm2EEEEviT0_T1_,"axG",@progbits,_ZN2at6native29vectorized_elementwise_kernelILi16ENS0_13BUnaryFunctorIfffZZZNS0_20copysign_kernel_cudaERNS_18TensorIteratorBaseEENKUlvE_clEvENKUlvE0_clEvEUlffE_EESt5arrayIPcLm2EEEEviT0_T1_,comdat
	.globl	_ZN2at6native29vectorized_elementwise_kernelILi16ENS0_13BUnaryFunctorIfffZZZNS0_20copysign_kernel_cudaERNS_18TensorIteratorBaseEENKUlvE_clEvENKUlvE0_clEvEUlffE_EESt5arrayIPcLm2EEEEviT0_T1_ ; -- Begin function _ZN2at6native29vectorized_elementwise_kernelILi16ENS0_13BUnaryFunctorIfffZZZNS0_20copysign_kernel_cudaERNS_18TensorIteratorBaseEENKUlvE_clEvENKUlvE0_clEvEUlffE_EESt5arrayIPcLm2EEEEviT0_T1_
	.p2align	8
	.type	_ZN2at6native29vectorized_elementwise_kernelILi16ENS0_13BUnaryFunctorIfffZZZNS0_20copysign_kernel_cudaERNS_18TensorIteratorBaseEENKUlvE_clEvENKUlvE0_clEvEUlffE_EESt5arrayIPcLm2EEEEviT0_T1_,@function
_ZN2at6native29vectorized_elementwise_kernelILi16ENS0_13BUnaryFunctorIfffZZZNS0_20copysign_kernel_cudaERNS_18TensorIteratorBaseEENKUlvE_clEvENKUlvE0_clEvEUlffE_EESt5arrayIPcLm2EEEEviT0_T1_: ; @_ZN2at6native29vectorized_elementwise_kernelILi16ENS0_13BUnaryFunctorIfffZZZNS0_20copysign_kernel_cudaERNS_18TensorIteratorBaseEENKUlvE_clEvENKUlvE0_clEvEUlffE_EESt5arrayIPcLm2EEEEviT0_T1_
; %bb.0:
	s_load_dword s0, s[4:5], 0x0
	s_load_dword s7, s[4:5], 0x8
	s_load_dwordx4 s[8:11], s[4:5], 0x10
	s_lshl_b32 s2, s6, 10
	s_waitcnt lgkmcnt(0)
	s_sub_i32 s6, s0, s2
	s_cmpk_gt_i32 s6, 0x3ff
	s_mov_b64 s[0:1], -1
	s_cbranch_scc0 .LBB80_2
; %bb.1:
	s_ashr_i32 s3, s2, 31
	s_lshl_b64 s[0:1], s[2:3], 2
	s_add_u32 s4, s10, s0
	s_addc_u32 s5, s11, s1
	v_lshlrev_b32_e32 v1, 4, v0
	global_load_dwordx4 v[2:5], v1, s[4:5]
	s_brev_b32 s3, -2
	v_mov_b32_e32 v6, s7
	s_add_u32 s0, s8, s0
	s_addc_u32 s1, s9, s1
	s_waitcnt vmcnt(0)
	v_bfi_b32 v3, s3, v3, v6
	v_bfi_b32 v2, s3, v2, v6
	;; [unrolled: 1-line block ×4, first 2 shown]
	global_store_dwordx4 v1, v[2:5], s[0:1]
	s_mov_b64 s[0:1], 0
.LBB80_2:
	s_andn2_b64 vcc, exec, s[0:1]
	s_cbranch_vccnz .LBB80_16
; %bb.3:
	v_cmp_gt_i32_e32 vcc, s6, v0
	v_mov_b32_e32 v1, 0
	v_or_b32_e32 v2, s2, v0
	v_mov_b32_e32 v3, 0
	v_mov_b32_e32 v4, v0
	s_and_saveexec_b64 s[4:5], vcc
	s_cbranch_execz .LBB80_5
; %bb.4:
	v_mov_b32_e32 v3, 0
	v_lshlrev_b64 v[4:5], 2, v[2:3]
	v_mov_b32_e32 v3, s11
	v_add_co_u32_e64 v4, s[0:1], s10, v4
	v_addc_co_u32_e64 v5, s[0:1], v3, v5, s[0:1]
	global_load_dword v3, v[4:5], off
	v_or_b32_e32 v4, 0x100, v0
.LBB80_5:
	s_or_b64 exec, exec, s[4:5]
	v_cmp_gt_i32_e64 s[0:1], s6, v4
	s_and_saveexec_b64 s[4:5], s[0:1]
	s_cbranch_execz .LBB80_7
; %bb.6:
	v_add_u32_e32 v6, s2, v4
	v_mov_b32_e32 v7, 0
	v_lshlrev_b64 v[6:7], 2, v[6:7]
	v_mov_b32_e32 v1, s11
	v_add_co_u32_e64 v6, s[0:1], s10, v6
	v_addc_co_u32_e64 v7, s[0:1], v1, v7, s[0:1]
	global_load_dword v1, v[6:7], off
	v_add_u32_e32 v4, 0x100, v4
.LBB80_7:
	s_or_b64 exec, exec, s[4:5]
	v_cmp_gt_i32_e64 s[0:1], s6, v4
	v_mov_b32_e32 v6, 0
	v_mov_b32_e32 v7, 0
	s_and_saveexec_b64 s[4:5], s[0:1]
	s_cbranch_execz .LBB80_9
; %bb.8:
	v_add_u32_e32 v8, s2, v4
	v_mov_b32_e32 v9, 0
	v_lshlrev_b64 v[8:9], 2, v[8:9]
	v_mov_b32_e32 v5, s11
	v_add_co_u32_e64 v8, s[0:1], s10, v8
	v_addc_co_u32_e64 v9, s[0:1], v5, v9, s[0:1]
	global_load_dword v7, v[8:9], off
	v_add_u32_e32 v4, 0x100, v4
.LBB80_9:
	s_or_b64 exec, exec, s[4:5]
	v_cmp_gt_i32_e64 s[0:1], s6, v4
	s_and_saveexec_b64 s[4:5], s[0:1]
	s_cbranch_execz .LBB80_11
; %bb.10:
	v_add_u32_e32 v4, s2, v4
	v_mov_b32_e32 v5, 0
	v_lshlrev_b64 v[4:5], 2, v[4:5]
	v_mov_b32_e32 v6, s11
	v_add_co_u32_e64 v4, s[0:1], s10, v4
	v_addc_co_u32_e64 v5, s[0:1], v6, v5, s[0:1]
	global_load_dword v6, v[4:5], off
.LBB80_11:
	s_or_b64 exec, exec, s[4:5]
	s_brev_b32 s0, -2
	v_mov_b32_e32 v9, s7
	s_waitcnt vmcnt(0)
	v_bfi_b32 v8, s0, v3, v9
	v_bfi_b32 v5, s0, v1, v9
	;; [unrolled: 1-line block ×4, first 2 shown]
	s_and_saveexec_b64 s[0:1], vcc
	s_cbranch_execnz .LBB80_17
; %bb.12:
	s_or_b64 exec, exec, s[0:1]
	v_cmp_gt_i32_e32 vcc, s6, v0
	s_and_saveexec_b64 s[0:1], vcc
	s_cbranch_execnz .LBB80_18
.LBB80_13:
	s_or_b64 exec, exec, s[0:1]
	v_cmp_gt_i32_e32 vcc, s6, v0
	s_and_saveexec_b64 s[0:1], vcc
	s_cbranch_execnz .LBB80_19
.LBB80_14:
	s_or_b64 exec, exec, s[0:1]
	v_cmp_gt_i32_e32 vcc, s6, v0
	s_and_saveexec_b64 s[0:1], vcc
	s_cbranch_execz .LBB80_16
.LBB80_15:
	v_add_u32_e32 v2, s2, v0
	v_mov_b32_e32 v3, 0
	v_lshlrev_b64 v[2:3], 2, v[2:3]
	v_mov_b32_e32 v0, s9
	v_add_co_u32_e32 v2, vcc, s8, v2
	v_addc_co_u32_e32 v3, vcc, v0, v3, vcc
	global_store_dword v[2:3], v1, off
.LBB80_16:
	s_endpgm
.LBB80_17:
	v_mov_b32_e32 v3, 0
	v_lshlrev_b64 v[2:3], 2, v[2:3]
	v_mov_b32_e32 v6, s9
	v_add_co_u32_e32 v2, vcc, s8, v2
	v_or_b32_e32 v0, 0x100, v0
	v_addc_co_u32_e32 v3, vcc, v6, v3, vcc
	global_store_dword v[2:3], v8, off
	s_or_b64 exec, exec, s[0:1]
	v_cmp_gt_i32_e32 vcc, s6, v0
	s_and_saveexec_b64 s[0:1], vcc
	s_cbranch_execz .LBB80_13
.LBB80_18:
	v_add_u32_e32 v2, s2, v0
	v_mov_b32_e32 v3, 0
	v_lshlrev_b64 v[2:3], 2, v[2:3]
	v_mov_b32_e32 v6, s9
	v_add_co_u32_e32 v2, vcc, s8, v2
	v_addc_co_u32_e32 v3, vcc, v6, v3, vcc
	v_add_u32_e32 v0, 0x100, v0
	global_store_dword v[2:3], v5, off
	s_or_b64 exec, exec, s[0:1]
	v_cmp_gt_i32_e32 vcc, s6, v0
	s_and_saveexec_b64 s[0:1], vcc
	s_cbranch_execz .LBB80_14
.LBB80_19:
	v_add_u32_e32 v2, s2, v0
	v_mov_b32_e32 v3, 0
	v_lshlrev_b64 v[2:3], 2, v[2:3]
	v_mov_b32_e32 v5, s9
	v_add_co_u32_e32 v2, vcc, s8, v2
	v_addc_co_u32_e32 v3, vcc, v5, v3, vcc
	v_add_u32_e32 v0, 0x100, v0
	global_store_dword v[2:3], v4, off
	s_or_b64 exec, exec, s[0:1]
	v_cmp_gt_i32_e32 vcc, s6, v0
	s_and_saveexec_b64 s[0:1], vcc
	s_cbranch_execnz .LBB80_15
	s_branch .LBB80_16
	.section	.rodata,"a",@progbits
	.p2align	6, 0x0
	.amdhsa_kernel _ZN2at6native29vectorized_elementwise_kernelILi16ENS0_13BUnaryFunctorIfffZZZNS0_20copysign_kernel_cudaERNS_18TensorIteratorBaseEENKUlvE_clEvENKUlvE0_clEvEUlffE_EESt5arrayIPcLm2EEEEviT0_T1_
		.amdhsa_group_segment_fixed_size 0
		.amdhsa_private_segment_fixed_size 0
		.amdhsa_kernarg_size 32
		.amdhsa_user_sgpr_count 6
		.amdhsa_user_sgpr_private_segment_buffer 1
		.amdhsa_user_sgpr_dispatch_ptr 0
		.amdhsa_user_sgpr_queue_ptr 0
		.amdhsa_user_sgpr_kernarg_segment_ptr 1
		.amdhsa_user_sgpr_dispatch_id 0
		.amdhsa_user_sgpr_flat_scratch_init 0
		.amdhsa_user_sgpr_kernarg_preload_length 0
		.amdhsa_user_sgpr_kernarg_preload_offset 0
		.amdhsa_user_sgpr_private_segment_size 0
		.amdhsa_uses_dynamic_stack 0
		.amdhsa_system_sgpr_private_segment_wavefront_offset 0
		.amdhsa_system_sgpr_workgroup_id_x 1
		.amdhsa_system_sgpr_workgroup_id_y 0
		.amdhsa_system_sgpr_workgroup_id_z 0
		.amdhsa_system_sgpr_workgroup_info 0
		.amdhsa_system_vgpr_workitem_id 0
		.amdhsa_next_free_vgpr 10
		.amdhsa_next_free_sgpr 12
		.amdhsa_accum_offset 12
		.amdhsa_reserve_vcc 1
		.amdhsa_reserve_flat_scratch 0
		.amdhsa_float_round_mode_32 0
		.amdhsa_float_round_mode_16_64 0
		.amdhsa_float_denorm_mode_32 3
		.amdhsa_float_denorm_mode_16_64 3
		.amdhsa_dx10_clamp 1
		.amdhsa_ieee_mode 1
		.amdhsa_fp16_overflow 0
		.amdhsa_tg_split 0
		.amdhsa_exception_fp_ieee_invalid_op 0
		.amdhsa_exception_fp_denorm_src 0
		.amdhsa_exception_fp_ieee_div_zero 0
		.amdhsa_exception_fp_ieee_overflow 0
		.amdhsa_exception_fp_ieee_underflow 0
		.amdhsa_exception_fp_ieee_inexact 0
		.amdhsa_exception_int_div_zero 0
	.end_amdhsa_kernel
	.section	.text._ZN2at6native29vectorized_elementwise_kernelILi16ENS0_13BUnaryFunctorIfffZZZNS0_20copysign_kernel_cudaERNS_18TensorIteratorBaseEENKUlvE_clEvENKUlvE0_clEvEUlffE_EESt5arrayIPcLm2EEEEviT0_T1_,"axG",@progbits,_ZN2at6native29vectorized_elementwise_kernelILi16ENS0_13BUnaryFunctorIfffZZZNS0_20copysign_kernel_cudaERNS_18TensorIteratorBaseEENKUlvE_clEvENKUlvE0_clEvEUlffE_EESt5arrayIPcLm2EEEEviT0_T1_,comdat
.Lfunc_end80:
	.size	_ZN2at6native29vectorized_elementwise_kernelILi16ENS0_13BUnaryFunctorIfffZZZNS0_20copysign_kernel_cudaERNS_18TensorIteratorBaseEENKUlvE_clEvENKUlvE0_clEvEUlffE_EESt5arrayIPcLm2EEEEviT0_T1_, .Lfunc_end80-_ZN2at6native29vectorized_elementwise_kernelILi16ENS0_13BUnaryFunctorIfffZZZNS0_20copysign_kernel_cudaERNS_18TensorIteratorBaseEENKUlvE_clEvENKUlvE0_clEvEUlffE_EESt5arrayIPcLm2EEEEviT0_T1_
                                        ; -- End function
	.section	.AMDGPU.csdata,"",@progbits
; Kernel info:
; codeLenInByte = 764
; NumSgprs: 16
; NumVgprs: 10
; NumAgprs: 0
; TotalNumVgprs: 10
; ScratchSize: 0
; MemoryBound: 0
; FloatMode: 240
; IeeeMode: 1
; LDSByteSize: 0 bytes/workgroup (compile time only)
; SGPRBlocks: 1
; VGPRBlocks: 1
; NumSGPRsForWavesPerEU: 16
; NumVGPRsForWavesPerEU: 10
; AccumOffset: 12
; Occupancy: 8
; WaveLimiterHint : 0
; COMPUTE_PGM_RSRC2:SCRATCH_EN: 0
; COMPUTE_PGM_RSRC2:USER_SGPR: 6
; COMPUTE_PGM_RSRC2:TRAP_HANDLER: 0
; COMPUTE_PGM_RSRC2:TGID_X_EN: 1
; COMPUTE_PGM_RSRC2:TGID_Y_EN: 0
; COMPUTE_PGM_RSRC2:TGID_Z_EN: 0
; COMPUTE_PGM_RSRC2:TIDIG_COMP_CNT: 0
; COMPUTE_PGM_RSRC3_GFX90A:ACCUM_OFFSET: 2
; COMPUTE_PGM_RSRC3_GFX90A:TG_SPLIT: 0
	.section	.text._ZN2at6native29vectorized_elementwise_kernelILi8ENS0_13BUnaryFunctorIfffZZZNS0_20copysign_kernel_cudaERNS_18TensorIteratorBaseEENKUlvE_clEvENKUlvE0_clEvEUlffE_EESt5arrayIPcLm2EEEEviT0_T1_,"axG",@progbits,_ZN2at6native29vectorized_elementwise_kernelILi8ENS0_13BUnaryFunctorIfffZZZNS0_20copysign_kernel_cudaERNS_18TensorIteratorBaseEENKUlvE_clEvENKUlvE0_clEvEUlffE_EESt5arrayIPcLm2EEEEviT0_T1_,comdat
	.globl	_ZN2at6native29vectorized_elementwise_kernelILi8ENS0_13BUnaryFunctorIfffZZZNS0_20copysign_kernel_cudaERNS_18TensorIteratorBaseEENKUlvE_clEvENKUlvE0_clEvEUlffE_EESt5arrayIPcLm2EEEEviT0_T1_ ; -- Begin function _ZN2at6native29vectorized_elementwise_kernelILi8ENS0_13BUnaryFunctorIfffZZZNS0_20copysign_kernel_cudaERNS_18TensorIteratorBaseEENKUlvE_clEvENKUlvE0_clEvEUlffE_EESt5arrayIPcLm2EEEEviT0_T1_
	.p2align	8
	.type	_ZN2at6native29vectorized_elementwise_kernelILi8ENS0_13BUnaryFunctorIfffZZZNS0_20copysign_kernel_cudaERNS_18TensorIteratorBaseEENKUlvE_clEvENKUlvE0_clEvEUlffE_EESt5arrayIPcLm2EEEEviT0_T1_,@function
_ZN2at6native29vectorized_elementwise_kernelILi8ENS0_13BUnaryFunctorIfffZZZNS0_20copysign_kernel_cudaERNS_18TensorIteratorBaseEENKUlvE_clEvENKUlvE0_clEvEUlffE_EESt5arrayIPcLm2EEEEviT0_T1_: ; @_ZN2at6native29vectorized_elementwise_kernelILi8ENS0_13BUnaryFunctorIfffZZZNS0_20copysign_kernel_cudaERNS_18TensorIteratorBaseEENKUlvE_clEvENKUlvE0_clEvEUlffE_EESt5arrayIPcLm2EEEEviT0_T1_
; %bb.0:
	s_load_dword s0, s[4:5], 0x0
	s_load_dword s7, s[4:5], 0x8
	s_load_dwordx4 s[8:11], s[4:5], 0x10
	s_lshl_b32 s2, s6, 10
	s_waitcnt lgkmcnt(0)
	s_sub_i32 s6, s0, s2
	s_cmpk_gt_i32 s6, 0x3ff
	s_mov_b64 s[0:1], -1
	s_cbranch_scc0 .LBB81_2
; %bb.1:
	s_ashr_i32 s3, s2, 31
	s_lshl_b64 s[0:1], s[2:3], 2
	s_add_u32 s4, s10, s0
	s_addc_u32 s5, s11, s1
	v_lshlrev_b32_e32 v1, 4, v0
	global_load_dwordx4 v[2:5], v1, s[4:5]
	s_brev_b32 s3, -2
	v_mov_b32_e32 v6, s7
	s_add_u32 s0, s8, s0
	s_addc_u32 s1, s9, s1
	s_waitcnt vmcnt(0)
	v_bfi_b32 v3, s3, v3, v6
	v_bfi_b32 v2, s3, v2, v6
	;; [unrolled: 1-line block ×4, first 2 shown]
	global_store_dwordx4 v1, v[2:5], s[0:1]
	s_mov_b64 s[0:1], 0
.LBB81_2:
	s_andn2_b64 vcc, exec, s[0:1]
	s_cbranch_vccnz .LBB81_16
; %bb.3:
	v_cmp_gt_i32_e32 vcc, s6, v0
	v_mov_b32_e32 v1, 0
	v_or_b32_e32 v2, s2, v0
	v_mov_b32_e32 v3, 0
	v_mov_b32_e32 v4, v0
	s_and_saveexec_b64 s[4:5], vcc
	s_cbranch_execz .LBB81_5
; %bb.4:
	v_mov_b32_e32 v3, 0
	v_lshlrev_b64 v[4:5], 2, v[2:3]
	v_mov_b32_e32 v3, s11
	v_add_co_u32_e64 v4, s[0:1], s10, v4
	v_addc_co_u32_e64 v5, s[0:1], v3, v5, s[0:1]
	global_load_dword v3, v[4:5], off
	v_or_b32_e32 v4, 0x100, v0
.LBB81_5:
	s_or_b64 exec, exec, s[4:5]
	v_cmp_gt_i32_e64 s[0:1], s6, v4
	s_and_saveexec_b64 s[4:5], s[0:1]
	s_cbranch_execz .LBB81_7
; %bb.6:
	v_add_u32_e32 v6, s2, v4
	v_mov_b32_e32 v7, 0
	v_lshlrev_b64 v[6:7], 2, v[6:7]
	v_mov_b32_e32 v1, s11
	v_add_co_u32_e64 v6, s[0:1], s10, v6
	v_addc_co_u32_e64 v7, s[0:1], v1, v7, s[0:1]
	global_load_dword v1, v[6:7], off
	v_add_u32_e32 v4, 0x100, v4
.LBB81_7:
	s_or_b64 exec, exec, s[4:5]
	v_cmp_gt_i32_e64 s[0:1], s6, v4
	v_mov_b32_e32 v6, 0
	v_mov_b32_e32 v7, 0
	s_and_saveexec_b64 s[4:5], s[0:1]
	s_cbranch_execz .LBB81_9
; %bb.8:
	v_add_u32_e32 v8, s2, v4
	v_mov_b32_e32 v9, 0
	v_lshlrev_b64 v[8:9], 2, v[8:9]
	v_mov_b32_e32 v5, s11
	v_add_co_u32_e64 v8, s[0:1], s10, v8
	v_addc_co_u32_e64 v9, s[0:1], v5, v9, s[0:1]
	global_load_dword v7, v[8:9], off
	v_add_u32_e32 v4, 0x100, v4
.LBB81_9:
	s_or_b64 exec, exec, s[4:5]
	v_cmp_gt_i32_e64 s[0:1], s6, v4
	s_and_saveexec_b64 s[4:5], s[0:1]
	s_cbranch_execz .LBB81_11
; %bb.10:
	v_add_u32_e32 v4, s2, v4
	v_mov_b32_e32 v5, 0
	v_lshlrev_b64 v[4:5], 2, v[4:5]
	v_mov_b32_e32 v6, s11
	v_add_co_u32_e64 v4, s[0:1], s10, v4
	v_addc_co_u32_e64 v5, s[0:1], v6, v5, s[0:1]
	global_load_dword v6, v[4:5], off
.LBB81_11:
	s_or_b64 exec, exec, s[4:5]
	s_brev_b32 s0, -2
	v_mov_b32_e32 v9, s7
	s_waitcnt vmcnt(0)
	v_bfi_b32 v8, s0, v3, v9
	v_bfi_b32 v5, s0, v1, v9
	;; [unrolled: 1-line block ×4, first 2 shown]
	s_and_saveexec_b64 s[0:1], vcc
	s_cbranch_execnz .LBB81_17
; %bb.12:
	s_or_b64 exec, exec, s[0:1]
	v_cmp_gt_i32_e32 vcc, s6, v0
	s_and_saveexec_b64 s[0:1], vcc
	s_cbranch_execnz .LBB81_18
.LBB81_13:
	s_or_b64 exec, exec, s[0:1]
	v_cmp_gt_i32_e32 vcc, s6, v0
	s_and_saveexec_b64 s[0:1], vcc
	s_cbranch_execnz .LBB81_19
.LBB81_14:
	s_or_b64 exec, exec, s[0:1]
	v_cmp_gt_i32_e32 vcc, s6, v0
	s_and_saveexec_b64 s[0:1], vcc
	s_cbranch_execz .LBB81_16
.LBB81_15:
	v_add_u32_e32 v2, s2, v0
	v_mov_b32_e32 v3, 0
	v_lshlrev_b64 v[2:3], 2, v[2:3]
	v_mov_b32_e32 v0, s9
	v_add_co_u32_e32 v2, vcc, s8, v2
	v_addc_co_u32_e32 v3, vcc, v0, v3, vcc
	global_store_dword v[2:3], v1, off
.LBB81_16:
	s_endpgm
.LBB81_17:
	v_mov_b32_e32 v3, 0
	v_lshlrev_b64 v[2:3], 2, v[2:3]
	v_mov_b32_e32 v6, s9
	v_add_co_u32_e32 v2, vcc, s8, v2
	v_or_b32_e32 v0, 0x100, v0
	v_addc_co_u32_e32 v3, vcc, v6, v3, vcc
	global_store_dword v[2:3], v8, off
	s_or_b64 exec, exec, s[0:1]
	v_cmp_gt_i32_e32 vcc, s6, v0
	s_and_saveexec_b64 s[0:1], vcc
	s_cbranch_execz .LBB81_13
.LBB81_18:
	v_add_u32_e32 v2, s2, v0
	v_mov_b32_e32 v3, 0
	v_lshlrev_b64 v[2:3], 2, v[2:3]
	v_mov_b32_e32 v6, s9
	v_add_co_u32_e32 v2, vcc, s8, v2
	v_addc_co_u32_e32 v3, vcc, v6, v3, vcc
	v_add_u32_e32 v0, 0x100, v0
	global_store_dword v[2:3], v5, off
	s_or_b64 exec, exec, s[0:1]
	v_cmp_gt_i32_e32 vcc, s6, v0
	s_and_saveexec_b64 s[0:1], vcc
	s_cbranch_execz .LBB81_14
.LBB81_19:
	v_add_u32_e32 v2, s2, v0
	v_mov_b32_e32 v3, 0
	v_lshlrev_b64 v[2:3], 2, v[2:3]
	v_mov_b32_e32 v5, s9
	v_add_co_u32_e32 v2, vcc, s8, v2
	v_addc_co_u32_e32 v3, vcc, v5, v3, vcc
	v_add_u32_e32 v0, 0x100, v0
	global_store_dword v[2:3], v4, off
	s_or_b64 exec, exec, s[0:1]
	v_cmp_gt_i32_e32 vcc, s6, v0
	s_and_saveexec_b64 s[0:1], vcc
	s_cbranch_execnz .LBB81_15
	s_branch .LBB81_16
	.section	.rodata,"a",@progbits
	.p2align	6, 0x0
	.amdhsa_kernel _ZN2at6native29vectorized_elementwise_kernelILi8ENS0_13BUnaryFunctorIfffZZZNS0_20copysign_kernel_cudaERNS_18TensorIteratorBaseEENKUlvE_clEvENKUlvE0_clEvEUlffE_EESt5arrayIPcLm2EEEEviT0_T1_
		.amdhsa_group_segment_fixed_size 0
		.amdhsa_private_segment_fixed_size 0
		.amdhsa_kernarg_size 32
		.amdhsa_user_sgpr_count 6
		.amdhsa_user_sgpr_private_segment_buffer 1
		.amdhsa_user_sgpr_dispatch_ptr 0
		.amdhsa_user_sgpr_queue_ptr 0
		.amdhsa_user_sgpr_kernarg_segment_ptr 1
		.amdhsa_user_sgpr_dispatch_id 0
		.amdhsa_user_sgpr_flat_scratch_init 0
		.amdhsa_user_sgpr_kernarg_preload_length 0
		.amdhsa_user_sgpr_kernarg_preload_offset 0
		.amdhsa_user_sgpr_private_segment_size 0
		.amdhsa_uses_dynamic_stack 0
		.amdhsa_system_sgpr_private_segment_wavefront_offset 0
		.amdhsa_system_sgpr_workgroup_id_x 1
		.amdhsa_system_sgpr_workgroup_id_y 0
		.amdhsa_system_sgpr_workgroup_id_z 0
		.amdhsa_system_sgpr_workgroup_info 0
		.amdhsa_system_vgpr_workitem_id 0
		.amdhsa_next_free_vgpr 10
		.amdhsa_next_free_sgpr 12
		.amdhsa_accum_offset 12
		.amdhsa_reserve_vcc 1
		.amdhsa_reserve_flat_scratch 0
		.amdhsa_float_round_mode_32 0
		.amdhsa_float_round_mode_16_64 0
		.amdhsa_float_denorm_mode_32 3
		.amdhsa_float_denorm_mode_16_64 3
		.amdhsa_dx10_clamp 1
		.amdhsa_ieee_mode 1
		.amdhsa_fp16_overflow 0
		.amdhsa_tg_split 0
		.amdhsa_exception_fp_ieee_invalid_op 0
		.amdhsa_exception_fp_denorm_src 0
		.amdhsa_exception_fp_ieee_div_zero 0
		.amdhsa_exception_fp_ieee_overflow 0
		.amdhsa_exception_fp_ieee_underflow 0
		.amdhsa_exception_fp_ieee_inexact 0
		.amdhsa_exception_int_div_zero 0
	.end_amdhsa_kernel
	.section	.text._ZN2at6native29vectorized_elementwise_kernelILi8ENS0_13BUnaryFunctorIfffZZZNS0_20copysign_kernel_cudaERNS_18TensorIteratorBaseEENKUlvE_clEvENKUlvE0_clEvEUlffE_EESt5arrayIPcLm2EEEEviT0_T1_,"axG",@progbits,_ZN2at6native29vectorized_elementwise_kernelILi8ENS0_13BUnaryFunctorIfffZZZNS0_20copysign_kernel_cudaERNS_18TensorIteratorBaseEENKUlvE_clEvENKUlvE0_clEvEUlffE_EESt5arrayIPcLm2EEEEviT0_T1_,comdat
.Lfunc_end81:
	.size	_ZN2at6native29vectorized_elementwise_kernelILi8ENS0_13BUnaryFunctorIfffZZZNS0_20copysign_kernel_cudaERNS_18TensorIteratorBaseEENKUlvE_clEvENKUlvE0_clEvEUlffE_EESt5arrayIPcLm2EEEEviT0_T1_, .Lfunc_end81-_ZN2at6native29vectorized_elementwise_kernelILi8ENS0_13BUnaryFunctorIfffZZZNS0_20copysign_kernel_cudaERNS_18TensorIteratorBaseEENKUlvE_clEvENKUlvE0_clEvEUlffE_EESt5arrayIPcLm2EEEEviT0_T1_
                                        ; -- End function
	.section	.AMDGPU.csdata,"",@progbits
; Kernel info:
; codeLenInByte = 764
; NumSgprs: 16
; NumVgprs: 10
; NumAgprs: 0
; TotalNumVgprs: 10
; ScratchSize: 0
; MemoryBound: 0
; FloatMode: 240
; IeeeMode: 1
; LDSByteSize: 0 bytes/workgroup (compile time only)
; SGPRBlocks: 1
; VGPRBlocks: 1
; NumSGPRsForWavesPerEU: 16
; NumVGPRsForWavesPerEU: 10
; AccumOffset: 12
; Occupancy: 8
; WaveLimiterHint : 0
; COMPUTE_PGM_RSRC2:SCRATCH_EN: 0
; COMPUTE_PGM_RSRC2:USER_SGPR: 6
; COMPUTE_PGM_RSRC2:TRAP_HANDLER: 0
; COMPUTE_PGM_RSRC2:TGID_X_EN: 1
; COMPUTE_PGM_RSRC2:TGID_Y_EN: 0
; COMPUTE_PGM_RSRC2:TGID_Z_EN: 0
; COMPUTE_PGM_RSRC2:TIDIG_COMP_CNT: 0
; COMPUTE_PGM_RSRC3_GFX90A:ACCUM_OFFSET: 2
; COMPUTE_PGM_RSRC3_GFX90A:TG_SPLIT: 0
	.section	.text._ZN2at6native29vectorized_elementwise_kernelILi4ENS0_13BUnaryFunctorIfffZZZNS0_20copysign_kernel_cudaERNS_18TensorIteratorBaseEENKUlvE_clEvENKUlvE0_clEvEUlffE_EESt5arrayIPcLm2EEEEviT0_T1_,"axG",@progbits,_ZN2at6native29vectorized_elementwise_kernelILi4ENS0_13BUnaryFunctorIfffZZZNS0_20copysign_kernel_cudaERNS_18TensorIteratorBaseEENKUlvE_clEvENKUlvE0_clEvEUlffE_EESt5arrayIPcLm2EEEEviT0_T1_,comdat
	.globl	_ZN2at6native29vectorized_elementwise_kernelILi4ENS0_13BUnaryFunctorIfffZZZNS0_20copysign_kernel_cudaERNS_18TensorIteratorBaseEENKUlvE_clEvENKUlvE0_clEvEUlffE_EESt5arrayIPcLm2EEEEviT0_T1_ ; -- Begin function _ZN2at6native29vectorized_elementwise_kernelILi4ENS0_13BUnaryFunctorIfffZZZNS0_20copysign_kernel_cudaERNS_18TensorIteratorBaseEENKUlvE_clEvENKUlvE0_clEvEUlffE_EESt5arrayIPcLm2EEEEviT0_T1_
	.p2align	8
	.type	_ZN2at6native29vectorized_elementwise_kernelILi4ENS0_13BUnaryFunctorIfffZZZNS0_20copysign_kernel_cudaERNS_18TensorIteratorBaseEENKUlvE_clEvENKUlvE0_clEvEUlffE_EESt5arrayIPcLm2EEEEviT0_T1_,@function
_ZN2at6native29vectorized_elementwise_kernelILi4ENS0_13BUnaryFunctorIfffZZZNS0_20copysign_kernel_cudaERNS_18TensorIteratorBaseEENKUlvE_clEvENKUlvE0_clEvEUlffE_EESt5arrayIPcLm2EEEEviT0_T1_: ; @_ZN2at6native29vectorized_elementwise_kernelILi4ENS0_13BUnaryFunctorIfffZZZNS0_20copysign_kernel_cudaERNS_18TensorIteratorBaseEENKUlvE_clEvENKUlvE0_clEvEUlffE_EESt5arrayIPcLm2EEEEviT0_T1_
; %bb.0:
	s_load_dword s0, s[4:5], 0x0
	s_load_dword s7, s[4:5], 0x8
	s_load_dwordx4 s[8:11], s[4:5], 0x10
	s_lshl_b32 s2, s6, 10
	s_waitcnt lgkmcnt(0)
	s_sub_i32 s6, s0, s2
	s_cmpk_gt_i32 s6, 0x3ff
	s_mov_b64 s[0:1], -1
	s_cbranch_scc0 .LBB82_2
; %bb.1:
	s_ashr_i32 s3, s2, 31
	s_lshl_b64 s[0:1], s[2:3], 2
	s_add_u32 s4, s10, s0
	s_addc_u32 s5, s11, s1
	v_lshlrev_b32_e32 v1, 4, v0
	global_load_dwordx4 v[2:5], v1, s[4:5]
	s_brev_b32 s3, -2
	v_mov_b32_e32 v6, s7
	s_add_u32 s0, s8, s0
	s_addc_u32 s1, s9, s1
	s_waitcnt vmcnt(0)
	v_bfi_b32 v3, s3, v3, v6
	v_bfi_b32 v2, s3, v2, v6
	;; [unrolled: 1-line block ×4, first 2 shown]
	global_store_dwordx4 v1, v[2:5], s[0:1]
	s_mov_b64 s[0:1], 0
.LBB82_2:
	s_andn2_b64 vcc, exec, s[0:1]
	s_cbranch_vccnz .LBB82_16
; %bb.3:
	v_cmp_gt_i32_e32 vcc, s6, v0
	v_mov_b32_e32 v1, 0
	v_or_b32_e32 v2, s2, v0
	v_mov_b32_e32 v3, 0
	v_mov_b32_e32 v4, v0
	s_and_saveexec_b64 s[4:5], vcc
	s_cbranch_execz .LBB82_5
; %bb.4:
	v_mov_b32_e32 v3, 0
	v_lshlrev_b64 v[4:5], 2, v[2:3]
	v_mov_b32_e32 v3, s11
	v_add_co_u32_e64 v4, s[0:1], s10, v4
	v_addc_co_u32_e64 v5, s[0:1], v3, v5, s[0:1]
	global_load_dword v3, v[4:5], off
	v_or_b32_e32 v4, 0x100, v0
.LBB82_5:
	s_or_b64 exec, exec, s[4:5]
	v_cmp_gt_i32_e64 s[0:1], s6, v4
	s_and_saveexec_b64 s[4:5], s[0:1]
	s_cbranch_execz .LBB82_7
; %bb.6:
	v_add_u32_e32 v6, s2, v4
	v_mov_b32_e32 v7, 0
	v_lshlrev_b64 v[6:7], 2, v[6:7]
	v_mov_b32_e32 v1, s11
	v_add_co_u32_e64 v6, s[0:1], s10, v6
	v_addc_co_u32_e64 v7, s[0:1], v1, v7, s[0:1]
	global_load_dword v1, v[6:7], off
	v_add_u32_e32 v4, 0x100, v4
.LBB82_7:
	s_or_b64 exec, exec, s[4:5]
	v_cmp_gt_i32_e64 s[0:1], s6, v4
	v_mov_b32_e32 v6, 0
	v_mov_b32_e32 v7, 0
	s_and_saveexec_b64 s[4:5], s[0:1]
	s_cbranch_execz .LBB82_9
; %bb.8:
	v_add_u32_e32 v8, s2, v4
	v_mov_b32_e32 v9, 0
	v_lshlrev_b64 v[8:9], 2, v[8:9]
	v_mov_b32_e32 v5, s11
	v_add_co_u32_e64 v8, s[0:1], s10, v8
	v_addc_co_u32_e64 v9, s[0:1], v5, v9, s[0:1]
	global_load_dword v7, v[8:9], off
	v_add_u32_e32 v4, 0x100, v4
.LBB82_9:
	s_or_b64 exec, exec, s[4:5]
	v_cmp_gt_i32_e64 s[0:1], s6, v4
	s_and_saveexec_b64 s[4:5], s[0:1]
	s_cbranch_execz .LBB82_11
; %bb.10:
	v_add_u32_e32 v4, s2, v4
	v_mov_b32_e32 v5, 0
	v_lshlrev_b64 v[4:5], 2, v[4:5]
	v_mov_b32_e32 v6, s11
	v_add_co_u32_e64 v4, s[0:1], s10, v4
	v_addc_co_u32_e64 v5, s[0:1], v6, v5, s[0:1]
	global_load_dword v6, v[4:5], off
.LBB82_11:
	s_or_b64 exec, exec, s[4:5]
	s_brev_b32 s0, -2
	v_mov_b32_e32 v9, s7
	s_waitcnt vmcnt(0)
	v_bfi_b32 v8, s0, v3, v9
	v_bfi_b32 v5, s0, v1, v9
	;; [unrolled: 1-line block ×4, first 2 shown]
	s_and_saveexec_b64 s[0:1], vcc
	s_cbranch_execnz .LBB82_17
; %bb.12:
	s_or_b64 exec, exec, s[0:1]
	v_cmp_gt_i32_e32 vcc, s6, v0
	s_and_saveexec_b64 s[0:1], vcc
	s_cbranch_execnz .LBB82_18
.LBB82_13:
	s_or_b64 exec, exec, s[0:1]
	v_cmp_gt_i32_e32 vcc, s6, v0
	s_and_saveexec_b64 s[0:1], vcc
	s_cbranch_execnz .LBB82_19
.LBB82_14:
	s_or_b64 exec, exec, s[0:1]
	v_cmp_gt_i32_e32 vcc, s6, v0
	s_and_saveexec_b64 s[0:1], vcc
	s_cbranch_execz .LBB82_16
.LBB82_15:
	v_add_u32_e32 v2, s2, v0
	v_mov_b32_e32 v3, 0
	v_lshlrev_b64 v[2:3], 2, v[2:3]
	v_mov_b32_e32 v0, s9
	v_add_co_u32_e32 v2, vcc, s8, v2
	v_addc_co_u32_e32 v3, vcc, v0, v3, vcc
	global_store_dword v[2:3], v1, off
.LBB82_16:
	s_endpgm
.LBB82_17:
	v_mov_b32_e32 v3, 0
	v_lshlrev_b64 v[2:3], 2, v[2:3]
	v_mov_b32_e32 v6, s9
	v_add_co_u32_e32 v2, vcc, s8, v2
	v_or_b32_e32 v0, 0x100, v0
	v_addc_co_u32_e32 v3, vcc, v6, v3, vcc
	global_store_dword v[2:3], v8, off
	s_or_b64 exec, exec, s[0:1]
	v_cmp_gt_i32_e32 vcc, s6, v0
	s_and_saveexec_b64 s[0:1], vcc
	s_cbranch_execz .LBB82_13
.LBB82_18:
	v_add_u32_e32 v2, s2, v0
	v_mov_b32_e32 v3, 0
	v_lshlrev_b64 v[2:3], 2, v[2:3]
	v_mov_b32_e32 v6, s9
	v_add_co_u32_e32 v2, vcc, s8, v2
	v_addc_co_u32_e32 v3, vcc, v6, v3, vcc
	v_add_u32_e32 v0, 0x100, v0
	global_store_dword v[2:3], v5, off
	s_or_b64 exec, exec, s[0:1]
	v_cmp_gt_i32_e32 vcc, s6, v0
	s_and_saveexec_b64 s[0:1], vcc
	s_cbranch_execz .LBB82_14
.LBB82_19:
	v_add_u32_e32 v2, s2, v0
	v_mov_b32_e32 v3, 0
	v_lshlrev_b64 v[2:3], 2, v[2:3]
	v_mov_b32_e32 v5, s9
	v_add_co_u32_e32 v2, vcc, s8, v2
	v_addc_co_u32_e32 v3, vcc, v5, v3, vcc
	v_add_u32_e32 v0, 0x100, v0
	global_store_dword v[2:3], v4, off
	s_or_b64 exec, exec, s[0:1]
	v_cmp_gt_i32_e32 vcc, s6, v0
	s_and_saveexec_b64 s[0:1], vcc
	s_cbranch_execnz .LBB82_15
	s_branch .LBB82_16
	.section	.rodata,"a",@progbits
	.p2align	6, 0x0
	.amdhsa_kernel _ZN2at6native29vectorized_elementwise_kernelILi4ENS0_13BUnaryFunctorIfffZZZNS0_20copysign_kernel_cudaERNS_18TensorIteratorBaseEENKUlvE_clEvENKUlvE0_clEvEUlffE_EESt5arrayIPcLm2EEEEviT0_T1_
		.amdhsa_group_segment_fixed_size 0
		.amdhsa_private_segment_fixed_size 0
		.amdhsa_kernarg_size 32
		.amdhsa_user_sgpr_count 6
		.amdhsa_user_sgpr_private_segment_buffer 1
		.amdhsa_user_sgpr_dispatch_ptr 0
		.amdhsa_user_sgpr_queue_ptr 0
		.amdhsa_user_sgpr_kernarg_segment_ptr 1
		.amdhsa_user_sgpr_dispatch_id 0
		.amdhsa_user_sgpr_flat_scratch_init 0
		.amdhsa_user_sgpr_kernarg_preload_length 0
		.amdhsa_user_sgpr_kernarg_preload_offset 0
		.amdhsa_user_sgpr_private_segment_size 0
		.amdhsa_uses_dynamic_stack 0
		.amdhsa_system_sgpr_private_segment_wavefront_offset 0
		.amdhsa_system_sgpr_workgroup_id_x 1
		.amdhsa_system_sgpr_workgroup_id_y 0
		.amdhsa_system_sgpr_workgroup_id_z 0
		.amdhsa_system_sgpr_workgroup_info 0
		.amdhsa_system_vgpr_workitem_id 0
		.amdhsa_next_free_vgpr 10
		.amdhsa_next_free_sgpr 12
		.amdhsa_accum_offset 12
		.amdhsa_reserve_vcc 1
		.amdhsa_reserve_flat_scratch 0
		.amdhsa_float_round_mode_32 0
		.amdhsa_float_round_mode_16_64 0
		.amdhsa_float_denorm_mode_32 3
		.amdhsa_float_denorm_mode_16_64 3
		.amdhsa_dx10_clamp 1
		.amdhsa_ieee_mode 1
		.amdhsa_fp16_overflow 0
		.amdhsa_tg_split 0
		.amdhsa_exception_fp_ieee_invalid_op 0
		.amdhsa_exception_fp_denorm_src 0
		.amdhsa_exception_fp_ieee_div_zero 0
		.amdhsa_exception_fp_ieee_overflow 0
		.amdhsa_exception_fp_ieee_underflow 0
		.amdhsa_exception_fp_ieee_inexact 0
		.amdhsa_exception_int_div_zero 0
	.end_amdhsa_kernel
	.section	.text._ZN2at6native29vectorized_elementwise_kernelILi4ENS0_13BUnaryFunctorIfffZZZNS0_20copysign_kernel_cudaERNS_18TensorIteratorBaseEENKUlvE_clEvENKUlvE0_clEvEUlffE_EESt5arrayIPcLm2EEEEviT0_T1_,"axG",@progbits,_ZN2at6native29vectorized_elementwise_kernelILi4ENS0_13BUnaryFunctorIfffZZZNS0_20copysign_kernel_cudaERNS_18TensorIteratorBaseEENKUlvE_clEvENKUlvE0_clEvEUlffE_EESt5arrayIPcLm2EEEEviT0_T1_,comdat
.Lfunc_end82:
	.size	_ZN2at6native29vectorized_elementwise_kernelILi4ENS0_13BUnaryFunctorIfffZZZNS0_20copysign_kernel_cudaERNS_18TensorIteratorBaseEENKUlvE_clEvENKUlvE0_clEvEUlffE_EESt5arrayIPcLm2EEEEviT0_T1_, .Lfunc_end82-_ZN2at6native29vectorized_elementwise_kernelILi4ENS0_13BUnaryFunctorIfffZZZNS0_20copysign_kernel_cudaERNS_18TensorIteratorBaseEENKUlvE_clEvENKUlvE0_clEvEUlffE_EESt5arrayIPcLm2EEEEviT0_T1_
                                        ; -- End function
	.section	.AMDGPU.csdata,"",@progbits
; Kernel info:
; codeLenInByte = 764
; NumSgprs: 16
; NumVgprs: 10
; NumAgprs: 0
; TotalNumVgprs: 10
; ScratchSize: 0
; MemoryBound: 0
; FloatMode: 240
; IeeeMode: 1
; LDSByteSize: 0 bytes/workgroup (compile time only)
; SGPRBlocks: 1
; VGPRBlocks: 1
; NumSGPRsForWavesPerEU: 16
; NumVGPRsForWavesPerEU: 10
; AccumOffset: 12
; Occupancy: 8
; WaveLimiterHint : 0
; COMPUTE_PGM_RSRC2:SCRATCH_EN: 0
; COMPUTE_PGM_RSRC2:USER_SGPR: 6
; COMPUTE_PGM_RSRC2:TRAP_HANDLER: 0
; COMPUTE_PGM_RSRC2:TGID_X_EN: 1
; COMPUTE_PGM_RSRC2:TGID_Y_EN: 0
; COMPUTE_PGM_RSRC2:TGID_Z_EN: 0
; COMPUTE_PGM_RSRC2:TIDIG_COMP_CNT: 0
; COMPUTE_PGM_RSRC3_GFX90A:ACCUM_OFFSET: 2
; COMPUTE_PGM_RSRC3_GFX90A:TG_SPLIT: 0
	.section	.text._ZN2at6native29vectorized_elementwise_kernelILi2ENS0_13BUnaryFunctorIfffZZZNS0_20copysign_kernel_cudaERNS_18TensorIteratorBaseEENKUlvE_clEvENKUlvE0_clEvEUlffE_EESt5arrayIPcLm2EEEEviT0_T1_,"axG",@progbits,_ZN2at6native29vectorized_elementwise_kernelILi2ENS0_13BUnaryFunctorIfffZZZNS0_20copysign_kernel_cudaERNS_18TensorIteratorBaseEENKUlvE_clEvENKUlvE0_clEvEUlffE_EESt5arrayIPcLm2EEEEviT0_T1_,comdat
	.globl	_ZN2at6native29vectorized_elementwise_kernelILi2ENS0_13BUnaryFunctorIfffZZZNS0_20copysign_kernel_cudaERNS_18TensorIteratorBaseEENKUlvE_clEvENKUlvE0_clEvEUlffE_EESt5arrayIPcLm2EEEEviT0_T1_ ; -- Begin function _ZN2at6native29vectorized_elementwise_kernelILi2ENS0_13BUnaryFunctorIfffZZZNS0_20copysign_kernel_cudaERNS_18TensorIteratorBaseEENKUlvE_clEvENKUlvE0_clEvEUlffE_EESt5arrayIPcLm2EEEEviT0_T1_
	.p2align	8
	.type	_ZN2at6native29vectorized_elementwise_kernelILi2ENS0_13BUnaryFunctorIfffZZZNS0_20copysign_kernel_cudaERNS_18TensorIteratorBaseEENKUlvE_clEvENKUlvE0_clEvEUlffE_EESt5arrayIPcLm2EEEEviT0_T1_,@function
_ZN2at6native29vectorized_elementwise_kernelILi2ENS0_13BUnaryFunctorIfffZZZNS0_20copysign_kernel_cudaERNS_18TensorIteratorBaseEENKUlvE_clEvENKUlvE0_clEvEUlffE_EESt5arrayIPcLm2EEEEviT0_T1_: ; @_ZN2at6native29vectorized_elementwise_kernelILi2ENS0_13BUnaryFunctorIfffZZZNS0_20copysign_kernel_cudaERNS_18TensorIteratorBaseEENKUlvE_clEvENKUlvE0_clEvEUlffE_EESt5arrayIPcLm2EEEEviT0_T1_
; %bb.0:
	s_load_dword s0, s[4:5], 0x0
	s_load_dword s7, s[4:5], 0x8
	s_load_dwordx4 s[8:11], s[4:5], 0x10
	s_lshl_b32 s2, s6, 10
	s_waitcnt lgkmcnt(0)
	s_sub_i32 s6, s0, s2
	s_cmpk_gt_i32 s6, 0x3ff
	s_mov_b64 s[0:1], -1
	s_cbranch_scc0 .LBB83_2
; %bb.1:
	s_ashr_i32 s3, s2, 31
	s_lshl_b64 s[0:1], s[2:3], 2
	s_add_u32 s4, s10, s0
	s_addc_u32 s5, s11, s1
	v_lshlrev_b32_e32 v1, 3, v0
	global_load_dwordx2 v[2:3], v1, s[4:5]
	global_load_dwordx2 v[4:5], v1, s[4:5] offset:2048
	s_brev_b32 s3, -2
	v_mov_b32_e32 v6, s7
	s_add_u32 s0, s8, s0
	s_addc_u32 s1, s9, s1
	s_waitcnt vmcnt(1)
	v_bfi_b32 v3, s3, v3, v6
	v_bfi_b32 v2, s3, v2, v6
	s_waitcnt vmcnt(0)
	v_bfi_b32 v5, s3, v5, v6
	v_bfi_b32 v4, s3, v4, v6
	global_store_dwordx2 v1, v[2:3], s[0:1]
	global_store_dwordx2 v1, v[4:5], s[0:1] offset:2048
	s_mov_b64 s[0:1], 0
.LBB83_2:
	s_andn2_b64 vcc, exec, s[0:1]
	s_cbranch_vccnz .LBB83_16
; %bb.3:
	v_cmp_gt_i32_e32 vcc, s6, v0
	v_mov_b32_e32 v1, 0
	v_or_b32_e32 v2, s2, v0
	v_mov_b32_e32 v3, 0
	v_mov_b32_e32 v4, v0
	s_and_saveexec_b64 s[4:5], vcc
	s_cbranch_execz .LBB83_5
; %bb.4:
	v_mov_b32_e32 v3, 0
	v_lshlrev_b64 v[4:5], 2, v[2:3]
	v_mov_b32_e32 v3, s11
	v_add_co_u32_e64 v4, s[0:1], s10, v4
	v_addc_co_u32_e64 v5, s[0:1], v3, v5, s[0:1]
	global_load_dword v3, v[4:5], off
	v_or_b32_e32 v4, 0x100, v0
.LBB83_5:
	s_or_b64 exec, exec, s[4:5]
	v_cmp_gt_i32_e64 s[0:1], s6, v4
	s_and_saveexec_b64 s[4:5], s[0:1]
	s_cbranch_execz .LBB83_7
; %bb.6:
	v_add_u32_e32 v6, s2, v4
	v_mov_b32_e32 v7, 0
	v_lshlrev_b64 v[6:7], 2, v[6:7]
	v_mov_b32_e32 v1, s11
	v_add_co_u32_e64 v6, s[0:1], s10, v6
	v_addc_co_u32_e64 v7, s[0:1], v1, v7, s[0:1]
	global_load_dword v1, v[6:7], off
	v_add_u32_e32 v4, 0x100, v4
.LBB83_7:
	s_or_b64 exec, exec, s[4:5]
	v_cmp_gt_i32_e64 s[0:1], s6, v4
	v_mov_b32_e32 v6, 0
	v_mov_b32_e32 v7, 0
	s_and_saveexec_b64 s[4:5], s[0:1]
	s_cbranch_execz .LBB83_9
; %bb.8:
	v_add_u32_e32 v8, s2, v4
	v_mov_b32_e32 v9, 0
	v_lshlrev_b64 v[8:9], 2, v[8:9]
	v_mov_b32_e32 v5, s11
	v_add_co_u32_e64 v8, s[0:1], s10, v8
	v_addc_co_u32_e64 v9, s[0:1], v5, v9, s[0:1]
	global_load_dword v7, v[8:9], off
	v_add_u32_e32 v4, 0x100, v4
.LBB83_9:
	s_or_b64 exec, exec, s[4:5]
	v_cmp_gt_i32_e64 s[0:1], s6, v4
	s_and_saveexec_b64 s[4:5], s[0:1]
	s_cbranch_execz .LBB83_11
; %bb.10:
	v_add_u32_e32 v4, s2, v4
	v_mov_b32_e32 v5, 0
	v_lshlrev_b64 v[4:5], 2, v[4:5]
	v_mov_b32_e32 v6, s11
	v_add_co_u32_e64 v4, s[0:1], s10, v4
	v_addc_co_u32_e64 v5, s[0:1], v6, v5, s[0:1]
	global_load_dword v6, v[4:5], off
.LBB83_11:
	s_or_b64 exec, exec, s[4:5]
	s_brev_b32 s0, -2
	v_mov_b32_e32 v9, s7
	s_waitcnt vmcnt(0)
	v_bfi_b32 v8, s0, v3, v9
	v_bfi_b32 v5, s0, v1, v9
	;; [unrolled: 1-line block ×4, first 2 shown]
	s_and_saveexec_b64 s[0:1], vcc
	s_cbranch_execnz .LBB83_17
; %bb.12:
	s_or_b64 exec, exec, s[0:1]
	v_cmp_gt_i32_e32 vcc, s6, v0
	s_and_saveexec_b64 s[0:1], vcc
	s_cbranch_execnz .LBB83_18
.LBB83_13:
	s_or_b64 exec, exec, s[0:1]
	v_cmp_gt_i32_e32 vcc, s6, v0
	s_and_saveexec_b64 s[0:1], vcc
	s_cbranch_execnz .LBB83_19
.LBB83_14:
	s_or_b64 exec, exec, s[0:1]
	v_cmp_gt_i32_e32 vcc, s6, v0
	s_and_saveexec_b64 s[0:1], vcc
	s_cbranch_execz .LBB83_16
.LBB83_15:
	v_add_u32_e32 v2, s2, v0
	v_mov_b32_e32 v3, 0
	v_lshlrev_b64 v[2:3], 2, v[2:3]
	v_mov_b32_e32 v0, s9
	v_add_co_u32_e32 v2, vcc, s8, v2
	v_addc_co_u32_e32 v3, vcc, v0, v3, vcc
	global_store_dword v[2:3], v1, off
.LBB83_16:
	s_endpgm
.LBB83_17:
	v_mov_b32_e32 v3, 0
	v_lshlrev_b64 v[2:3], 2, v[2:3]
	v_mov_b32_e32 v6, s9
	v_add_co_u32_e32 v2, vcc, s8, v2
	v_or_b32_e32 v0, 0x100, v0
	v_addc_co_u32_e32 v3, vcc, v6, v3, vcc
	global_store_dword v[2:3], v8, off
	s_or_b64 exec, exec, s[0:1]
	v_cmp_gt_i32_e32 vcc, s6, v0
	s_and_saveexec_b64 s[0:1], vcc
	s_cbranch_execz .LBB83_13
.LBB83_18:
	v_add_u32_e32 v2, s2, v0
	v_mov_b32_e32 v3, 0
	v_lshlrev_b64 v[2:3], 2, v[2:3]
	v_mov_b32_e32 v6, s9
	v_add_co_u32_e32 v2, vcc, s8, v2
	v_addc_co_u32_e32 v3, vcc, v6, v3, vcc
	v_add_u32_e32 v0, 0x100, v0
	global_store_dword v[2:3], v5, off
	s_or_b64 exec, exec, s[0:1]
	v_cmp_gt_i32_e32 vcc, s6, v0
	s_and_saveexec_b64 s[0:1], vcc
	s_cbranch_execz .LBB83_14
.LBB83_19:
	v_add_u32_e32 v2, s2, v0
	v_mov_b32_e32 v3, 0
	v_lshlrev_b64 v[2:3], 2, v[2:3]
	v_mov_b32_e32 v5, s9
	v_add_co_u32_e32 v2, vcc, s8, v2
	v_addc_co_u32_e32 v3, vcc, v5, v3, vcc
	v_add_u32_e32 v0, 0x100, v0
	global_store_dword v[2:3], v4, off
	s_or_b64 exec, exec, s[0:1]
	v_cmp_gt_i32_e32 vcc, s6, v0
	s_and_saveexec_b64 s[0:1], vcc
	s_cbranch_execnz .LBB83_15
	s_branch .LBB83_16
	.section	.rodata,"a",@progbits
	.p2align	6, 0x0
	.amdhsa_kernel _ZN2at6native29vectorized_elementwise_kernelILi2ENS0_13BUnaryFunctorIfffZZZNS0_20copysign_kernel_cudaERNS_18TensorIteratorBaseEENKUlvE_clEvENKUlvE0_clEvEUlffE_EESt5arrayIPcLm2EEEEviT0_T1_
		.amdhsa_group_segment_fixed_size 0
		.amdhsa_private_segment_fixed_size 0
		.amdhsa_kernarg_size 32
		.amdhsa_user_sgpr_count 6
		.amdhsa_user_sgpr_private_segment_buffer 1
		.amdhsa_user_sgpr_dispatch_ptr 0
		.amdhsa_user_sgpr_queue_ptr 0
		.amdhsa_user_sgpr_kernarg_segment_ptr 1
		.amdhsa_user_sgpr_dispatch_id 0
		.amdhsa_user_sgpr_flat_scratch_init 0
		.amdhsa_user_sgpr_kernarg_preload_length 0
		.amdhsa_user_sgpr_kernarg_preload_offset 0
		.amdhsa_user_sgpr_private_segment_size 0
		.amdhsa_uses_dynamic_stack 0
		.amdhsa_system_sgpr_private_segment_wavefront_offset 0
		.amdhsa_system_sgpr_workgroup_id_x 1
		.amdhsa_system_sgpr_workgroup_id_y 0
		.amdhsa_system_sgpr_workgroup_id_z 0
		.amdhsa_system_sgpr_workgroup_info 0
		.amdhsa_system_vgpr_workitem_id 0
		.amdhsa_next_free_vgpr 10
		.amdhsa_next_free_sgpr 12
		.amdhsa_accum_offset 12
		.amdhsa_reserve_vcc 1
		.amdhsa_reserve_flat_scratch 0
		.amdhsa_float_round_mode_32 0
		.amdhsa_float_round_mode_16_64 0
		.amdhsa_float_denorm_mode_32 3
		.amdhsa_float_denorm_mode_16_64 3
		.amdhsa_dx10_clamp 1
		.amdhsa_ieee_mode 1
		.amdhsa_fp16_overflow 0
		.amdhsa_tg_split 0
		.amdhsa_exception_fp_ieee_invalid_op 0
		.amdhsa_exception_fp_denorm_src 0
		.amdhsa_exception_fp_ieee_div_zero 0
		.amdhsa_exception_fp_ieee_overflow 0
		.amdhsa_exception_fp_ieee_underflow 0
		.amdhsa_exception_fp_ieee_inexact 0
		.amdhsa_exception_int_div_zero 0
	.end_amdhsa_kernel
	.section	.text._ZN2at6native29vectorized_elementwise_kernelILi2ENS0_13BUnaryFunctorIfffZZZNS0_20copysign_kernel_cudaERNS_18TensorIteratorBaseEENKUlvE_clEvENKUlvE0_clEvEUlffE_EESt5arrayIPcLm2EEEEviT0_T1_,"axG",@progbits,_ZN2at6native29vectorized_elementwise_kernelILi2ENS0_13BUnaryFunctorIfffZZZNS0_20copysign_kernel_cudaERNS_18TensorIteratorBaseEENKUlvE_clEvENKUlvE0_clEvEUlffE_EESt5arrayIPcLm2EEEEviT0_T1_,comdat
.Lfunc_end83:
	.size	_ZN2at6native29vectorized_elementwise_kernelILi2ENS0_13BUnaryFunctorIfffZZZNS0_20copysign_kernel_cudaERNS_18TensorIteratorBaseEENKUlvE_clEvENKUlvE0_clEvEUlffE_EESt5arrayIPcLm2EEEEviT0_T1_, .Lfunc_end83-_ZN2at6native29vectorized_elementwise_kernelILi2ENS0_13BUnaryFunctorIfffZZZNS0_20copysign_kernel_cudaERNS_18TensorIteratorBaseEENKUlvE_clEvENKUlvE0_clEvEUlffE_EESt5arrayIPcLm2EEEEviT0_T1_
                                        ; -- End function
	.section	.AMDGPU.csdata,"",@progbits
; Kernel info:
; codeLenInByte = 784
; NumSgprs: 16
; NumVgprs: 10
; NumAgprs: 0
; TotalNumVgprs: 10
; ScratchSize: 0
; MemoryBound: 0
; FloatMode: 240
; IeeeMode: 1
; LDSByteSize: 0 bytes/workgroup (compile time only)
; SGPRBlocks: 1
; VGPRBlocks: 1
; NumSGPRsForWavesPerEU: 16
; NumVGPRsForWavesPerEU: 10
; AccumOffset: 12
; Occupancy: 8
; WaveLimiterHint : 1
; COMPUTE_PGM_RSRC2:SCRATCH_EN: 0
; COMPUTE_PGM_RSRC2:USER_SGPR: 6
; COMPUTE_PGM_RSRC2:TRAP_HANDLER: 0
; COMPUTE_PGM_RSRC2:TGID_X_EN: 1
; COMPUTE_PGM_RSRC2:TGID_Y_EN: 0
; COMPUTE_PGM_RSRC2:TGID_Z_EN: 0
; COMPUTE_PGM_RSRC2:TIDIG_COMP_CNT: 0
; COMPUTE_PGM_RSRC3_GFX90A:ACCUM_OFFSET: 2
; COMPUTE_PGM_RSRC3_GFX90A:TG_SPLIT: 0
	.section	.text._ZN2at6native27unrolled_elementwise_kernelINS0_13BUnaryFunctorIfffZZZNS0_20copysign_kernel_cudaERNS_18TensorIteratorBaseEENKUlvE_clEvENKUlvE0_clEvEUlffE_EESt5arrayIPcLm2EELi4E23TrivialOffsetCalculatorILi1EjESD_NS0_6memory15LoadWithoutCastENSE_16StoreWithoutCastEEEviT_T0_T2_T3_T4_T5_,"axG",@progbits,_ZN2at6native27unrolled_elementwise_kernelINS0_13BUnaryFunctorIfffZZZNS0_20copysign_kernel_cudaERNS_18TensorIteratorBaseEENKUlvE_clEvENKUlvE0_clEvEUlffE_EESt5arrayIPcLm2EELi4E23TrivialOffsetCalculatorILi1EjESD_NS0_6memory15LoadWithoutCastENSE_16StoreWithoutCastEEEviT_T0_T2_T3_T4_T5_,comdat
	.globl	_ZN2at6native27unrolled_elementwise_kernelINS0_13BUnaryFunctorIfffZZZNS0_20copysign_kernel_cudaERNS_18TensorIteratorBaseEENKUlvE_clEvENKUlvE0_clEvEUlffE_EESt5arrayIPcLm2EELi4E23TrivialOffsetCalculatorILi1EjESD_NS0_6memory15LoadWithoutCastENSE_16StoreWithoutCastEEEviT_T0_T2_T3_T4_T5_ ; -- Begin function _ZN2at6native27unrolled_elementwise_kernelINS0_13BUnaryFunctorIfffZZZNS0_20copysign_kernel_cudaERNS_18TensorIteratorBaseEENKUlvE_clEvENKUlvE0_clEvEUlffE_EESt5arrayIPcLm2EELi4E23TrivialOffsetCalculatorILi1EjESD_NS0_6memory15LoadWithoutCastENSE_16StoreWithoutCastEEEviT_T0_T2_T3_T4_T5_
	.p2align	8
	.type	_ZN2at6native27unrolled_elementwise_kernelINS0_13BUnaryFunctorIfffZZZNS0_20copysign_kernel_cudaERNS_18TensorIteratorBaseEENKUlvE_clEvENKUlvE0_clEvEUlffE_EESt5arrayIPcLm2EELi4E23TrivialOffsetCalculatorILi1EjESD_NS0_6memory15LoadWithoutCastENSE_16StoreWithoutCastEEEviT_T0_T2_T3_T4_T5_,@function
_ZN2at6native27unrolled_elementwise_kernelINS0_13BUnaryFunctorIfffZZZNS0_20copysign_kernel_cudaERNS_18TensorIteratorBaseEENKUlvE_clEvENKUlvE0_clEvEUlffE_EESt5arrayIPcLm2EELi4E23TrivialOffsetCalculatorILi1EjESD_NS0_6memory15LoadWithoutCastENSE_16StoreWithoutCastEEEviT_T0_T2_T3_T4_T5_: ; @_ZN2at6native27unrolled_elementwise_kernelINS0_13BUnaryFunctorIfffZZZNS0_20copysign_kernel_cudaERNS_18TensorIteratorBaseEENKUlvE_clEvENKUlvE0_clEvEUlffE_EESt5arrayIPcLm2EELi4E23TrivialOffsetCalculatorILi1EjESD_NS0_6memory15LoadWithoutCastENSE_16StoreWithoutCastEEEviT_T0_T2_T3_T4_T5_
; %bb.0:
	s_load_dword s0, s[4:5], 0x0
	s_load_dwordx4 s[8:11], s[4:5], 0x10
	s_lshl_b32 s6, s6, 10
	v_mov_b32_e32 v1, 0
	v_or_b32_e32 v2, s6, v0
	s_waitcnt lgkmcnt(0)
	s_sub_i32 s7, s0, s6
	v_cmp_gt_i32_e32 vcc, s7, v0
	v_mov_b32_e32 v3, 0
	v_mov_b32_e32 v4, v0
	s_and_saveexec_b64 s[2:3], vcc
	s_cbranch_execz .LBB84_2
; %bb.1:
	v_mov_b32_e32 v3, 0
	v_lshlrev_b64 v[4:5], 2, v[2:3]
	v_mov_b32_e32 v3, s11
	v_add_co_u32_e64 v4, s[0:1], s10, v4
	v_addc_co_u32_e64 v5, s[0:1], v3, v5, s[0:1]
	global_load_dword v3, v[4:5], off
	v_or_b32_e32 v4, 0x100, v0
.LBB84_2:
	s_or_b64 exec, exec, s[2:3]
	v_cmp_gt_i32_e64 s[0:1], s7, v4
	s_and_saveexec_b64 s[2:3], s[0:1]
	s_cbranch_execz .LBB84_4
; %bb.3:
	v_add_u32_e32 v6, s6, v4
	v_mov_b32_e32 v7, 0
	v_lshlrev_b64 v[6:7], 2, v[6:7]
	v_mov_b32_e32 v1, s11
	v_add_co_u32_e64 v6, s[0:1], s10, v6
	v_addc_co_u32_e64 v7, s[0:1], v1, v7, s[0:1]
	global_load_dword v1, v[6:7], off
	v_add_u32_e32 v4, 0x100, v4
.LBB84_4:
	s_or_b64 exec, exec, s[2:3]
	s_load_dword s4, s[4:5], 0x8
	v_cmp_gt_i32_e64 s[0:1], s7, v4
	v_mov_b32_e32 v6, 0
	v_mov_b32_e32 v7, 0
	s_and_saveexec_b64 s[2:3], s[0:1]
	s_cbranch_execz .LBB84_6
; %bb.5:
	v_add_u32_e32 v8, s6, v4
	v_mov_b32_e32 v9, 0
	v_lshlrev_b64 v[8:9], 2, v[8:9]
	v_mov_b32_e32 v5, s11
	v_add_co_u32_e64 v8, s[0:1], s10, v8
	v_addc_co_u32_e64 v9, s[0:1], v5, v9, s[0:1]
	global_load_dword v7, v[8:9], off
	v_add_u32_e32 v4, 0x100, v4
.LBB84_6:
	s_or_b64 exec, exec, s[2:3]
	v_cmp_gt_i32_e64 s[0:1], s7, v4
	s_and_saveexec_b64 s[2:3], s[0:1]
	s_cbranch_execz .LBB84_8
; %bb.7:
	v_add_u32_e32 v4, s6, v4
	v_mov_b32_e32 v5, 0
	v_lshlrev_b64 v[4:5], 2, v[4:5]
	v_mov_b32_e32 v6, s11
	v_add_co_u32_e64 v4, s[0:1], s10, v4
	v_addc_co_u32_e64 v5, s[0:1], v6, v5, s[0:1]
	global_load_dword v6, v[4:5], off
.LBB84_8:
	s_or_b64 exec, exec, s[2:3]
	s_brev_b32 s0, -2
	s_waitcnt lgkmcnt(0)
	v_mov_b32_e32 v9, s4
	s_waitcnt vmcnt(0)
	v_bfi_b32 v8, s0, v3, v9
	v_bfi_b32 v5, s0, v1, v9
	;; [unrolled: 1-line block ×4, first 2 shown]
	s_and_saveexec_b64 s[0:1], vcc
	s_cbranch_execnz .LBB84_13
; %bb.9:
	s_or_b64 exec, exec, s[0:1]
	v_cmp_gt_i32_e32 vcc, s7, v0
	s_and_saveexec_b64 s[0:1], vcc
	s_cbranch_execnz .LBB84_14
.LBB84_10:
	s_or_b64 exec, exec, s[0:1]
	v_cmp_gt_i32_e32 vcc, s7, v0
	s_and_saveexec_b64 s[0:1], vcc
	s_cbranch_execnz .LBB84_15
.LBB84_11:
	s_or_b64 exec, exec, s[0:1]
	v_cmp_gt_i32_e32 vcc, s7, v0
	s_and_saveexec_b64 s[0:1], vcc
	s_cbranch_execnz .LBB84_16
.LBB84_12:
	s_endpgm
.LBB84_13:
	v_mov_b32_e32 v3, 0
	v_lshlrev_b64 v[2:3], 2, v[2:3]
	v_mov_b32_e32 v6, s9
	v_add_co_u32_e32 v2, vcc, s8, v2
	v_or_b32_e32 v0, 0x100, v0
	v_addc_co_u32_e32 v3, vcc, v6, v3, vcc
	global_store_dword v[2:3], v8, off
	s_or_b64 exec, exec, s[0:1]
	v_cmp_gt_i32_e32 vcc, s7, v0
	s_and_saveexec_b64 s[0:1], vcc
	s_cbranch_execz .LBB84_10
.LBB84_14:
	v_add_u32_e32 v2, s6, v0
	v_mov_b32_e32 v3, 0
	v_lshlrev_b64 v[2:3], 2, v[2:3]
	v_add_u32_e32 v6, 0x100, v0
	v_mov_b32_e32 v0, s9
	v_add_co_u32_e32 v2, vcc, s8, v2
	v_addc_co_u32_e32 v3, vcc, v0, v3, vcc
	v_mov_b32_e32 v0, v6
	global_store_dword v[2:3], v5, off
	s_or_b64 exec, exec, s[0:1]
	v_cmp_gt_i32_e32 vcc, s7, v0
	s_and_saveexec_b64 s[0:1], vcc
	s_cbranch_execz .LBB84_11
.LBB84_15:
	v_add_u32_e32 v2, s6, v0
	v_mov_b32_e32 v3, 0
	v_lshlrev_b64 v[2:3], 2, v[2:3]
	v_add_u32_e32 v5, 0x100, v0
	v_mov_b32_e32 v0, s9
	v_add_co_u32_e32 v2, vcc, s8, v2
	v_addc_co_u32_e32 v3, vcc, v0, v3, vcc
	v_mov_b32_e32 v0, v5
	global_store_dword v[2:3], v4, off
	s_or_b64 exec, exec, s[0:1]
	v_cmp_gt_i32_e32 vcc, s7, v0
	s_and_saveexec_b64 s[0:1], vcc
	s_cbranch_execz .LBB84_12
.LBB84_16:
	v_add_u32_e32 v2, s6, v0
	v_mov_b32_e32 v3, 0
	v_lshlrev_b64 v[2:3], 2, v[2:3]
	v_mov_b32_e32 v0, s9
	v_add_co_u32_e32 v2, vcc, s8, v2
	v_addc_co_u32_e32 v3, vcc, v0, v3, vcc
	global_store_dword v[2:3], v1, off
	s_endpgm
	.section	.rodata,"a",@progbits
	.p2align	6, 0x0
	.amdhsa_kernel _ZN2at6native27unrolled_elementwise_kernelINS0_13BUnaryFunctorIfffZZZNS0_20copysign_kernel_cudaERNS_18TensorIteratorBaseEENKUlvE_clEvENKUlvE0_clEvEUlffE_EESt5arrayIPcLm2EELi4E23TrivialOffsetCalculatorILi1EjESD_NS0_6memory15LoadWithoutCastENSE_16StoreWithoutCastEEEviT_T0_T2_T3_T4_T5_
		.amdhsa_group_segment_fixed_size 0
		.amdhsa_private_segment_fixed_size 0
		.amdhsa_kernarg_size 36
		.amdhsa_user_sgpr_count 6
		.amdhsa_user_sgpr_private_segment_buffer 1
		.amdhsa_user_sgpr_dispatch_ptr 0
		.amdhsa_user_sgpr_queue_ptr 0
		.amdhsa_user_sgpr_kernarg_segment_ptr 1
		.amdhsa_user_sgpr_dispatch_id 0
		.amdhsa_user_sgpr_flat_scratch_init 0
		.amdhsa_user_sgpr_kernarg_preload_length 0
		.amdhsa_user_sgpr_kernarg_preload_offset 0
		.amdhsa_user_sgpr_private_segment_size 0
		.amdhsa_uses_dynamic_stack 0
		.amdhsa_system_sgpr_private_segment_wavefront_offset 0
		.amdhsa_system_sgpr_workgroup_id_x 1
		.amdhsa_system_sgpr_workgroup_id_y 0
		.amdhsa_system_sgpr_workgroup_id_z 0
		.amdhsa_system_sgpr_workgroup_info 0
		.amdhsa_system_vgpr_workitem_id 0
		.amdhsa_next_free_vgpr 10
		.amdhsa_next_free_sgpr 12
		.amdhsa_accum_offset 12
		.amdhsa_reserve_vcc 1
		.amdhsa_reserve_flat_scratch 0
		.amdhsa_float_round_mode_32 0
		.amdhsa_float_round_mode_16_64 0
		.amdhsa_float_denorm_mode_32 3
		.amdhsa_float_denorm_mode_16_64 3
		.amdhsa_dx10_clamp 1
		.amdhsa_ieee_mode 1
		.amdhsa_fp16_overflow 0
		.amdhsa_tg_split 0
		.amdhsa_exception_fp_ieee_invalid_op 0
		.amdhsa_exception_fp_denorm_src 0
		.amdhsa_exception_fp_ieee_div_zero 0
		.amdhsa_exception_fp_ieee_overflow 0
		.amdhsa_exception_fp_ieee_underflow 0
		.amdhsa_exception_fp_ieee_inexact 0
		.amdhsa_exception_int_div_zero 0
	.end_amdhsa_kernel
	.section	.text._ZN2at6native27unrolled_elementwise_kernelINS0_13BUnaryFunctorIfffZZZNS0_20copysign_kernel_cudaERNS_18TensorIteratorBaseEENKUlvE_clEvENKUlvE0_clEvEUlffE_EESt5arrayIPcLm2EELi4E23TrivialOffsetCalculatorILi1EjESD_NS0_6memory15LoadWithoutCastENSE_16StoreWithoutCastEEEviT_T0_T2_T3_T4_T5_,"axG",@progbits,_ZN2at6native27unrolled_elementwise_kernelINS0_13BUnaryFunctorIfffZZZNS0_20copysign_kernel_cudaERNS_18TensorIteratorBaseEENKUlvE_clEvENKUlvE0_clEvEUlffE_EESt5arrayIPcLm2EELi4E23TrivialOffsetCalculatorILi1EjESD_NS0_6memory15LoadWithoutCastENSE_16StoreWithoutCastEEEviT_T0_T2_T3_T4_T5_,comdat
.Lfunc_end84:
	.size	_ZN2at6native27unrolled_elementwise_kernelINS0_13BUnaryFunctorIfffZZZNS0_20copysign_kernel_cudaERNS_18TensorIteratorBaseEENKUlvE_clEvENKUlvE0_clEvEUlffE_EESt5arrayIPcLm2EELi4E23TrivialOffsetCalculatorILi1EjESD_NS0_6memory15LoadWithoutCastENSE_16StoreWithoutCastEEEviT_T0_T2_T3_T4_T5_, .Lfunc_end84-_ZN2at6native27unrolled_elementwise_kernelINS0_13BUnaryFunctorIfffZZZNS0_20copysign_kernel_cudaERNS_18TensorIteratorBaseEENKUlvE_clEvENKUlvE0_clEvEUlffE_EESt5arrayIPcLm2EELi4E23TrivialOffsetCalculatorILi1EjESD_NS0_6memory15LoadWithoutCastENSE_16StoreWithoutCastEEEviT_T0_T2_T3_T4_T5_
                                        ; -- End function
	.section	.AMDGPU.csdata,"",@progbits
; Kernel info:
; codeLenInByte = 664
; NumSgprs: 16
; NumVgprs: 10
; NumAgprs: 0
; TotalNumVgprs: 10
; ScratchSize: 0
; MemoryBound: 0
; FloatMode: 240
; IeeeMode: 1
; LDSByteSize: 0 bytes/workgroup (compile time only)
; SGPRBlocks: 1
; VGPRBlocks: 1
; NumSGPRsForWavesPerEU: 16
; NumVGPRsForWavesPerEU: 10
; AccumOffset: 12
; Occupancy: 8
; WaveLimiterHint : 0
; COMPUTE_PGM_RSRC2:SCRATCH_EN: 0
; COMPUTE_PGM_RSRC2:USER_SGPR: 6
; COMPUTE_PGM_RSRC2:TRAP_HANDLER: 0
; COMPUTE_PGM_RSRC2:TGID_X_EN: 1
; COMPUTE_PGM_RSRC2:TGID_Y_EN: 0
; COMPUTE_PGM_RSRC2:TGID_Z_EN: 0
; COMPUTE_PGM_RSRC2:TIDIG_COMP_CNT: 0
; COMPUTE_PGM_RSRC3_GFX90A:ACCUM_OFFSET: 2
; COMPUTE_PGM_RSRC3_GFX90A:TG_SPLIT: 0
	.section	.text._ZN2at6native32elementwise_kernel_manual_unrollILi128ELi4EZNS0_22gpu_kernel_impl_nocastINS0_13BUnaryFunctorIfffZZZNS0_20copysign_kernel_cudaERNS_18TensorIteratorBaseEENKUlvE_clEvENKUlvE0_clEvEUlffE_EEEEvS5_RKT_EUlibE_EEviT1_,"axG",@progbits,_ZN2at6native32elementwise_kernel_manual_unrollILi128ELi4EZNS0_22gpu_kernel_impl_nocastINS0_13BUnaryFunctorIfffZZZNS0_20copysign_kernel_cudaERNS_18TensorIteratorBaseEENKUlvE_clEvENKUlvE0_clEvEUlffE_EEEEvS5_RKT_EUlibE_EEviT1_,comdat
	.globl	_ZN2at6native32elementwise_kernel_manual_unrollILi128ELi4EZNS0_22gpu_kernel_impl_nocastINS0_13BUnaryFunctorIfffZZZNS0_20copysign_kernel_cudaERNS_18TensorIteratorBaseEENKUlvE_clEvENKUlvE0_clEvEUlffE_EEEEvS5_RKT_EUlibE_EEviT1_ ; -- Begin function _ZN2at6native32elementwise_kernel_manual_unrollILi128ELi4EZNS0_22gpu_kernel_impl_nocastINS0_13BUnaryFunctorIfffZZZNS0_20copysign_kernel_cudaERNS_18TensorIteratorBaseEENKUlvE_clEvENKUlvE0_clEvEUlffE_EEEEvS5_RKT_EUlibE_EEviT1_
	.p2align	8
	.type	_ZN2at6native32elementwise_kernel_manual_unrollILi128ELi4EZNS0_22gpu_kernel_impl_nocastINS0_13BUnaryFunctorIfffZZZNS0_20copysign_kernel_cudaERNS_18TensorIteratorBaseEENKUlvE_clEvENKUlvE0_clEvEUlffE_EEEEvS5_RKT_EUlibE_EEviT1_,@function
_ZN2at6native32elementwise_kernel_manual_unrollILi128ELi4EZNS0_22gpu_kernel_impl_nocastINS0_13BUnaryFunctorIfffZZZNS0_20copysign_kernel_cudaERNS_18TensorIteratorBaseEENKUlvE_clEvENKUlvE0_clEvEUlffE_EEEEvS5_RKT_EUlibE_EEviT1_: ; @_ZN2at6native32elementwise_kernel_manual_unrollILi128ELi4EZNS0_22gpu_kernel_impl_nocastINS0_13BUnaryFunctorIfffZZZNS0_20copysign_kernel_cudaERNS_18TensorIteratorBaseEENKUlvE_clEvENKUlvE0_clEvEUlffE_EEEEvS5_RKT_EUlibE_EEviT1_
; %bb.0:
	s_load_dword s58, s[4:5], 0x0
	s_load_dword s33, s[4:5], 0x8
	s_or_b32 s4, s4, 8
	v_lshl_or_b32 v8, s6, 9, v0
	v_or_b32_e32 v15, 0x180, v8
	s_waitcnt lgkmcnt(0)
	v_cmp_le_i32_e32 vcc, s58, v15
	s_add_i32 s56, s33, -1
	s_cmp_gt_u32 s56, 1
	s_cselect_b64 s[6:7], -1, 0
	s_and_saveexec_b64 s[0:1], vcc
	s_xor_b64 s[34:35], exec, s[0:1]
	s_cbranch_execz .LBB85_8
; %bb.1:
	s_load_dwordx4 s[28:31], s[4:5], 0x4
	s_load_dwordx2 s[40:41], s[4:5], 0x14
	s_load_dwordx4 s[24:27], s[4:5], 0xc4
	s_load_dwordx4 s[0:3], s[4:5], 0x148
	s_load_dword s57, s[4:5], 0x15c
	s_cmp_lg_u32 s33, 0
	s_cselect_b64 s[46:47], -1, 0
	s_add_u32 s44, s4, 0xc4
	s_addc_u32 s45, s5, 0
	s_min_u32 s59, s56, 15
	s_cmp_gt_u32 s33, 1
	s_cselect_b64 s[42:43], -1, 0
	v_cmp_gt_i32_e32 vcc, s58, v8
	s_and_saveexec_b64 s[48:49], vcc
	s_cbranch_execz .LBB85_16
; %bb.2:
	s_andn2_b64 vcc, exec, s[6:7]
	s_cbranch_vccnz .LBB85_24
; %bb.3:
	s_mov_b32 s50, 0
	s_andn2_b64 vcc, exec, s[46:47]
	v_mov_b32_e32 v2, 0
	v_mov_b32_e32 v0, 0
	s_cbranch_vccnz .LBB85_80
; %bb.4:
	s_add_i32 s60, s59, 1
	s_cmp_eq_u32 s56, 2
	s_cbranch_scc1 .LBB85_75
; %bb.5:
	s_and_b32 s50, s60, 28
	s_mov_b32 s51, 0
	v_mov_b32_e32 v0, 0
	s_mov_b64 s[52:53], s[4:5]
	s_mov_b64 s[54:55], s[44:45]
	v_mov_b32_e32 v3, v8
	v_mov_b32_e32 v2, 0
.LBB85_6:                               ; =>This Inner Loop Header: Depth=1
	s_load_dwordx8 s[16:23], s[52:53], 0x4
	s_load_dwordx4 s[36:39], s[52:53], 0x24
	s_load_dwordx8 s[8:15], s[54:55], 0x0
	s_add_u32 s52, s52, 48
	s_addc_u32 s53, s53, 0
	s_waitcnt lgkmcnt(0)
	v_mul_hi_u32 v1, s17, v3
	v_add_u32_e32 v1, v3, v1
	v_lshrrev_b32_e32 v1, s18, v1
	v_mul_lo_u32 v4, v1, s16
	v_mul_hi_u32 v5, s20, v1
	v_sub_u32_e32 v3, v3, v4
	v_add_u32_e32 v4, v1, v5
	v_lshrrev_b32_e32 v4, s21, v4
	v_mul_lo_u32 v6, v4, s19
	v_mul_hi_u32 v7, s23, v4
	v_sub_u32_e32 v1, v1, v6
	v_add_u32_e32 v6, v4, v7
	v_mul_lo_u32 v5, v3, s9
	v_mul_lo_u32 v3, v3, s8
	;; [unrolled: 1-line block ×4, first 2 shown]
	v_lshrrev_b32_e32 v6, s36, v6
	v_add3_u32 v0, v3, v0, v1
	v_mul_hi_u32 v3, s38, v6
	v_add_u32_e32 v3, v6, v3
	v_lshrrev_b32_e32 v3, s39, v3
	s_add_i32 s51, s51, 4
	v_add3_u32 v1, v5, v2, v7
	v_mul_lo_u32 v2, v6, s22
	v_mul_lo_u32 v5, v3, s37
	s_add_u32 s54, s54, 32
	v_sub_u32_e32 v2, v4, v2
	v_sub_u32_e32 v5, v6, v5
	s_addc_u32 s55, s55, 0
	v_mul_lo_u32 v4, v2, s12
	v_mul_lo_u32 v2, v2, s13
	;; [unrolled: 1-line block ×4, first 2 shown]
	s_cmp_lg_u32 s50, s51
	v_add3_u32 v2, v2, v1, v5
	v_add3_u32 v0, v4, v0, v6
	s_cbranch_scc1 .LBB85_6
; %bb.7:
	v_mov_b32_e32 v1, v2
	s_branch .LBB85_76
.LBB85_8:
	s_andn2_saveexec_b64 s[0:1], s[34:35]
	s_cbranch_execz .LBB85_103
.LBB85_9:
	v_cndmask_b32_e64 v0, 0, 1, s[6:7]
	v_cmp_ne_u32_e64 s[0:1], 1, v0
	s_andn2_b64 vcc, exec, s[6:7]
	s_cbranch_vccnz .LBB85_23
; %bb.10:
	s_mov_b32 s2, 0
	s_cmp_lg_u32 s33, 0
	v_mov_b32_e32 v2, 0
	v_mov_b32_e32 v0, 0
	s_cbranch_scc0 .LBB85_15
; %bb.11:
	s_min_u32 s30, s56, 15
	s_add_i32 s30, s30, 1
	s_cmp_eq_u32 s56, 2
	s_cbranch_scc1 .LBB85_26
; %bb.12:
	s_add_u32 s6, s4, 0xc4
	s_addc_u32 s7, s5, 0
	s_and_b32 s2, s30, 28
	s_mov_b32 s3, 0
	v_mov_b32_e32 v0, 0
	s_mov_b64 s[28:29], s[4:5]
	v_mov_b32_e32 v3, v8
	v_mov_b32_e32 v2, 0
.LBB85_13:                              ; =>This Inner Loop Header: Depth=1
	s_load_dwordx8 s[16:23], s[28:29], 0x4
	s_load_dwordx4 s[24:27], s[28:29], 0x24
	s_load_dwordx8 s[8:15], s[6:7], 0x0
	s_add_u32 s28, s28, 48
	s_addc_u32 s29, s29, 0
	s_waitcnt lgkmcnt(0)
	v_mul_hi_u32 v1, s17, v3
	v_add_u32_e32 v1, v3, v1
	v_lshrrev_b32_e32 v1, s18, v1
	v_mul_lo_u32 v4, v1, s16
	v_mul_hi_u32 v5, s20, v1
	v_sub_u32_e32 v3, v3, v4
	v_add_u32_e32 v4, v1, v5
	v_lshrrev_b32_e32 v4, s21, v4
	v_mul_lo_u32 v6, v4, s19
	v_mul_hi_u32 v7, s23, v4
	v_sub_u32_e32 v1, v1, v6
	v_add_u32_e32 v6, v4, v7
	v_mul_lo_u32 v5, v3, s9
	v_mul_lo_u32 v3, v3, s8
	;; [unrolled: 1-line block ×4, first 2 shown]
	v_lshrrev_b32_e32 v6, s24, v6
	v_add3_u32 v0, v3, v0, v1
	v_mul_hi_u32 v3, s26, v6
	v_add_u32_e32 v3, v6, v3
	v_lshrrev_b32_e32 v3, s27, v3
	s_add_i32 s3, s3, 4
	v_add3_u32 v1, v5, v2, v7
	v_mul_lo_u32 v2, v6, s22
	v_mul_lo_u32 v5, v3, s25
	s_add_u32 s6, s6, 32
	v_sub_u32_e32 v2, v4, v2
	v_sub_u32_e32 v5, v6, v5
	s_addc_u32 s7, s7, 0
	v_mul_lo_u32 v4, v2, s12
	v_mul_lo_u32 v2, v2, s13
	;; [unrolled: 1-line block ×4, first 2 shown]
	s_cmp_lg_u32 s2, s3
	v_add3_u32 v2, v2, v1, v5
	v_add3_u32 v0, v4, v0, v6
	s_cbranch_scc1 .LBB85_13
; %bb.14:
	v_mov_b32_e32 v1, v2
	s_and_b32 s8, s30, 3
	s_cmp_eq_u32 s8, 0
	s_cbranch_scc0 .LBB85_27
.LBB85_15:
	s_cbranch_execz .LBB85_30
	s_branch .LBB85_32
.LBB85_16:
	s_or_b64 exec, exec, s[48:49]
	v_cmp_gt_i32_e32 vcc, s58, v8
	s_and_saveexec_b64 s[48:49], vcc
	s_cbranch_execz .LBB85_84
.LBB85_17:
	s_andn2_b64 vcc, exec, s[6:7]
	s_cbranch_vccnz .LBB85_25
; %bb.18:
	s_mov_b32 s50, 0
	s_andn2_b64 vcc, exec, s[46:47]
	v_mov_b32_e32 v2, 0
	v_mov_b32_e32 v0, 0
	s_cbranch_vccnz .LBB85_97
; %bb.19:
	s_add_i32 s60, s59, 1
	s_cmp_eq_u32 s56, 2
	s_cbranch_scc1 .LBB85_92
; %bb.20:
	s_and_b32 s50, s60, 28
	s_mov_b32 s51, 0
	v_mov_b32_e32 v0, 0
	s_mov_b64 s[52:53], s[4:5]
	s_mov_b64 s[54:55], s[44:45]
	v_mov_b32_e32 v3, v8
	v_mov_b32_e32 v2, 0
.LBB85_21:                              ; =>This Inner Loop Header: Depth=1
	s_load_dwordx8 s[16:23], s[52:53], 0x4
	s_load_dwordx4 s[36:39], s[52:53], 0x24
	s_load_dwordx8 s[8:15], s[54:55], 0x0
	s_add_u32 s52, s52, 48
	s_addc_u32 s53, s53, 0
	s_waitcnt lgkmcnt(0)
	v_mul_hi_u32 v1, s17, v3
	v_add_u32_e32 v1, v3, v1
	v_lshrrev_b32_e32 v1, s18, v1
	v_mul_lo_u32 v4, v1, s16
	v_mul_hi_u32 v5, s20, v1
	v_sub_u32_e32 v3, v3, v4
	v_add_u32_e32 v4, v1, v5
	v_lshrrev_b32_e32 v4, s21, v4
	v_mul_lo_u32 v6, v4, s19
	v_mul_hi_u32 v7, s23, v4
	v_sub_u32_e32 v1, v1, v6
	v_add_u32_e32 v6, v4, v7
	v_mul_lo_u32 v5, v3, s9
	v_mul_lo_u32 v3, v3, s8
	;; [unrolled: 1-line block ×4, first 2 shown]
	v_lshrrev_b32_e32 v6, s36, v6
	v_add3_u32 v0, v3, v0, v1
	v_mul_hi_u32 v3, s38, v6
	v_add_u32_e32 v3, v6, v3
	v_lshrrev_b32_e32 v3, s39, v3
	s_add_i32 s51, s51, 4
	v_add3_u32 v1, v5, v2, v7
	v_mul_lo_u32 v2, v6, s22
	v_mul_lo_u32 v5, v3, s37
	s_add_u32 s54, s54, 32
	v_sub_u32_e32 v2, v4, v2
	v_sub_u32_e32 v5, v6, v5
	s_addc_u32 s55, s55, 0
	v_mul_lo_u32 v4, v2, s12
	v_mul_lo_u32 v2, v2, s13
	;; [unrolled: 1-line block ×4, first 2 shown]
	s_cmp_eq_u32 s50, s51
	v_add3_u32 v2, v2, v1, v5
	v_add3_u32 v0, v4, v0, v6
	s_cbranch_scc0 .LBB85_21
; %bb.22:
	v_mov_b32_e32 v1, v2
	s_branch .LBB85_93
.LBB85_23:
                                        ; implicit-def: $vgpr2
                                        ; implicit-def: $vgpr0
	s_branch .LBB85_30
.LBB85_24:
                                        ; implicit-def: $vgpr2
                                        ; implicit-def: $vgpr0
	s_branch .LBB85_81
.LBB85_25:
                                        ; implicit-def: $vgpr2
                                        ; implicit-def: $vgpr0
	s_branch .LBB85_98
.LBB85_26:
	s_mov_b32 s3, s2
	v_pk_mov_b32 v[0:1], s[2:3], s[2:3] op_sel:[0,1]
                                        ; implicit-def: $vgpr2
	v_mov_b32_e32 v3, v8
	s_and_b32 s8, s30, 3
	s_cmp_eq_u32 s8, 0
	s_cbranch_scc1 .LBB85_15
.LBB85_27:
	s_lshl_b32 s3, s2, 3
	s_add_u32 s3, s3, s4
	s_addc_u32 s7, 0, s5
	s_add_u32 s6, s3, 0xc4
	s_addc_u32 s7, s7, 0
	s_mul_i32 s2, s2, 12
	s_add_u32 s2, s4, s2
	s_addc_u32 s3, 0, s5
.LBB85_28:                              ; =>This Inner Loop Header: Depth=1
	s_load_dwordx2 s[10:11], s[2:3], 0x4
	s_load_dword s9, s[2:3], 0xc
	s_load_dwordx2 s[12:13], s[6:7], 0x0
	v_mov_b32_e32 v2, v1
	s_add_u32 s2, s2, 12
	s_waitcnt lgkmcnt(0)
	v_mul_hi_u32 v1, s11, v3
	v_add_u32_e32 v1, v3, v1
	v_lshrrev_b32_e32 v1, s9, v1
	s_addc_u32 s3, s3, 0
	v_mul_lo_u32 v4, v1, s10
	s_add_u32 s6, s6, 8
	v_sub_u32_e32 v6, v3, v4
	v_mov_b32_e32 v3, v1
	s_addc_u32 s7, s7, 0
	s_add_i32 s8, s8, -1
	v_mad_u64_u32 v[4:5], s[10:11], v6, s13, v[2:3]
	v_mad_u64_u32 v[0:1], s[10:11], v6, s12, v[0:1]
	s_cmp_lg_u32 s8, 0
	v_mov_b32_e32 v1, v4
	s_cbranch_scc1 .LBB85_28
; %bb.29:
	v_mov_b32_e32 v2, v1
	s_cbranch_execnz .LBB85_32
.LBB85_30:
	s_load_dwordx4 s[8:11], s[4:5], 0x4
	s_load_dwordx2 s[2:3], s[4:5], 0xc4
	s_cmp_lt_u32 s33, 2
	s_waitcnt lgkmcnt(0)
	v_mul_hi_u32 v0, s9, v8
	v_add_u32_e32 v0, v8, v0
	v_lshrrev_b32_e32 v1, s10, v0
	v_mul_lo_u32 v0, v1, s8
	v_sub_u32_e32 v0, v8, v0
	v_mul_lo_u32 v2, v0, s3
	v_mul_lo_u32 v0, v0, s2
	s_cbranch_scc1 .LBB85_32
; %bb.31:
	s_load_dwordx4 s[8:11], s[4:5], 0x10
	s_load_dwordx2 s[2:3], s[4:5], 0xcc
	s_waitcnt lgkmcnt(0)
	v_mul_hi_u32 v3, s9, v1
	v_add_u32_e32 v3, v1, v3
	v_lshrrev_b32_e32 v3, s10, v3
	v_mul_lo_u32 v3, v3, s8
	v_sub_u32_e32 v3, v1, v3
	v_mad_u64_u32 v[0:1], s[6:7], v3, s2, v[0:1]
	v_mad_u64_u32 v[2:3], s[2:3], v3, s3, v[2:3]
.LBB85_32:
	s_and_b64 vcc, exec, s[0:1]
	v_add_u32_e32 v1, 0x80, v8
	s_cbranch_vccnz .LBB85_39
; %bb.33:
	s_mov_b32 s2, 0
	s_cmp_lg_u32 s33, 0
	v_mov_b32_e32 v6, 0
	v_mov_b32_e32 v4, 0
	s_cbranch_scc0 .LBB85_38
; %bb.34:
	s_min_u32 s30, s56, 15
	s_add_i32 s30, s30, 1
	s_cmp_eq_u32 s56, 2
	s_cbranch_scc1 .LBB85_40
; %bb.35:
	s_add_u32 s6, s4, 0xc4
	s_addc_u32 s7, s5, 0
	s_and_b32 s2, s30, 28
	s_mov_b32 s3, 0
	v_mov_b32_e32 v4, 0
	s_mov_b64 s[28:29], s[4:5]
	v_mov_b32_e32 v3, v1
	v_mov_b32_e32 v6, 0
.LBB85_36:                              ; =>This Inner Loop Header: Depth=1
	s_load_dwordx8 s[16:23], s[28:29], 0x4
	s_load_dwordx4 s[24:27], s[28:29], 0x24
	s_load_dwordx8 s[8:15], s[6:7], 0x0
	s_add_u32 s28, s28, 48
	s_addc_u32 s29, s29, 0
	s_waitcnt lgkmcnt(0)
	v_mul_hi_u32 v5, s17, v3
	v_add_u32_e32 v5, v3, v5
	v_lshrrev_b32_e32 v5, s18, v5
	v_mul_lo_u32 v7, v5, s16
	v_mul_hi_u32 v9, s20, v5
	v_sub_u32_e32 v3, v3, v7
	v_add_u32_e32 v7, v5, v9
	v_lshrrev_b32_e32 v7, s21, v7
	v_mul_lo_u32 v10, v7, s19
	v_mul_hi_u32 v11, s23, v7
	v_sub_u32_e32 v5, v5, v10
	v_add_u32_e32 v10, v7, v11
	v_mul_lo_u32 v9, v3, s9
	v_mul_lo_u32 v3, v3, s8
	;; [unrolled: 1-line block ×4, first 2 shown]
	v_lshrrev_b32_e32 v10, s24, v10
	v_add3_u32 v4, v3, v4, v5
	v_add3_u32 v5, v9, v6, v11
	v_mul_lo_u32 v3, v10, s22
	v_mul_hi_u32 v6, s26, v10
	v_sub_u32_e32 v3, v7, v3
	v_add_u32_e32 v6, v10, v6
	v_mul_lo_u32 v7, v3, s12
	v_mul_lo_u32 v9, v3, s13
	v_lshrrev_b32_e32 v3, s27, v6
	s_add_i32 s3, s3, 4
	v_mul_lo_u32 v6, v3, s25
	s_add_u32 s6, s6, 32
	v_sub_u32_e32 v6, v10, v6
	s_addc_u32 s7, s7, 0
	v_mul_lo_u32 v10, v6, s14
	v_mul_lo_u32 v6, v6, s15
	s_cmp_lg_u32 s2, s3
	v_add3_u32 v6, v9, v5, v6
	v_add3_u32 v4, v7, v4, v10
	s_cbranch_scc1 .LBB85_36
; %bb.37:
	v_mov_b32_e32 v5, v6
	s_and_b32 s8, s30, 3
	s_cmp_eq_u32 s8, 0
	s_cbranch_scc0 .LBB85_41
.LBB85_38:
	s_cbranch_execz .LBB85_44
	s_branch .LBB85_46
.LBB85_39:
                                        ; implicit-def: $vgpr6
                                        ; implicit-def: $vgpr4
	s_branch .LBB85_44
.LBB85_40:
	s_mov_b32 s3, s2
	v_pk_mov_b32 v[4:5], s[2:3], s[2:3] op_sel:[0,1]
                                        ; implicit-def: $vgpr6
	v_mov_b32_e32 v3, v1
	s_and_b32 s8, s30, 3
	s_cmp_eq_u32 s8, 0
	s_cbranch_scc1 .LBB85_38
.LBB85_41:
	s_lshl_b32 s3, s2, 3
	s_add_u32 s3, s3, s4
	s_addc_u32 s7, 0, s5
	s_add_u32 s6, s3, 0xc4
	s_addc_u32 s7, s7, 0
	s_mul_i32 s2, s2, 12
	s_add_u32 s2, s4, s2
	s_addc_u32 s3, 0, s5
.LBB85_42:                              ; =>This Inner Loop Header: Depth=1
	s_load_dwordx2 s[10:11], s[2:3], 0x4
	s_load_dword s9, s[2:3], 0xc
	s_load_dwordx2 s[12:13], s[6:7], 0x0
	v_mov_b32_e32 v6, v5
	s_add_u32 s2, s2, 12
	s_waitcnt lgkmcnt(0)
	v_mul_hi_u32 v5, s11, v3
	v_add_u32_e32 v5, v3, v5
	v_lshrrev_b32_e32 v5, s9, v5
	s_addc_u32 s3, s3, 0
	v_mul_lo_u32 v7, v5, s10
	s_add_u32 s6, s6, 8
	v_sub_u32_e32 v9, v3, v7
	s_addc_u32 s7, s7, 0
	s_add_i32 s8, s8, -1
	v_mov_b32_e32 v3, v5
	v_mad_u64_u32 v[6:7], s[10:11], v9, s13, v[6:7]
	v_mad_u64_u32 v[4:5], s[10:11], v9, s12, v[4:5]
	s_cmp_lg_u32 s8, 0
	v_mov_b32_e32 v5, v6
	s_cbranch_scc1 .LBB85_42
; %bb.43:
	v_mov_b32_e32 v6, v5
	s_cbranch_execnz .LBB85_46
.LBB85_44:
	s_load_dwordx4 s[8:11], s[4:5], 0x4
	s_load_dwordx2 s[2:3], s[4:5], 0xc4
	s_cmp_lt_u32 s33, 2
	s_waitcnt lgkmcnt(0)
	v_mul_hi_u32 v3, s9, v1
	v_add_u32_e32 v3, v1, v3
	v_lshrrev_b32_e32 v3, s10, v3
	v_mul_lo_u32 v4, v3, s8
	v_sub_u32_e32 v1, v1, v4
	v_mul_lo_u32 v6, v1, s3
	v_mul_lo_u32 v4, v1, s2
	s_cbranch_scc1 .LBB85_46
; %bb.45:
	s_load_dwordx4 s[8:11], s[4:5], 0x10
	s_load_dwordx2 s[2:3], s[4:5], 0xcc
	s_waitcnt lgkmcnt(0)
	v_mul_hi_u32 v1, s9, v3
	v_add_u32_e32 v1, v3, v1
	v_lshrrev_b32_e32 v1, s10, v1
	v_mul_lo_u32 v1, v1, s8
	v_sub_u32_e32 v1, v3, v1
	v_mad_u64_u32 v[4:5], s[6:7], v1, s2, v[4:5]
	v_mad_u64_u32 v[6:7], s[2:3], v1, s3, v[6:7]
.LBB85_46:
	s_and_b64 vcc, exec, s[0:1]
	v_add_u32_e32 v1, 0x100, v8
	s_cbranch_vccnz .LBB85_53
; %bb.47:
	s_mov_b32 s2, 0
	s_cmp_lg_u32 s33, 0
	v_mov_b32_e32 v10, 0
	v_mov_b32_e32 v8, 0
	s_cbranch_scc0 .LBB85_52
; %bb.48:
	s_min_u32 s30, s56, 15
	s_add_i32 s30, s30, 1
	s_cmp_eq_u32 s56, 2
	s_cbranch_scc1 .LBB85_54
; %bb.49:
	s_add_u32 s6, s4, 0xc4
	s_addc_u32 s7, s5, 0
	s_and_b32 s2, s30, 28
	s_mov_b32 s3, 0
	v_mov_b32_e32 v8, 0
	s_mov_b64 s[28:29], s[4:5]
	v_mov_b32_e32 v3, v1
	v_mov_b32_e32 v10, 0
.LBB85_50:                              ; =>This Inner Loop Header: Depth=1
	s_load_dwordx8 s[16:23], s[28:29], 0x4
	s_load_dwordx4 s[24:27], s[28:29], 0x24
	s_load_dwordx8 s[8:15], s[6:7], 0x0
	s_add_u32 s28, s28, 48
	s_addc_u32 s29, s29, 0
	s_waitcnt lgkmcnt(0)
	v_mul_hi_u32 v5, s17, v3
	v_add_u32_e32 v5, v3, v5
	v_lshrrev_b32_e32 v5, s18, v5
	v_mul_lo_u32 v7, v5, s16
	v_mul_hi_u32 v9, s20, v5
	v_sub_u32_e32 v3, v3, v7
	v_add_u32_e32 v7, v5, v9
	v_lshrrev_b32_e32 v7, s21, v7
	v_mul_lo_u32 v11, v7, s19
	v_mul_hi_u32 v12, s23, v7
	v_sub_u32_e32 v5, v5, v11
	v_add_u32_e32 v11, v7, v12
	v_mul_lo_u32 v9, v3, s9
	v_mul_lo_u32 v3, v3, s8
	;; [unrolled: 1-line block ×4, first 2 shown]
	v_lshrrev_b32_e32 v11, s24, v11
	v_add3_u32 v5, v3, v8, v5
	v_add3_u32 v8, v9, v10, v12
	v_mul_lo_u32 v3, v11, s22
	v_mul_hi_u32 v9, s26, v11
	v_sub_u32_e32 v3, v7, v3
	v_add_u32_e32 v7, v11, v9
	v_mul_lo_u32 v9, v3, s12
	v_mul_lo_u32 v10, v3, s13
	v_lshrrev_b32_e32 v3, s27, v7
	s_add_i32 s3, s3, 4
	v_mul_lo_u32 v7, v3, s25
	s_add_u32 s6, s6, 32
	v_sub_u32_e32 v7, v11, v7
	s_addc_u32 s7, s7, 0
	v_mul_lo_u32 v11, v7, s14
	v_mul_lo_u32 v7, v7, s15
	s_cmp_lg_u32 s2, s3
	v_add3_u32 v10, v10, v8, v7
	v_add3_u32 v8, v9, v5, v11
	s_cbranch_scc1 .LBB85_50
; %bb.51:
	v_mov_b32_e32 v9, v10
	s_and_b32 s8, s30, 3
	s_cmp_eq_u32 s8, 0
	s_cbranch_scc0 .LBB85_55
.LBB85_52:
	s_cbranch_execz .LBB85_58
	s_branch .LBB85_60
.LBB85_53:
                                        ; implicit-def: $vgpr10
                                        ; implicit-def: $vgpr8
	s_branch .LBB85_58
.LBB85_54:
	s_mov_b32 s3, s2
	v_pk_mov_b32 v[8:9], s[2:3], s[2:3] op_sel:[0,1]
                                        ; implicit-def: $vgpr10
	v_mov_b32_e32 v3, v1
	s_and_b32 s8, s30, 3
	s_cmp_eq_u32 s8, 0
	s_cbranch_scc1 .LBB85_52
.LBB85_55:
	s_lshl_b32 s3, s2, 3
	s_add_u32 s3, s3, s4
	s_addc_u32 s7, 0, s5
	s_add_u32 s6, s3, 0xc4
	s_addc_u32 s7, s7, 0
	s_mul_i32 s2, s2, 12
	s_add_u32 s2, s4, s2
	s_addc_u32 s3, 0, s5
.LBB85_56:                              ; =>This Inner Loop Header: Depth=1
	s_load_dwordx2 s[10:11], s[2:3], 0x4
	s_load_dword s9, s[2:3], 0xc
	s_load_dwordx2 s[12:13], s[6:7], 0x0
	s_add_u32 s2, s2, 12
	s_addc_u32 s3, s3, 0
	s_waitcnt lgkmcnt(0)
	v_mul_hi_u32 v5, s11, v3
	v_add_u32_e32 v5, v3, v5
	v_lshrrev_b32_e32 v5, s9, v5
	v_mul_lo_u32 v7, v5, s10
	v_mov_b32_e32 v10, v9
	s_add_u32 s6, s6, 8
	v_sub_u32_e32 v7, v3, v7
	s_addc_u32 s7, s7, 0
	s_add_i32 s8, s8, -1
	v_mad_u64_u32 v[10:11], s[10:11], v7, s13, v[10:11]
	v_mad_u64_u32 v[8:9], s[10:11], v7, s12, v[8:9]
	s_cmp_lg_u32 s8, 0
	v_mov_b32_e32 v3, v5
	v_mov_b32_e32 v9, v10
	s_cbranch_scc1 .LBB85_56
; %bb.57:
	v_mov_b32_e32 v10, v9
	s_cbranch_execnz .LBB85_60
.LBB85_58:
	s_load_dwordx4 s[8:11], s[4:5], 0x4
	s_load_dwordx2 s[2:3], s[4:5], 0xc4
	s_cmp_lt_u32 s33, 2
	s_waitcnt lgkmcnt(0)
	v_mul_hi_u32 v3, s9, v1
	v_add_u32_e32 v3, v1, v3
	v_lshrrev_b32_e32 v3, s10, v3
	v_mul_lo_u32 v5, v3, s8
	v_sub_u32_e32 v1, v1, v5
	v_mul_lo_u32 v10, v1, s3
	v_mul_lo_u32 v8, v1, s2
	s_cbranch_scc1 .LBB85_60
; %bb.59:
	s_load_dwordx4 s[8:11], s[4:5], 0x10
	s_load_dwordx2 s[2:3], s[4:5], 0xcc
	s_waitcnt lgkmcnt(0)
	v_mul_hi_u32 v1, s9, v3
	v_add_u32_e32 v1, v3, v1
	v_lshrrev_b32_e32 v1, s10, v1
	v_mul_lo_u32 v1, v1, s8
	v_sub_u32_e32 v1, v3, v1
	v_mad_u64_u32 v[8:9], s[6:7], v1, s2, v[8:9]
	v_mad_u64_u32 v[10:11], s[2:3], v1, s3, v[10:11]
.LBB85_60:
	s_and_b64 vcc, exec, s[0:1]
	s_cbranch_vccnz .LBB85_67
; %bb.61:
	s_mov_b32 s6, 0
	s_cmp_lg_u32 s33, 0
	v_mov_b32_e32 v14, 0
	v_mov_b32_e32 v12, 0
	s_cbranch_scc0 .LBB85_66
; %bb.62:
	s_min_u32 s28, s56, 15
	s_add_i32 s28, s28, 1
	s_cmp_eq_u32 s56, 2
	s_cbranch_scc1 .LBB85_68
; %bb.63:
	s_add_u32 s24, s4, 0xc4
	s_addc_u32 s25, s5, 0
	s_and_b32 s6, s28, 28
	s_mov_b32 s7, 0
	v_mov_b32_e32 v12, 0
	s_mov_b64 s[26:27], s[4:5]
	v_mov_b32_e32 v1, v15
	v_mov_b32_e32 v14, 0
.LBB85_64:                              ; =>This Inner Loop Header: Depth=1
	s_load_dwordx8 s[16:23], s[26:27], 0x4
	s_load_dwordx4 s[0:3], s[26:27], 0x24
	s_load_dwordx8 s[8:15], s[24:25], 0x0
	s_add_u32 s26, s26, 48
	s_addc_u32 s27, s27, 0
	s_waitcnt lgkmcnt(0)
	v_mul_hi_u32 v3, s17, v1
	v_add_u32_e32 v3, v1, v3
	v_lshrrev_b32_e32 v3, s18, v3
	v_mul_lo_u32 v5, v3, s16
	v_mul_hi_u32 v7, s20, v3
	v_sub_u32_e32 v1, v1, v5
	v_add_u32_e32 v5, v3, v7
	v_lshrrev_b32_e32 v5, s21, v5
	v_mul_lo_u32 v9, v5, s19
	v_mul_hi_u32 v11, s23, v5
	v_sub_u32_e32 v3, v3, v9
	v_add_u32_e32 v9, v5, v11
	v_mul_lo_u32 v7, v1, s9
	v_mul_lo_u32 v1, v1, s8
	;; [unrolled: 1-line block ×4, first 2 shown]
	v_lshrrev_b32_e32 v9, s0, v9
	v_add3_u32 v3, v1, v12, v3
	v_add3_u32 v7, v7, v14, v11
	v_mul_lo_u32 v1, v9, s22
	v_mul_hi_u32 v11, s2, v9
	v_sub_u32_e32 v1, v5, v1
	v_add_u32_e32 v5, v9, v11
	v_mul_lo_u32 v11, v1, s12
	v_mul_lo_u32 v12, v1, s13
	v_lshrrev_b32_e32 v1, s3, v5
	s_add_i32 s7, s7, 4
	v_mul_lo_u32 v5, v1, s1
	s_add_u32 s24, s24, 32
	v_sub_u32_e32 v5, v9, v5
	s_addc_u32 s25, s25, 0
	v_mul_lo_u32 v9, v5, s14
	v_mul_lo_u32 v5, v5, s15
	s_cmp_lg_u32 s6, s7
	v_add3_u32 v14, v12, v7, v5
	v_add3_u32 v12, v11, v3, v9
	s_cbranch_scc1 .LBB85_64
; %bb.65:
	v_mov_b32_e32 v13, v14
	s_and_b32 s7, s28, 3
	s_cmp_eq_u32 s7, 0
	s_cbranch_scc0 .LBB85_69
.LBB85_66:
	s_cbranch_execz .LBB85_72
	s_branch .LBB85_74
.LBB85_67:
                                        ; implicit-def: $vgpr14
                                        ; implicit-def: $vgpr12
	s_branch .LBB85_72
.LBB85_68:
	s_mov_b32 s7, s6
	v_pk_mov_b32 v[12:13], s[6:7], s[6:7] op_sel:[0,1]
                                        ; implicit-def: $vgpr14
	v_mov_b32_e32 v1, v15
	s_and_b32 s7, s28, 3
	s_cmp_eq_u32 s7, 0
	s_cbranch_scc1 .LBB85_66
.LBB85_69:
	s_lshl_b32 s0, s6, 3
	s_add_u32 s0, s0, s4
	s_addc_u32 s1, 0, s5
	s_add_u32 s0, s0, 0xc4
	s_addc_u32 s1, s1, 0
	s_mul_i32 s2, s6, 12
	s_add_u32 s2, s4, s2
	s_addc_u32 s3, 0, s5
.LBB85_70:                              ; =>This Inner Loop Header: Depth=1
	s_load_dwordx2 s[8:9], s[2:3], 0x4
	s_load_dword s6, s[2:3], 0xc
	s_load_dwordx2 s[10:11], s[0:1], 0x0
	s_add_u32 s2, s2, 12
	s_addc_u32 s3, s3, 0
	s_waitcnt lgkmcnt(0)
	v_mul_hi_u32 v3, s9, v1
	v_add_u32_e32 v3, v1, v3
	v_lshrrev_b32_e32 v3, s6, v3
	v_mul_lo_u32 v5, v3, s8
	v_mov_b32_e32 v14, v13
	s_add_u32 s0, s0, 8
	v_sub_u32_e32 v5, v1, v5
	s_addc_u32 s1, s1, 0
	s_add_i32 s7, s7, -1
	v_mad_u64_u32 v[16:17], s[8:9], v5, s11, v[14:15]
	v_mad_u64_u32 v[12:13], s[8:9], v5, s10, v[12:13]
	s_cmp_lg_u32 s7, 0
	v_mov_b32_e32 v1, v3
	v_mov_b32_e32 v13, v16
	s_cbranch_scc1 .LBB85_70
; %bb.71:
	v_mov_b32_e32 v14, v13
	s_cbranch_execnz .LBB85_74
.LBB85_72:
	s_load_dwordx4 s[0:3], s[4:5], 0x4
	s_load_dwordx2 s[6:7], s[4:5], 0xc4
	s_cmp_lt_u32 s33, 2
	s_waitcnt lgkmcnt(0)
	v_mul_hi_u32 v1, s1, v15
	v_add_u32_e32 v1, v15, v1
	v_lshrrev_b32_e32 v1, s2, v1
	v_mul_lo_u32 v3, v1, s0
	v_sub_u32_e32 v3, v15, v3
	v_mul_lo_u32 v14, v3, s7
	v_mul_lo_u32 v12, v3, s6
	s_cbranch_scc1 .LBB85_74
; %bb.73:
	s_load_dwordx4 s[0:3], s[4:5], 0x10
	s_load_dwordx2 s[6:7], s[4:5], 0xcc
	s_waitcnt lgkmcnt(0)
	v_mul_hi_u32 v3, s1, v1
	v_add_u32_e32 v3, v1, v3
	v_lshrrev_b32_e32 v3, s2, v3
	v_mul_lo_u32 v3, v3, s0
	v_sub_u32_e32 v1, v1, v3
	v_mad_u64_u32 v[12:13], s[0:1], v1, s6, v[12:13]
	v_mad_u64_u32 v[14:15], s[0:1], v1, s7, v[14:15]
.LBB85_74:
	s_load_dwordx4 s[0:3], s[4:5], 0x148
	s_load_dword s6, s[4:5], 0x15c
	s_waitcnt lgkmcnt(0)
	global_load_dword v1, v2, s[2:3]
	global_load_dword v3, v6, s[2:3]
	;; [unrolled: 1-line block ×4, first 2 shown]
	s_brev_b32 s2, -2
	v_mov_b32_e32 v2, s6
	s_waitcnt vmcnt(3)
	v_bfi_b32 v1, s2, v1, v2
	s_waitcnt vmcnt(2)
	v_bfi_b32 v3, s2, v3, v2
	;; [unrolled: 2-line block ×4, first 2 shown]
	global_store_dword v0, v1, s[0:1]
	global_store_dword v4, v3, s[0:1]
	;; [unrolled: 1-line block ×4, first 2 shown]
	s_endpgm
.LBB85_75:
	s_mov_b32 s51, s50
	v_pk_mov_b32 v[0:1], s[50:51], s[50:51] op_sel:[0,1]
                                        ; implicit-def: $vgpr2
	v_mov_b32_e32 v3, v8
.LBB85_76:
	s_and_b32 s12, s60, 3
	s_cmp_eq_u32 s12, 0
	s_cbranch_scc1 .LBB85_80
; %bb.77:
	s_lshl_b32 s8, s50, 3
	s_add_u32 s8, s8, s4
	s_addc_u32 s9, s5, 0
	s_add_u32 s8, s8, 0xc4
	s_addc_u32 s9, s9, 0
	s_mul_i32 s10, s50, 12
	s_add_u32 s10, s4, s10
	s_addc_u32 s11, s5, 0
.LBB85_78:                              ; =>This Inner Loop Header: Depth=1
	s_load_dwordx2 s[14:15], s[10:11], 0x4
	s_load_dword s13, s[10:11], 0xc
	s_load_dwordx2 s[16:17], s[8:9], 0x0
	v_mov_b32_e32 v2, v1
	s_add_u32 s10, s10, 12
	s_waitcnt lgkmcnt(0)
	v_mul_hi_u32 v1, s15, v3
	v_add_u32_e32 v1, v3, v1
	v_lshrrev_b32_e32 v1, s13, v1
	s_addc_u32 s11, s11, 0
	v_mul_lo_u32 v4, v1, s14
	s_add_u32 s8, s8, 8
	v_sub_u32_e32 v6, v3, v4
	v_mov_b32_e32 v3, v1
	s_addc_u32 s9, s9, 0
	s_add_i32 s12, s12, -1
	v_mad_u64_u32 v[4:5], s[14:15], v6, s17, v[2:3]
	v_mad_u64_u32 v[0:1], s[14:15], v6, s16, v[0:1]
	s_cmp_lg_u32 s12, 0
	v_mov_b32_e32 v1, v4
	s_cbranch_scc1 .LBB85_78
; %bb.79:
	v_mov_b32_e32 v2, v1
.LBB85_80:
	s_cbranch_execnz .LBB85_83
.LBB85_81:
	s_waitcnt lgkmcnt(0)
	v_mul_hi_u32 v0, s29, v8
	v_add_u32_e32 v0, v8, v0
	v_lshrrev_b32_e32 v1, s30, v0
	v_mul_lo_u32 v0, v1, s28
	v_sub_u32_e32 v0, v8, v0
	v_mul_lo_u32 v2, v0, s25
	s_andn2_b64 vcc, exec, s[42:43]
	v_mul_lo_u32 v0, v0, s24
	s_cbranch_vccnz .LBB85_83
; %bb.82:
	v_mul_hi_u32 v3, s40, v1
	v_add_u32_e32 v3, v1, v3
	v_lshrrev_b32_e32 v3, s41, v3
	v_mul_lo_u32 v3, v3, s31
	v_sub_u32_e32 v3, v1, v3
	v_mad_u64_u32 v[0:1], s[8:9], v3, s26, v[0:1]
	v_mad_u64_u32 v[2:3], s[8:9], v3, s27, v[2:3]
.LBB85_83:
	s_waitcnt lgkmcnt(0)
	global_load_dword v1, v2, s[2:3]
	s_brev_b32 s8, -2
	v_mov_b32_e32 v2, s57
	v_add_u32_e32 v8, 0x80, v8
	s_waitcnt vmcnt(0)
	v_bfi_b32 v1, s8, v1, v2
	global_store_dword v0, v1, s[0:1]
	s_or_b64 exec, exec, s[48:49]
	v_cmp_gt_i32_e32 vcc, s58, v8
	s_and_saveexec_b64 s[48:49], vcc
	s_cbranch_execnz .LBB85_17
.LBB85_84:
	s_or_b64 exec, exec, s[48:49]
	v_cmp_gt_i32_e32 vcc, s58, v8
	s_and_saveexec_b64 s[48:49], vcc
	s_cbranch_execz .LBB85_101
.LBB85_85:
	s_andn2_b64 vcc, exec, s[6:7]
	s_cbranch_vccnz .LBB85_91
; %bb.86:
	s_mov_b32 s50, 0
	s_andn2_b64 vcc, exec, s[46:47]
	v_mov_b32_e32 v2, 0
	v_mov_b32_e32 v0, 0
	s_cbranch_vccnz .LBB85_109
; %bb.87:
	s_add_i32 s60, s59, 1
	s_cmp_eq_u32 s56, 2
	s_cbranch_scc1 .LBB85_104
; %bb.88:
	s_and_b32 s50, s60, 28
	s_mov_b32 s51, 0
	v_mov_b32_e32 v0, 0
	s_mov_b64 s[52:53], s[4:5]
	s_mov_b64 s[54:55], s[44:45]
	v_mov_b32_e32 v3, v8
	v_mov_b32_e32 v2, 0
.LBB85_89:                              ; =>This Inner Loop Header: Depth=1
	s_load_dwordx8 s[16:23], s[52:53], 0x4
	s_load_dwordx4 s[36:39], s[52:53], 0x24
	s_load_dwordx8 s[8:15], s[54:55], 0x0
	s_add_u32 s52, s52, 48
	s_addc_u32 s53, s53, 0
	s_waitcnt lgkmcnt(0)
	v_mul_hi_u32 v1, s17, v3
	v_add_u32_e32 v1, v3, v1
	v_lshrrev_b32_e32 v1, s18, v1
	v_mul_lo_u32 v4, v1, s16
	v_mul_hi_u32 v5, s20, v1
	v_sub_u32_e32 v3, v3, v4
	v_add_u32_e32 v4, v1, v5
	v_lshrrev_b32_e32 v4, s21, v4
	v_mul_lo_u32 v6, v4, s19
	v_mul_hi_u32 v7, s23, v4
	v_sub_u32_e32 v1, v1, v6
	v_add_u32_e32 v6, v4, v7
	v_mul_lo_u32 v5, v3, s9
	v_mul_lo_u32 v3, v3, s8
	;; [unrolled: 1-line block ×4, first 2 shown]
	v_lshrrev_b32_e32 v6, s36, v6
	v_add3_u32 v0, v3, v0, v1
	v_mul_hi_u32 v3, s38, v6
	v_add_u32_e32 v3, v6, v3
	v_lshrrev_b32_e32 v3, s39, v3
	s_add_i32 s51, s51, 4
	v_add3_u32 v1, v5, v2, v7
	v_mul_lo_u32 v2, v6, s22
	v_mul_lo_u32 v5, v3, s37
	s_add_u32 s54, s54, 32
	v_sub_u32_e32 v2, v4, v2
	v_sub_u32_e32 v5, v6, v5
	s_addc_u32 s55, s55, 0
	v_mul_lo_u32 v4, v2, s12
	v_mul_lo_u32 v2, v2, s13
	;; [unrolled: 1-line block ×4, first 2 shown]
	s_cmp_eq_u32 s50, s51
	v_add3_u32 v2, v2, v1, v5
	v_add3_u32 v0, v4, v0, v6
	s_cbranch_scc0 .LBB85_89
; %bb.90:
	v_mov_b32_e32 v1, v2
	s_branch .LBB85_105
.LBB85_91:
                                        ; implicit-def: $vgpr2
                                        ; implicit-def: $vgpr0
	s_branch .LBB85_110
.LBB85_92:
	s_mov_b32 s51, s50
	v_pk_mov_b32 v[0:1], s[50:51], s[50:51] op_sel:[0,1]
                                        ; implicit-def: $vgpr2
	v_mov_b32_e32 v3, v8
.LBB85_93:
	s_and_b32 s12, s60, 3
	s_cmp_eq_u32 s12, 0
	s_cbranch_scc1 .LBB85_97
; %bb.94:
	s_lshl_b32 s8, s50, 3
	s_add_u32 s8, s8, s4
	s_addc_u32 s9, s5, 0
	s_add_u32 s8, s8, 0xc4
	s_addc_u32 s9, s9, 0
	s_mul_i32 s10, s50, 12
	s_add_u32 s10, s4, s10
	s_addc_u32 s11, s5, 0
.LBB85_95:                              ; =>This Inner Loop Header: Depth=1
	s_load_dwordx2 s[14:15], s[10:11], 0x4
	s_load_dword s13, s[10:11], 0xc
	s_load_dwordx2 s[16:17], s[8:9], 0x0
	v_mov_b32_e32 v2, v1
	s_add_u32 s10, s10, 12
	s_waitcnt lgkmcnt(0)
	v_mul_hi_u32 v1, s15, v3
	v_add_u32_e32 v1, v3, v1
	v_lshrrev_b32_e32 v1, s13, v1
	s_addc_u32 s11, s11, 0
	v_mul_lo_u32 v4, v1, s14
	s_add_u32 s8, s8, 8
	v_sub_u32_e32 v6, v3, v4
	v_mov_b32_e32 v3, v1
	s_addc_u32 s9, s9, 0
	s_add_i32 s12, s12, -1
	v_mad_u64_u32 v[4:5], s[14:15], v6, s17, v[2:3]
	v_mad_u64_u32 v[0:1], s[14:15], v6, s16, v[0:1]
	s_cmp_lg_u32 s12, 0
	v_mov_b32_e32 v1, v4
	s_cbranch_scc1 .LBB85_95
; %bb.96:
	v_mov_b32_e32 v2, v1
.LBB85_97:
	s_cbranch_execnz .LBB85_100
.LBB85_98:
	s_waitcnt lgkmcnt(0)
	v_mul_hi_u32 v0, s29, v8
	v_add_u32_e32 v0, v8, v0
	v_lshrrev_b32_e32 v1, s30, v0
	v_mul_lo_u32 v0, v1, s28
	v_sub_u32_e32 v0, v8, v0
	v_mul_lo_u32 v2, v0, s25
	s_andn2_b64 vcc, exec, s[42:43]
	v_mul_lo_u32 v0, v0, s24
	s_cbranch_vccnz .LBB85_100
; %bb.99:
	v_mul_hi_u32 v3, s40, v1
	v_add_u32_e32 v3, v1, v3
	v_lshrrev_b32_e32 v3, s41, v3
	v_mul_lo_u32 v3, v3, s31
	v_sub_u32_e32 v3, v1, v3
	v_mad_u64_u32 v[0:1], s[8:9], v3, s26, v[0:1]
	v_mad_u64_u32 v[2:3], s[8:9], v3, s27, v[2:3]
.LBB85_100:
	s_waitcnt lgkmcnt(0)
	global_load_dword v1, v2, s[2:3]
	s_brev_b32 s8, -2
	v_mov_b32_e32 v2, s57
	v_add_u32_e32 v8, 0x80, v8
	s_waitcnt vmcnt(0)
	v_bfi_b32 v1, s8, v1, v2
	global_store_dword v0, v1, s[0:1]
	s_or_b64 exec, exec, s[48:49]
	v_cmp_gt_i32_e32 vcc, s58, v8
	s_and_saveexec_b64 s[48:49], vcc
	s_cbranch_execnz .LBB85_85
.LBB85_101:
	s_or_b64 exec, exec, s[48:49]
	v_cmp_gt_i32_e32 vcc, s58, v8
	s_and_saveexec_b64 s[48:49], vcc
	s_cbranch_execnz .LBB85_113
.LBB85_102:
	s_or_b64 exec, exec, s[48:49]
                                        ; implicit-def: $vgpr15
                                        ; implicit-def: $vgpr8
	s_waitcnt lgkmcnt(0)
	s_andn2_saveexec_b64 s[0:1], s[34:35]
	s_cbranch_execnz .LBB85_9
.LBB85_103:
	s_endpgm
.LBB85_104:
	s_mov_b32 s51, s50
	v_pk_mov_b32 v[0:1], s[50:51], s[50:51] op_sel:[0,1]
                                        ; implicit-def: $vgpr2
	v_mov_b32_e32 v3, v8
.LBB85_105:
	s_and_b32 s12, s60, 3
	s_cmp_eq_u32 s12, 0
	s_cbranch_scc1 .LBB85_109
; %bb.106:
	s_lshl_b32 s8, s50, 3
	s_add_u32 s8, s8, s4
	s_addc_u32 s9, s5, 0
	s_add_u32 s8, s8, 0xc4
	s_addc_u32 s9, s9, 0
	s_mul_i32 s10, s50, 12
	s_add_u32 s10, s4, s10
	s_addc_u32 s11, s5, 0
.LBB85_107:                             ; =>This Inner Loop Header: Depth=1
	s_load_dwordx2 s[14:15], s[10:11], 0x4
	s_load_dword s13, s[10:11], 0xc
	s_load_dwordx2 s[16:17], s[8:9], 0x0
	v_mov_b32_e32 v2, v1
	s_add_u32 s10, s10, 12
	s_waitcnt lgkmcnt(0)
	v_mul_hi_u32 v1, s15, v3
	v_add_u32_e32 v1, v3, v1
	v_lshrrev_b32_e32 v1, s13, v1
	s_addc_u32 s11, s11, 0
	v_mul_lo_u32 v4, v1, s14
	s_add_u32 s8, s8, 8
	v_sub_u32_e32 v6, v3, v4
	v_mov_b32_e32 v3, v1
	s_addc_u32 s9, s9, 0
	s_add_i32 s12, s12, -1
	v_mad_u64_u32 v[4:5], s[14:15], v6, s17, v[2:3]
	v_mad_u64_u32 v[0:1], s[14:15], v6, s16, v[0:1]
	s_cmp_lg_u32 s12, 0
	v_mov_b32_e32 v1, v4
	s_cbranch_scc1 .LBB85_107
; %bb.108:
	v_mov_b32_e32 v2, v1
.LBB85_109:
	s_cbranch_execnz .LBB85_112
.LBB85_110:
	s_waitcnt lgkmcnt(0)
	v_mul_hi_u32 v0, s29, v8
	v_add_u32_e32 v0, v8, v0
	v_lshrrev_b32_e32 v1, s30, v0
	v_mul_lo_u32 v0, v1, s28
	v_sub_u32_e32 v0, v8, v0
	v_mul_lo_u32 v2, v0, s25
	s_andn2_b64 vcc, exec, s[42:43]
	v_mul_lo_u32 v0, v0, s24
	s_cbranch_vccnz .LBB85_112
; %bb.111:
	v_mul_hi_u32 v3, s40, v1
	v_add_u32_e32 v3, v1, v3
	v_lshrrev_b32_e32 v3, s41, v3
	v_mul_lo_u32 v3, v3, s31
	v_sub_u32_e32 v3, v1, v3
	v_mad_u64_u32 v[0:1], s[8:9], v3, s26, v[0:1]
	v_mad_u64_u32 v[2:3], s[8:9], v3, s27, v[2:3]
.LBB85_112:
	s_waitcnt lgkmcnt(0)
	global_load_dword v1, v2, s[2:3]
	s_brev_b32 s8, -2
	v_mov_b32_e32 v2, s57
	v_add_u32_e32 v8, 0x80, v8
	s_waitcnt vmcnt(0)
	v_bfi_b32 v1, s8, v1, v2
	global_store_dword v0, v1, s[0:1]
	s_or_b64 exec, exec, s[48:49]
	v_cmp_gt_i32_e32 vcc, s58, v8
	s_and_saveexec_b64 s[48:49], vcc
	s_cbranch_execz .LBB85_102
.LBB85_113:
	s_andn2_b64 vcc, exec, s[6:7]
	s_cbranch_vccnz .LBB85_119
; %bb.114:
	s_mov_b32 s50, 0
	s_andn2_b64 vcc, exec, s[46:47]
	v_mov_b32_e32 v2, 0
	v_mov_b32_e32 v0, 0
	s_cbranch_vccnz .LBB85_125
; %bb.115:
	s_add_i32 s59, s59, 1
	s_cmp_eq_u32 s56, 2
	s_cbranch_scc1 .LBB85_120
; %bb.116:
	s_and_b32 s50, s59, 28
	s_mov_b32 s51, 0
	v_mov_b32_e32 v0, 0
	s_mov_b64 s[46:47], s[4:5]
	v_mov_b32_e32 v3, v8
	v_mov_b32_e32 v2, 0
.LBB85_117:                             ; =>This Inner Loop Header: Depth=1
	s_load_dwordx8 s[16:23], s[46:47], 0x4
	s_load_dwordx4 s[36:39], s[46:47], 0x24
	s_load_dwordx8 s[8:15], s[44:45], 0x0
	s_add_u32 s46, s46, 48
	s_addc_u32 s47, s47, 0
	s_waitcnt lgkmcnt(0)
	v_mul_hi_u32 v1, s17, v3
	v_add_u32_e32 v1, v3, v1
	v_lshrrev_b32_e32 v1, s18, v1
	v_mul_lo_u32 v4, v1, s16
	v_mul_hi_u32 v5, s20, v1
	v_sub_u32_e32 v3, v3, v4
	v_add_u32_e32 v4, v1, v5
	v_lshrrev_b32_e32 v4, s21, v4
	v_mul_lo_u32 v6, v4, s19
	v_mul_hi_u32 v7, s23, v4
	v_sub_u32_e32 v1, v1, v6
	v_add_u32_e32 v6, v4, v7
	v_mul_lo_u32 v5, v3, s9
	v_mul_lo_u32 v3, v3, s8
	;; [unrolled: 1-line block ×4, first 2 shown]
	v_lshrrev_b32_e32 v6, s36, v6
	v_add3_u32 v0, v3, v0, v1
	v_mul_hi_u32 v3, s38, v6
	v_add_u32_e32 v3, v6, v3
	v_lshrrev_b32_e32 v3, s39, v3
	s_add_i32 s51, s51, 4
	v_add3_u32 v1, v5, v2, v7
	v_mul_lo_u32 v2, v6, s22
	v_mul_lo_u32 v5, v3, s37
	s_add_u32 s44, s44, 32
	v_sub_u32_e32 v2, v4, v2
	v_sub_u32_e32 v5, v6, v5
	s_addc_u32 s45, s45, 0
	v_mul_lo_u32 v4, v2, s12
	v_mul_lo_u32 v2, v2, s13
	;; [unrolled: 1-line block ×4, first 2 shown]
	s_cmp_eq_u32 s50, s51
	v_add3_u32 v2, v2, v1, v5
	v_add3_u32 v0, v4, v0, v6
	s_cbranch_scc0 .LBB85_117
; %bb.118:
	v_mov_b32_e32 v1, v2
	s_branch .LBB85_121
.LBB85_119:
                                        ; implicit-def: $vgpr2
                                        ; implicit-def: $vgpr0
	s_branch .LBB85_126
.LBB85_120:
	s_mov_b32 s51, s50
	v_pk_mov_b32 v[0:1], s[50:51], s[50:51] op_sel:[0,1]
                                        ; implicit-def: $vgpr2
	v_mov_b32_e32 v3, v8
.LBB85_121:
	s_and_b32 s12, s59, 3
	s_cmp_eq_u32 s12, 0
	s_cbranch_scc1 .LBB85_125
; %bb.122:
	s_lshl_b32 s8, s50, 3
	s_add_u32 s8, s8, s4
	s_addc_u32 s9, s5, 0
	s_add_u32 s8, s8, 0xc4
	s_addc_u32 s9, s9, 0
	s_mul_i32 s10, s50, 12
	s_add_u32 s10, s4, s10
	s_addc_u32 s11, s5, 0
.LBB85_123:                             ; =>This Inner Loop Header: Depth=1
	s_load_dwordx2 s[14:15], s[10:11], 0x4
	s_load_dword s13, s[10:11], 0xc
	s_load_dwordx2 s[16:17], s[8:9], 0x0
	v_mov_b32_e32 v2, v1
	s_add_u32 s10, s10, 12
	s_waitcnt lgkmcnt(0)
	v_mul_hi_u32 v1, s15, v3
	v_add_u32_e32 v1, v3, v1
	v_lshrrev_b32_e32 v1, s13, v1
	s_addc_u32 s11, s11, 0
	v_mul_lo_u32 v4, v1, s14
	s_add_u32 s8, s8, 8
	v_sub_u32_e32 v6, v3, v4
	v_mov_b32_e32 v3, v1
	s_addc_u32 s9, s9, 0
	s_add_i32 s12, s12, -1
	v_mad_u64_u32 v[4:5], s[14:15], v6, s17, v[2:3]
	v_mad_u64_u32 v[0:1], s[14:15], v6, s16, v[0:1]
	s_cmp_lg_u32 s12, 0
	v_mov_b32_e32 v1, v4
	s_cbranch_scc1 .LBB85_123
; %bb.124:
	v_mov_b32_e32 v2, v1
.LBB85_125:
	s_cbranch_execnz .LBB85_128
.LBB85_126:
	s_waitcnt lgkmcnt(0)
	v_mul_hi_u32 v0, s29, v8
	v_add_u32_e32 v0, v8, v0
	v_lshrrev_b32_e32 v1, s30, v0
	v_mul_lo_u32 v0, v1, s28
	v_sub_u32_e32 v0, v8, v0
	v_mul_lo_u32 v2, v0, s25
	s_andn2_b64 vcc, exec, s[42:43]
	v_mul_lo_u32 v0, v0, s24
	s_cbranch_vccnz .LBB85_128
; %bb.127:
	v_mul_hi_u32 v3, s40, v1
	v_add_u32_e32 v3, v1, v3
	v_lshrrev_b32_e32 v3, s41, v3
	v_mul_lo_u32 v3, v3, s31
	v_sub_u32_e32 v3, v1, v3
	v_mad_u64_u32 v[0:1], s[8:9], v3, s26, v[0:1]
	v_mad_u64_u32 v[2:3], s[8:9], v3, s27, v[2:3]
.LBB85_128:
	s_waitcnt lgkmcnt(0)
	global_load_dword v1, v2, s[2:3]
	s_brev_b32 s2, -2
	v_mov_b32_e32 v2, s57
	s_waitcnt vmcnt(0)
	v_bfi_b32 v1, s2, v1, v2
	global_store_dword v0, v1, s[0:1]
	s_or_b64 exec, exec, s[48:49]
                                        ; implicit-def: $vgpr15
                                        ; implicit-def: $vgpr8
	s_andn2_saveexec_b64 s[0:1], s[34:35]
	s_cbranch_execz .LBB85_103
	s_branch .LBB85_9
	.section	.rodata,"a",@progbits
	.p2align	6, 0x0
	.amdhsa_kernel _ZN2at6native32elementwise_kernel_manual_unrollILi128ELi4EZNS0_22gpu_kernel_impl_nocastINS0_13BUnaryFunctorIfffZZZNS0_20copysign_kernel_cudaERNS_18TensorIteratorBaseEENKUlvE_clEvENKUlvE0_clEvEUlffE_EEEEvS5_RKT_EUlibE_EEviT1_
		.amdhsa_group_segment_fixed_size 0
		.amdhsa_private_segment_fixed_size 0
		.amdhsa_kernarg_size 360
		.amdhsa_user_sgpr_count 6
		.amdhsa_user_sgpr_private_segment_buffer 1
		.amdhsa_user_sgpr_dispatch_ptr 0
		.amdhsa_user_sgpr_queue_ptr 0
		.amdhsa_user_sgpr_kernarg_segment_ptr 1
		.amdhsa_user_sgpr_dispatch_id 0
		.amdhsa_user_sgpr_flat_scratch_init 0
		.amdhsa_user_sgpr_kernarg_preload_length 0
		.amdhsa_user_sgpr_kernarg_preload_offset 0
		.amdhsa_user_sgpr_private_segment_size 0
		.amdhsa_uses_dynamic_stack 0
		.amdhsa_system_sgpr_private_segment_wavefront_offset 0
		.amdhsa_system_sgpr_workgroup_id_x 1
		.amdhsa_system_sgpr_workgroup_id_y 0
		.amdhsa_system_sgpr_workgroup_id_z 0
		.amdhsa_system_sgpr_workgroup_info 0
		.amdhsa_system_vgpr_workitem_id 0
		.amdhsa_next_free_vgpr 18
		.amdhsa_next_free_sgpr 61
		.amdhsa_accum_offset 20
		.amdhsa_reserve_vcc 1
		.amdhsa_reserve_flat_scratch 0
		.amdhsa_float_round_mode_32 0
		.amdhsa_float_round_mode_16_64 0
		.amdhsa_float_denorm_mode_32 3
		.amdhsa_float_denorm_mode_16_64 3
		.amdhsa_dx10_clamp 1
		.amdhsa_ieee_mode 1
		.amdhsa_fp16_overflow 0
		.amdhsa_tg_split 0
		.amdhsa_exception_fp_ieee_invalid_op 0
		.amdhsa_exception_fp_denorm_src 0
		.amdhsa_exception_fp_ieee_div_zero 0
		.amdhsa_exception_fp_ieee_overflow 0
		.amdhsa_exception_fp_ieee_underflow 0
		.amdhsa_exception_fp_ieee_inexact 0
		.amdhsa_exception_int_div_zero 0
	.end_amdhsa_kernel
	.section	.text._ZN2at6native32elementwise_kernel_manual_unrollILi128ELi4EZNS0_22gpu_kernel_impl_nocastINS0_13BUnaryFunctorIfffZZZNS0_20copysign_kernel_cudaERNS_18TensorIteratorBaseEENKUlvE_clEvENKUlvE0_clEvEUlffE_EEEEvS5_RKT_EUlibE_EEviT1_,"axG",@progbits,_ZN2at6native32elementwise_kernel_manual_unrollILi128ELi4EZNS0_22gpu_kernel_impl_nocastINS0_13BUnaryFunctorIfffZZZNS0_20copysign_kernel_cudaERNS_18TensorIteratorBaseEENKUlvE_clEvENKUlvE0_clEvEUlffE_EEEEvS5_RKT_EUlibE_EEviT1_,comdat
.Lfunc_end85:
	.size	_ZN2at6native32elementwise_kernel_manual_unrollILi128ELi4EZNS0_22gpu_kernel_impl_nocastINS0_13BUnaryFunctorIfffZZZNS0_20copysign_kernel_cudaERNS_18TensorIteratorBaseEENKUlvE_clEvENKUlvE0_clEvEUlffE_EEEEvS5_RKT_EUlibE_EEviT1_, .Lfunc_end85-_ZN2at6native32elementwise_kernel_manual_unrollILi128ELi4EZNS0_22gpu_kernel_impl_nocastINS0_13BUnaryFunctorIfffZZZNS0_20copysign_kernel_cudaERNS_18TensorIteratorBaseEENKUlvE_clEvENKUlvE0_clEvEUlffE_EEEEvS5_RKT_EUlibE_EEviT1_
                                        ; -- End function
	.section	.AMDGPU.csdata,"",@progbits
; Kernel info:
; codeLenInByte = 5928
; NumSgprs: 65
; NumVgprs: 18
; NumAgprs: 0
; TotalNumVgprs: 18
; ScratchSize: 0
; MemoryBound: 0
; FloatMode: 240
; IeeeMode: 1
; LDSByteSize: 0 bytes/workgroup (compile time only)
; SGPRBlocks: 8
; VGPRBlocks: 2
; NumSGPRsForWavesPerEU: 65
; NumVGPRsForWavesPerEU: 18
; AccumOffset: 20
; Occupancy: 8
; WaveLimiterHint : 1
; COMPUTE_PGM_RSRC2:SCRATCH_EN: 0
; COMPUTE_PGM_RSRC2:USER_SGPR: 6
; COMPUTE_PGM_RSRC2:TRAP_HANDLER: 0
; COMPUTE_PGM_RSRC2:TGID_X_EN: 1
; COMPUTE_PGM_RSRC2:TGID_Y_EN: 0
; COMPUTE_PGM_RSRC2:TGID_Z_EN: 0
; COMPUTE_PGM_RSRC2:TIDIG_COMP_CNT: 0
; COMPUTE_PGM_RSRC3_GFX90A:ACCUM_OFFSET: 4
; COMPUTE_PGM_RSRC3_GFX90A:TG_SPLIT: 0
	.section	.text._ZN2at6native32elementwise_kernel_manual_unrollILi128ELi4EZNS0_15gpu_kernel_implINS0_13BUnaryFunctorIfffZZZNS0_20copysign_kernel_cudaERNS_18TensorIteratorBaseEENKUlvE_clEvENKUlvE0_clEvEUlffE_EEEEvS5_RKT_EUlibE_EEviT1_,"axG",@progbits,_ZN2at6native32elementwise_kernel_manual_unrollILi128ELi4EZNS0_15gpu_kernel_implINS0_13BUnaryFunctorIfffZZZNS0_20copysign_kernel_cudaERNS_18TensorIteratorBaseEENKUlvE_clEvENKUlvE0_clEvEUlffE_EEEEvS5_RKT_EUlibE_EEviT1_,comdat
	.globl	_ZN2at6native32elementwise_kernel_manual_unrollILi128ELi4EZNS0_15gpu_kernel_implINS0_13BUnaryFunctorIfffZZZNS0_20copysign_kernel_cudaERNS_18TensorIteratorBaseEENKUlvE_clEvENKUlvE0_clEvEUlffE_EEEEvS5_RKT_EUlibE_EEviT1_ ; -- Begin function _ZN2at6native32elementwise_kernel_manual_unrollILi128ELi4EZNS0_15gpu_kernel_implINS0_13BUnaryFunctorIfffZZZNS0_20copysign_kernel_cudaERNS_18TensorIteratorBaseEENKUlvE_clEvENKUlvE0_clEvEUlffE_EEEEvS5_RKT_EUlibE_EEviT1_
	.p2align	8
	.type	_ZN2at6native32elementwise_kernel_manual_unrollILi128ELi4EZNS0_15gpu_kernel_implINS0_13BUnaryFunctorIfffZZZNS0_20copysign_kernel_cudaERNS_18TensorIteratorBaseEENKUlvE_clEvENKUlvE0_clEvEUlffE_EEEEvS5_RKT_EUlibE_EEviT1_,@function
_ZN2at6native32elementwise_kernel_manual_unrollILi128ELi4EZNS0_15gpu_kernel_implINS0_13BUnaryFunctorIfffZZZNS0_20copysign_kernel_cudaERNS_18TensorIteratorBaseEENKUlvE_clEvENKUlvE0_clEvEUlffE_EEEEvS5_RKT_EUlibE_EEviT1_: ; @_ZN2at6native32elementwise_kernel_manual_unrollILi128ELi4EZNS0_15gpu_kernel_implINS0_13BUnaryFunctorIfffZZZNS0_20copysign_kernel_cudaERNS_18TensorIteratorBaseEENKUlvE_clEvENKUlvE0_clEvEUlffE_EEEEvS5_RKT_EUlibE_EEviT1_
; %bb.0:
	s_load_dwordx2 s[2:3], s[4:5], 0x24
	s_load_dwordx2 s[12:13], s[4:5], 0x18
	s_load_dword s33, s[4:5], 0x0
	s_load_dwordx4 s[8:11], s[4:5], 0x8
	v_lshl_or_b32 v4, s6, 9, v0
	v_or_b32_e32 v0, 0x180, v4
	s_waitcnt lgkmcnt(0)
	v_lshrrev_b16_e64 v5, 8, s3
	v_cmp_le_i32_e32 vcc, s33, v0
	s_mov_b64 s[4:5], 0
	s_mov_b64 s[14:15], 0
	s_and_saveexec_b64 s[0:1], vcc
	s_xor_b64 s[6:7], exec, s[0:1]
	s_cbranch_execz .LBB86_1027
; %bb.1:
	v_cmp_gt_i32_e32 vcc, s33, v4
	s_mov_b64 s[20:21], -1
	s_mov_b64 s[22:23], 0
	s_mov_b64 s[16:17], 0
	s_and_saveexec_b64 s[18:19], vcc
	s_cbranch_execz .LBB86_252
; %bb.2:
	v_mul_lo_u32 v0, v4, s13
	v_ashrrev_i32_e32 v1, 31, v0
	v_mov_b32_e32 v2, s11
	v_add_co_u32_e32 v0, vcc, s10, v0
	v_addc_co_u32_e32 v1, vcc, v2, v1, vcc
	v_cmp_gt_i16_e32 vcc, 11, v5
	s_cbranch_vccnz .LBB86_9
; %bb.3:
	v_cmp_lt_i16_e32 vcc, 25, v5
	s_cbranch_vccz .LBB86_18
; %bb.4:
	v_cmp_lt_i16_e32 vcc, 28, v5
	s_cbranch_vccz .LBB86_22
	;; [unrolled: 3-line block ×4, first 2 shown]
; %bb.7:
	v_cmp_eq_u16_e32 vcc, 46, v5
	s_cbranch_vccz .LBB86_28
; %bb.8:
	global_load_dword v2, v[0:1], off
	s_mov_b64 s[0:1], -1
	s_waitcnt vmcnt(0)
	v_lshlrev_b32_e32 v3, 16, v2
	s_branch .LBB86_30
.LBB86_9:
                                        ; implicit-def: $vgpr3
	s_mov_b64 s[0:1], 0
	s_cbranch_execnz .LBB86_203
.LBB86_10:
	s_andn2_b64 vcc, exec, s[0:1]
	s_cbranch_vccnz .LBB86_250
.LBB86_11:
	s_brev_b32 s0, -2
	v_mov_b32_e32 v0, s2
	s_waitcnt vmcnt(0)
	v_bfi_b32 v2, s0, v3, v0
	v_mul_lo_u32 v0, v4, s12
	v_ashrrev_i32_e32 v1, 31, v0
	v_mov_b32_e32 v6, s9
	v_add_co_u32_e32 v0, vcc, s8, v0
	v_addc_co_u32_e32 v1, vcc, v6, v1, vcc
	v_mov_b32_e32 v6, 11
	v_cmp_lt_i16_sdwa s[0:1], s3, v6 src0_sel:BYTE_0 src1_sel:DWORD
	s_and_b64 vcc, exec, s[0:1]
	s_cbranch_vccnz .LBB86_19
; %bb.12:
	v_mov_b32_e32 v6, 25
	v_cmp_gt_i16_sdwa s[0:1], s3, v6 src0_sel:BYTE_0 src1_sel:DWORD
	s_and_b64 vcc, exec, s[0:1]
	s_cbranch_vccz .LBB86_23
; %bb.13:
	v_mov_b32_e32 v6, 28
	v_cmp_gt_i16_sdwa s[0:1], s3, v6 src0_sel:BYTE_0 src1_sel:DWORD
	s_and_b64 vcc, exec, s[0:1]
	s_cbranch_vccz .LBB86_25
	;; [unrolled: 5-line block ×4, first 2 shown]
; %bb.16:
	v_mov_b32_e32 v6, 46
	v_cmp_eq_u16_sdwa s[14:15], s3, v6 src0_sel:BYTE_0 src1_sel:DWORD
	s_mov_b64 s[20:21], 0
	s_mov_b64 s[0:1], -1
	s_and_b64 vcc, exec, s[14:15]
	s_mov_b64 s[14:15], 0
	s_cbranch_vccz .LBB86_34
; %bb.17:
	v_bfe_u32 v6, v2, 16, 1
	s_movk_i32 s0, 0x7fff
	v_add3_u32 v6, v2, v6, s0
	v_lshrrev_b32_e32 v6, 16, v6
	v_mov_b32_e32 v7, 0x7fc0
	v_cmp_o_f32_e32 vcc, v2, v2
	v_cndmask_b32_e32 v6, v7, v6, vcc
	global_store_dword v[0:1], v6, off
	s_mov_b64 s[14:15], -1
	s_mov_b64 s[0:1], 0
	s_branch .LBB86_34
.LBB86_18:
	s_mov_b64 s[0:1], 0
                                        ; implicit-def: $vgpr3
	s_cbranch_execnz .LBB86_168
	s_branch .LBB86_202
.LBB86_19:
	s_mov_b64 s[0:1], 0
	s_mov_b64 s[14:15], 0
	s_cbranch_execnz .LBB86_103
.LBB86_20:
	s_andn2_b64 vcc, exec, s[14:15]
	s_cbranch_vccnz .LBB86_141
.LBB86_21:
	v_add_u32_e32 v4, 0x80, v4
	s_mov_b64 s[20:21], -1
	s_branch .LBB86_251
.LBB86_22:
	s_mov_b64 s[14:15], -1
	s_mov_b64 s[0:1], 0
                                        ; implicit-def: $vgpr3
	s_branch .LBB86_149
.LBB86_23:
	s_mov_b64 s[20:21], -1
	s_mov_b64 s[0:1], 0
	s_mov_b64 s[14:15], 0
	s_branch .LBB86_61
.LBB86_24:
	s_mov_b64 s[14:15], -1
	s_mov_b64 s[0:1], 0
                                        ; implicit-def: $vgpr3
	s_branch .LBB86_144
.LBB86_25:
	s_mov_b64 s[20:21], -1
	s_mov_b64 s[0:1], 0
	s_mov_b64 s[14:15], 0
	s_branch .LBB86_44
.LBB86_26:
	s_mov_b64 s[14:15], -1
	s_branch .LBB86_29
.LBB86_27:
	s_mov_b64 s[20:21], -1
	s_mov_b64 s[0:1], 0
	s_mov_b64 s[14:15], 0
	s_branch .LBB86_40
.LBB86_28:
	s_mov_b64 s[16:17], -1
.LBB86_29:
	s_mov_b64 s[0:1], 0
                                        ; implicit-def: $vgpr3
.LBB86_30:
	s_and_b64 vcc, exec, s[14:15]
	s_cbranch_vccz .LBB86_143
; %bb.31:
	v_cmp_eq_u16_e32 vcc, 44, v5
	s_cbranch_vccz .LBB86_142
; %bb.32:
	global_load_ubyte v2, v[0:1], off
	s_movk_i32 s14, 0xff
	v_mov_b32_e32 v3, 0x7f800001
	v_mov_b32_e32 v6, 0x400000
	s_mov_b64 s[0:1], -1
	s_mov_b64 s[16:17], 0
	s_waitcnt vmcnt(0)
	v_lshlrev_b32_e32 v7, 23, v2
	v_cmp_ne_u32_e32 vcc, s14, v2
	v_cndmask_b32_e32 v3, v3, v7, vcc
	v_cmp_ne_u32_e32 vcc, 0, v2
	v_cndmask_b32_e32 v3, v6, v3, vcc
	s_branch .LBB86_143
.LBB86_33:
	s_mov_b64 s[20:21], -1
	s_mov_b64 s[0:1], 0
	s_mov_b64 s[14:15], 0
.LBB86_34:
	s_and_b64 vcc, exec, s[20:21]
	s_cbranch_vccz .LBB86_39
; %bb.35:
	v_mov_b32_e32 v6, 44
	v_cmp_eq_u16_sdwa s[20:21], s3, v6 src0_sel:BYTE_0 src1_sel:DWORD
	s_mov_b64 s[0:1], -1
	s_and_b64 vcc, exec, s[20:21]
	s_cbranch_vccz .LBB86_39
; %bb.36:
	v_bfe_u32 v6, v2, 23, 8
	s_movk_i32 s0, 0xff
	v_cmp_ne_u32_e32 vcc, s0, v6
	v_mov_b32_e32 v7, 0xff
	s_and_saveexec_b64 s[14:15], vcc
; %bb.37:
	s_mov_b32 s0, 0x3fffff
	v_and_b32_e32 v8, 0x400000, v2
	v_and_or_b32 v6, v2, s0, v6
	v_cmp_ne_u32_e32 vcc, 0, v8
	v_cmp_ne_u32_e64 s[0:1], 0, v6
	s_and_b64 s[0:1], vcc, s[0:1]
	v_lshrrev_b32_e32 v7, 23, v2
	v_cndmask_b32_e64 v6, 0, 1, s[0:1]
	v_add_u32_e32 v7, v7, v6
; %bb.38:
	s_or_b64 exec, exec, s[14:15]
	s_mov_b64 s[14:15], -1
	s_mov_b64 s[0:1], 0
	global_store_byte v[0:1], v7, off
.LBB86_39:
	s_mov_b64 s[20:21], 0
.LBB86_40:
	s_and_b64 vcc, exec, s[20:21]
	s_cbranch_vccz .LBB86_43
; %bb.41:
	v_mov_b32_e32 v6, 29
	v_cmp_eq_u16_sdwa s[20:21], s3, v6 src0_sel:BYTE_0 src1_sel:DWORD
	s_mov_b64 s[0:1], -1
	s_and_b64 vcc, exec, s[20:21]
	s_cbranch_vccz .LBB86_43
; %bb.42:
	v_trunc_f32_e32 v6, v2
	v_mul_f32_e32 v7, 0x2f800000, v6
	v_floor_f32_e32 v8, v7
	v_fmac_f32_e32 v6, 0xcf800000, v8
	v_cvt_u32_f32_e32 v7, v8
	v_cvt_u32_f32_e32 v6, v6
	s_mov_b64 s[14:15], -1
	s_mov_b64 s[0:1], 0
	s_mov_b64 s[20:21], 0
	global_store_dwordx2 v[0:1], v[6:7], off
	s_branch .LBB86_44
.LBB86_43:
	s_mov_b64 s[20:21], 0
.LBB86_44:
	s_and_b64 vcc, exec, s[20:21]
	s_cbranch_vccz .LBB86_60
; %bb.45:
	v_mov_b32_e32 v6, 27
	v_cmp_lt_i16_sdwa s[20:21], s3, v6 src0_sel:BYTE_0 src1_sel:DWORD
	s_mov_b64 s[14:15], -1
	s_and_b64 vcc, exec, s[20:21]
	s_cbranch_vccnz .LBB86_51
; %bb.46:
	v_cmp_gt_i16_sdwa s[20:21], s3, v6 src0_sel:BYTE_0 src1_sel:DWORD
	v_cvt_u32_f32_e32 v6, v2
	s_and_b64 vcc, exec, s[20:21]
	s_cbranch_vccz .LBB86_48
; %bb.47:
	s_mov_b64 s[14:15], 0
	global_store_dword v[0:1], v6, off
.LBB86_48:
	s_andn2_b64 vcc, exec, s[14:15]
	s_cbranch_vccnz .LBB86_50
; %bb.49:
	global_store_short v[0:1], v6, off
.LBB86_50:
	s_mov_b64 s[14:15], 0
.LBB86_51:
	s_andn2_b64 vcc, exec, s[14:15]
	s_cbranch_vccnz .LBB86_59
; %bb.52:
	v_and_b32_e32 v6, 0x7fffffff, v3
	s_mov_b32 s14, 0x43800000
	v_cmp_gt_u32_e32 vcc, s14, v6
	v_mov_b32_e32 v7, 0x80
	s_and_saveexec_b64 s[14:15], vcc
	s_cbranch_execz .LBB86_58
; %bb.53:
	s_mov_b32 s20, 0x3bffffff
	v_cmp_lt_u32_e32 vcc, s20, v6
	s_mov_b64 s[20:21], 0
                                        ; implicit-def: $vgpr6
	s_and_saveexec_b64 s[24:25], vcc
	s_xor_b64 s[24:25], exec, s[24:25]
	s_cbranch_execz .LBB86_279
; %bb.54:
	v_bfe_u32 v6, v2, 20, 1
	s_mov_b32 s26, 0x487ffff
	v_add3_u32 v6, v2, v6, s26
	s_mov_b64 s[20:21], exec
	v_lshrrev_b32_e32 v6, 20, v6
	s_or_saveexec_b64 s[24:25], s[24:25]
                                        ; implicit-def: $sgpr26
	s_xor_b64 exec, exec, s[24:25]
	s_cbranch_execnz .LBB86_280
.LBB86_55:
	s_or_b64 exec, exec, s[24:25]
	v_mov_b32_e32 v7, s26
	s_and_saveexec_b64 s[24:25], s[20:21]
.LBB86_56:
	v_lshrrev_b32_e32 v7, 24, v2
	s_movk_i32 s20, 0x80
	v_and_or_b32 v7, v7, s20, v6
.LBB86_57:
	s_or_b64 exec, exec, s[24:25]
.LBB86_58:
	s_or_b64 exec, exec, s[14:15]
	global_store_byte v[0:1], v7, off
.LBB86_59:
	s_mov_b64 s[14:15], -1
.LBB86_60:
	s_mov_b64 s[20:21], 0
.LBB86_61:
	s_and_b64 vcc, exec, s[20:21]
	s_cbranch_vccz .LBB86_102
; %bb.62:
	v_mov_b32_e32 v6, 22
	v_cmp_gt_i16_sdwa s[24:25], s3, v6 src0_sel:BYTE_0 src1_sel:DWORD
	s_mov_b64 s[20:21], -1
	s_and_b64 vcc, exec, s[24:25]
	s_cbranch_vccz .LBB86_94
; %bb.63:
	v_mov_b32_e32 v6, 24
	v_cmp_lt_i16_sdwa s[20:21], s3, v6 src0_sel:BYTE_0 src1_sel:DWORD
	s_mov_b64 s[14:15], -1
	s_and_b64 vcc, exec, s[20:21]
	s_cbranch_vccnz .LBB86_83
; %bb.64:
	v_cmp_gt_i16_sdwa s[20:21], s3, v6 src0_sel:BYTE_0 src1_sel:DWORD
	s_and_b64 vcc, exec, s[20:21]
	s_cbranch_vccz .LBB86_72
; %bb.65:
	v_and_b32_e32 v6, 0x7fffffff, v3
	s_mov_b32 s14, 0x47800000
	v_cmp_gt_u32_e32 vcc, s14, v6
	v_mov_b32_e32 v7, 0x80
	s_and_saveexec_b64 s[14:15], vcc
	s_cbranch_execz .LBB86_71
; %bb.66:
	s_mov_b32 s20, 0x37ffffff
	v_cmp_lt_u32_e32 vcc, s20, v6
	s_mov_b64 s[20:21], 0
                                        ; implicit-def: $vgpr6
	s_and_saveexec_b64 s[24:25], vcc
	s_xor_b64 s[24:25], exec, s[24:25]
	s_cbranch_execz .LBB86_283
; %bb.67:
	v_bfe_u32 v6, v2, 21, 1
	s_mov_b32 s26, 0x88fffff
	v_add3_u32 v6, v2, v6, s26
	s_mov_b64 s[20:21], exec
	v_lshrrev_b32_e32 v6, 21, v6
	s_or_saveexec_b64 s[24:25], s[24:25]
                                        ; implicit-def: $sgpr26
	s_xor_b64 exec, exec, s[24:25]
	s_cbranch_execnz .LBB86_284
.LBB86_68:
	s_or_b64 exec, exec, s[24:25]
	v_mov_b32_e32 v7, s26
	s_and_saveexec_b64 s[24:25], s[20:21]
.LBB86_69:
	v_lshrrev_b32_e32 v7, 24, v2
	s_movk_i32 s20, 0x80
	v_and_or_b32 v7, v7, s20, v6
.LBB86_70:
	s_or_b64 exec, exec, s[24:25]
.LBB86_71:
	s_or_b64 exec, exec, s[14:15]
	s_mov_b64 s[14:15], 0
	global_store_byte v[0:1], v7, off
.LBB86_72:
	s_and_b64 vcc, exec, s[14:15]
	s_cbranch_vccz .LBB86_82
; %bb.73:
	v_and_b32_e32 v7, 0x7fffffff, v3
	s_mov_b32 s14, 0x43f00000
	v_cmp_gt_u32_e32 vcc, s14, v7
                                        ; implicit-def: $vgpr6
	s_and_saveexec_b64 s[14:15], vcc
	s_xor_b64 s[14:15], exec, s[14:15]
	s_cbranch_execz .LBB86_79
; %bb.74:
	s_mov_b32 s20, 0x3c7fffff
	v_cmp_lt_u32_e32 vcc, s20, v7
                                        ; implicit-def: $vgpr6
	s_and_saveexec_b64 s[20:21], vcc
	s_xor_b64 s[20:21], exec, s[20:21]
; %bb.75:
	v_bfe_u32 v6, v2, 20, 1
	s_mov_b32 s24, 0x407ffff
	v_add3_u32 v6, v2, v6, s24
	v_lshrrev_b32_e32 v7, 20, v6
	v_and_b32_e32 v6, 0xff00000, v6
	s_mov_b32 s24, 0x7f00000
	v_mov_b32_e32 v8, 0x7e
	v_cmp_ne_u32_e32 vcc, s24, v6
	v_cndmask_b32_e32 v6, v8, v7, vcc
; %bb.76:
	s_andn2_saveexec_b64 s[20:21], s[20:21]
; %bb.77:
	s_mov_b32 s24, 0x46800000
	v_add_f32_e64 v6, |v3|, s24
; %bb.78:
	s_or_b64 exec, exec, s[20:21]
                                        ; implicit-def: $vgpr7
.LBB86_79:
	s_andn2_saveexec_b64 s[14:15], s[14:15]
; %bb.80:
	s_mov_b32 s20, 0x7f800000
	v_mov_b32_e32 v6, 0x7e
	v_mov_b32_e32 v8, 0x7f
	v_cmp_lt_u32_e32 vcc, s20, v7
	v_cndmask_b32_e32 v6, v6, v8, vcc
; %bb.81:
	s_or_b64 exec, exec, s[14:15]
	v_lshrrev_b32_e32 v7, 24, v2
	s_movk_i32 s14, 0x80
	v_and_or_b32 v6, v7, s14, v6
	global_store_byte v[0:1], v6, off
.LBB86_82:
	s_mov_b64 s[14:15], 0
.LBB86_83:
	s_andn2_b64 vcc, exec, s[14:15]
	s_cbranch_vccnz .LBB86_93
; %bb.84:
	v_and_b32_e32 v7, 0x7fffffff, v3
	s_mov_b32 s14, 0x47800000
	v_cmp_gt_u32_e32 vcc, s14, v7
                                        ; implicit-def: $vgpr6
	s_and_saveexec_b64 s[14:15], vcc
	s_xor_b64 s[14:15], exec, s[14:15]
	s_cbranch_execz .LBB86_90
; %bb.85:
	s_mov_b32 s20, 0x387fffff
	v_cmp_lt_u32_e32 vcc, s20, v7
                                        ; implicit-def: $vgpr6
	s_and_saveexec_b64 s[20:21], vcc
	s_xor_b64 s[20:21], exec, s[20:21]
; %bb.86:
	v_bfe_u32 v3, v2, 21, 1
	s_mov_b32 s24, 0x80fffff
	v_add3_u32 v3, v2, v3, s24
	v_lshrrev_b32_e32 v6, 21, v3
                                        ; implicit-def: $vgpr3
; %bb.87:
	s_andn2_saveexec_b64 s[20:21], s[20:21]
; %bb.88:
	s_mov_b32 s24, 0x43000000
	v_add_f32_e64 v6, |v3|, s24
; %bb.89:
	s_or_b64 exec, exec, s[20:21]
                                        ; implicit-def: $vgpr7
.LBB86_90:
	s_andn2_saveexec_b64 s[14:15], s[14:15]
; %bb.91:
	s_mov_b32 s20, 0x7f800000
	v_mov_b32_e32 v3, 0x7c
	v_mov_b32_e32 v6, 0x7f
	v_cmp_lt_u32_e32 vcc, s20, v7
	v_cndmask_b32_e32 v6, v3, v6, vcc
; %bb.92:
	s_or_b64 exec, exec, s[14:15]
	v_lshrrev_b32_e32 v3, 24, v2
	s_movk_i32 s14, 0x80
	v_and_or_b32 v3, v3, s14, v6
	global_store_byte v[0:1], v3, off
.LBB86_93:
	s_mov_b64 s[20:21], 0
	s_mov_b64 s[14:15], -1
.LBB86_94:
	s_andn2_b64 vcc, exec, s[20:21]
	s_cbranch_vccnz .LBB86_102
; %bb.95:
	v_mov_b32_e32 v3, 14
	v_cmp_gt_i16_sdwa s[24:25], s3, v3 src0_sel:BYTE_0 src1_sel:DWORD
	s_mov_b64 s[20:21], -1
	s_and_b64 vcc, exec, s[24:25]
	s_cbranch_vccz .LBB86_99
; %bb.96:
	v_mov_b32_e32 v3, 15
	v_cmp_eq_u16_sdwa s[20:21], s3, v3 src0_sel:BYTE_0 src1_sel:DWORD
	s_mov_b64 s[0:1], -1
	s_and_b64 vcc, exec, s[20:21]
	s_cbranch_vccz .LBB86_98
; %bb.97:
	v_bfe_u32 v3, v2, 16, 1
	s_movk_i32 s0, 0x7fff
	v_add3_u32 v3, v2, v3, s0
	v_lshrrev_b32_e32 v3, 16, v3
	v_mov_b32_e32 v6, 0x7fc0
	v_cmp_o_f32_e32 vcc, v2, v2
	v_cndmask_b32_e32 v3, v6, v3, vcc
	global_store_short v[0:1], v3, off
	s_mov_b64 s[14:15], -1
	s_mov_b64 s[0:1], 0
.LBB86_98:
	s_mov_b64 s[20:21], 0
.LBB86_99:
	s_and_b64 vcc, exec, s[20:21]
	s_cbranch_vccz .LBB86_102
; %bb.100:
	v_mov_b32_e32 v3, 11
	v_cmp_eq_u16_sdwa s[20:21], s3, v3 src0_sel:BYTE_0 src1_sel:DWORD
	s_mov_b64 s[0:1], -1
	s_and_b64 vcc, exec, s[20:21]
	s_cbranch_vccz .LBB86_102
; %bb.101:
	v_cmp_neq_f32_e32 vcc, 0, v2
	v_cndmask_b32_e64 v3, 0, 1, vcc
	s_mov_b64 s[14:15], -1
	s_mov_b64 s[0:1], 0
	global_store_byte v[0:1], v3, off
.LBB86_102:
	s_branch .LBB86_20
.LBB86_103:
	v_mov_b32_e32 v3, 5
	v_cmp_lt_i16_sdwa s[20:21], s3, v3 src0_sel:BYTE_0 src1_sel:DWORD
	s_mov_b64 s[14:15], -1
	s_and_b64 vcc, exec, s[20:21]
	s_cbranch_vccnz .LBB86_124
; %bb.104:
	v_mov_b32_e32 v3, 8
	v_cmp_lt_i16_sdwa s[20:21], s3, v3 src0_sel:BYTE_0 src1_sel:DWORD
	s_and_b64 vcc, exec, s[20:21]
	s_cbranch_vccnz .LBB86_114
; %bb.105:
	v_mov_b32_e32 v3, 9
	v_cmp_lt_i16_sdwa s[20:21], s3, v3 src0_sel:BYTE_0 src1_sel:DWORD
	s_and_b64 vcc, exec, s[20:21]
	s_cbranch_vccnz .LBB86_111
; %bb.106:
	v_cmp_gt_i16_sdwa s[20:21], s3, v3 src0_sel:BYTE_0 src1_sel:DWORD
	s_and_b64 vcc, exec, s[20:21]
	s_cbranch_vccz .LBB86_108
; %bb.107:
	v_mov_b32_e32 v8, 0
	v_cvt_f64_f32_e32 v[6:7], v2
	v_mov_b32_e32 v9, v8
	global_store_dwordx4 v[0:1], v[6:9], off
	s_mov_b64 s[14:15], 0
.LBB86_108:
	s_andn2_b64 vcc, exec, s[14:15]
	s_cbranch_vccnz .LBB86_110
; %bb.109:
	v_mov_b32_e32 v3, 0
	global_store_dwordx2 v[0:1], v[2:3], off
.LBB86_110:
	s_mov_b64 s[14:15], 0
.LBB86_111:
	s_andn2_b64 vcc, exec, s[14:15]
	s_cbranch_vccnz .LBB86_113
; %bb.112:
	v_cvt_f16_f32_e32 v3, v2
	global_store_dword v[0:1], v3, off
.LBB86_113:
	s_mov_b64 s[14:15], 0
.LBB86_114:
	s_andn2_b64 vcc, exec, s[14:15]
	s_cbranch_vccnz .LBB86_123
; %bb.115:
	v_mov_b32_e32 v3, 6
	v_cmp_lt_i16_sdwa s[20:21], s3, v3 src0_sel:BYTE_0 src1_sel:DWORD
	s_mov_b64 s[14:15], -1
	s_and_b64 vcc, exec, s[20:21]
	s_cbranch_vccnz .LBB86_121
; %bb.116:
	v_cmp_gt_i16_sdwa s[20:21], s3, v3 src0_sel:BYTE_0 src1_sel:DWORD
	s_and_b64 vcc, exec, s[20:21]
	s_cbranch_vccz .LBB86_118
; %bb.117:
	v_cvt_f64_f32_e32 v[6:7], v2
	global_store_dwordx2 v[0:1], v[6:7], off
	s_mov_b64 s[14:15], 0
.LBB86_118:
	s_andn2_b64 vcc, exec, s[14:15]
	s_cbranch_vccnz .LBB86_120
; %bb.119:
	global_store_dword v[0:1], v2, off
.LBB86_120:
	s_mov_b64 s[14:15], 0
.LBB86_121:
	s_andn2_b64 vcc, exec, s[14:15]
	s_cbranch_vccnz .LBB86_123
; %bb.122:
	v_cvt_f16_f32_e32 v3, v2
	global_store_short v[0:1], v3, off
.LBB86_123:
	s_mov_b64 s[14:15], 0
.LBB86_124:
	s_andn2_b64 vcc, exec, s[14:15]
	s_cbranch_vccnz .LBB86_140
; %bb.125:
	v_mov_b32_e32 v3, 2
	v_cmp_lt_i16_sdwa s[20:21], s3, v3 src0_sel:BYTE_0 src1_sel:DWORD
	s_mov_b64 s[14:15], -1
	s_and_b64 vcc, exec, s[20:21]
	s_cbranch_vccnz .LBB86_135
; %bb.126:
	v_mov_b32_e32 v3, 3
	v_cmp_lt_i16_sdwa s[20:21], s3, v3 src0_sel:BYTE_0 src1_sel:DWORD
	s_and_b64 vcc, exec, s[20:21]
	s_cbranch_vccnz .LBB86_132
; %bb.127:
	v_cmp_gt_i16_sdwa s[20:21], s3, v3 src0_sel:BYTE_0 src1_sel:DWORD
	s_and_b64 vcc, exec, s[20:21]
	s_cbranch_vccz .LBB86_129
; %bb.128:
	v_trunc_f32_e32 v3, v2
	s_mov_b32 s14, 0x2f800000
	v_mul_f32_e64 v6, |v3|, s14
	v_floor_f32_e32 v6, v6
	s_mov_b32 s14, 0xcf800000
	v_cvt_u32_f32_e32 v7, v6
	v_fma_f32 v6, v6, s14, |v3|
	v_cvt_u32_f32_e32 v6, v6
	v_ashrrev_i32_e32 v3, 31, v3
	v_xor_b32_e32 v7, v7, v3
	s_mov_b64 s[14:15], 0
	v_xor_b32_e32 v6, v6, v3
	v_sub_co_u32_e32 v6, vcc, v6, v3
	v_subb_co_u32_e32 v7, vcc, v7, v3, vcc
	global_store_dwordx2 v[0:1], v[6:7], off
.LBB86_129:
	s_andn2_b64 vcc, exec, s[14:15]
	s_cbranch_vccnz .LBB86_131
; %bb.130:
	v_cvt_i32_f32_e32 v3, v2
	global_store_dword v[0:1], v3, off
.LBB86_131:
	s_mov_b64 s[14:15], 0
.LBB86_132:
	s_andn2_b64 vcc, exec, s[14:15]
	s_cbranch_vccnz .LBB86_134
; %bb.133:
	v_cvt_i32_f32_e32 v3, v2
	global_store_short v[0:1], v3, off
.LBB86_134:
	s_mov_b64 s[14:15], 0
.LBB86_135:
	s_andn2_b64 vcc, exec, s[14:15]
	s_cbranch_vccnz .LBB86_140
; %bb.136:
	v_mov_b32_e32 v3, 0
	v_cmp_gt_i16_sdwa s[20:21], s3, v3 src0_sel:BYTE_0 src1_sel:DWORD
	s_mov_b64 s[14:15], -1
	s_and_b64 vcc, exec, s[20:21]
	s_cbranch_vccz .LBB86_138
; %bb.137:
	v_cvt_i32_f32_e32 v3, v2
	s_mov_b64 s[14:15], 0
	global_store_byte v[0:1], v3, off
.LBB86_138:
	s_andn2_b64 vcc, exec, s[14:15]
	s_cbranch_vccnz .LBB86_140
; %bb.139:
	v_trunc_f32_e32 v2, v2
	s_mov_b32 s14, 0x2f800000
	v_mul_f32_e64 v3, |v2|, s14
	v_floor_f32_e32 v3, v3
	s_mov_b32 s14, 0xcf800000
	v_fma_f32 v3, v3, s14, |v2|
	v_cvt_u32_f32_e32 v3, v3
	v_ashrrev_i32_e32 v2, 31, v2
	v_xor_b32_e32 v3, v3, v2
	v_sub_u32_e32 v2, v3, v2
	global_store_byte v[0:1], v2, off
.LBB86_140:
	s_branch .LBB86_21
.LBB86_141:
	s_mov_b64 s[20:21], 0
                                        ; implicit-def: $vgpr4
	s_branch .LBB86_251
.LBB86_142:
	s_mov_b64 s[16:17], -1
                                        ; implicit-def: $vgpr3
.LBB86_143:
	s_mov_b64 s[14:15], 0
.LBB86_144:
	s_and_b64 vcc, exec, s[14:15]
	s_cbranch_vccz .LBB86_148
; %bb.145:
	v_cmp_eq_u16_e32 vcc, 29, v5
	s_cbranch_vccz .LBB86_147
; %bb.146:
	global_load_dwordx2 v[2:3], v[0:1], off
	s_mov_b64 s[0:1], -1
	s_mov_b64 s[16:17], 0
	s_mov_b64 s[14:15], 0
	s_waitcnt vmcnt(0)
	v_ffbh_u32_e32 v6, v3
	v_min_u32_e32 v6, 32, v6
	v_lshlrev_b64 v[2:3], v6, v[2:3]
	v_min_u32_e32 v2, 1, v2
	v_or_b32_e32 v2, v3, v2
	v_cvt_f32_u32_e32 v2, v2
	v_sub_u32_e32 v3, 32, v6
	v_ldexp_f32 v3, v2, v3
	s_branch .LBB86_149
.LBB86_147:
	s_mov_b64 s[16:17], -1
                                        ; implicit-def: $vgpr3
.LBB86_148:
	s_mov_b64 s[14:15], 0
.LBB86_149:
	s_and_b64 vcc, exec, s[14:15]
	s_cbranch_vccz .LBB86_167
; %bb.150:
	v_cmp_gt_i16_e32 vcc, 27, v5
	s_cbranch_vccnz .LBB86_153
; %bb.151:
	v_cmp_lt_i16_e32 vcc, 27, v5
	s_cbranch_vccz .LBB86_154
; %bb.152:
	global_load_dword v2, v[0:1], off
	s_mov_b64 s[0:1], 0
	s_waitcnt vmcnt(0)
	v_cvt_f32_u32_e32 v3, v2
	s_branch .LBB86_155
.LBB86_153:
	s_mov_b64 s[0:1], -1
                                        ; implicit-def: $vgpr3
	s_branch .LBB86_158
.LBB86_154:
	s_mov_b64 s[0:1], -1
                                        ; implicit-def: $vgpr3
.LBB86_155:
	s_andn2_b64 vcc, exec, s[0:1]
	s_cbranch_vccnz .LBB86_157
; %bb.156:
	global_load_ushort v2, v[0:1], off
	s_waitcnt vmcnt(0)
	v_cvt_f32_u32_e32 v3, v2
.LBB86_157:
	s_mov_b64 s[0:1], 0
.LBB86_158:
	s_andn2_b64 vcc, exec, s[0:1]
	s_cbranch_vccnz .LBB86_166
; %bb.159:
	global_load_ubyte v2, v[0:1], off
	s_movk_i32 s0, 0x7f
                                        ; implicit-def: $sgpr24
	s_waitcnt vmcnt(0)
	v_cmp_lt_i16_e32 vcc, s0, v2
	s_mov_b64 s[0:1], 0
	s_and_saveexec_b64 s[14:15], vcc
	s_xor_b64 s[14:15], exec, s[14:15]
	s_cbranch_execz .LBB86_179
; %bb.160:
	s_movk_i32 s0, 0x80
	v_cmp_eq_u16_e32 vcc, s0, v2
	s_mov_b64 s[0:1], -1
                                        ; implicit-def: $sgpr24
	s_and_saveexec_b64 s[20:21], vcc
; %bb.161:
	s_mov_b32 s24, 0x7f800001
	s_xor_b64 s[0:1], exec, -1
; %bb.162:
	s_or_b64 exec, exec, s[20:21]
	s_and_b64 s[0:1], s[0:1], exec
	s_or_saveexec_b64 s[14:15], s[14:15]
	v_mov_b32_e32 v3, s24
	s_xor_b64 exec, exec, s[14:15]
	s_cbranch_execnz .LBB86_180
.LBB86_163:
	s_or_b64 exec, exec, s[14:15]
	s_and_saveexec_b64 s[14:15], s[0:1]
	s_cbranch_execz .LBB86_165
.LBB86_164:
	v_lshlrev_b32_e32 v3, 24, v2
	v_and_b32_e32 v2, 0xffff, v2
	v_and_b32_e32 v6, 7, v2
	v_ffbh_u32_e32 v8, v6
	v_min_u32_e32 v8, 32, v8
	v_subrev_u32_e32 v9, 28, v8
	v_bfe_u32 v7, v2, 3, 4
	v_lshlrev_b32_e32 v2, v9, v2
	v_sub_u32_e32 v8, 29, v8
	v_and_b32_e32 v2, 7, v2
	v_cmp_eq_u32_e32 vcc, 0, v7
	v_cndmask_b32_e32 v7, v7, v8, vcc
	v_cndmask_b32_e32 v2, v6, v2, vcc
	v_mov_b32_e32 v6, 0x3b800000
	v_lshlrev_b32_e32 v2, 20, v2
	v_and_b32_e32 v3, 0x80000000, v3
	v_lshl_add_u32 v6, v7, 23, v6
	v_or3_b32 v3, v3, v6, v2
.LBB86_165:
	s_or_b64 exec, exec, s[14:15]
.LBB86_166:
	s_mov_b64 s[0:1], -1
.LBB86_167:
	s_branch .LBB86_202
.LBB86_168:
	v_cmp_lt_i16_e32 vcc, 22, v5
	s_cbranch_vccz .LBB86_178
; %bb.169:
	v_cmp_gt_i16_e32 vcc, 24, v5
	s_cbranch_vccnz .LBB86_181
; %bb.170:
	v_cmp_lt_i16_e32 vcc, 24, v5
	s_cbranch_vccz .LBB86_182
; %bb.171:
	global_load_ubyte v2, v[0:1], off
	s_movk_i32 s0, 0x7f
                                        ; implicit-def: $sgpr24
	s_waitcnt vmcnt(0)
	v_cmp_lt_i16_e32 vcc, s0, v2
	s_mov_b64 s[0:1], 0
	s_and_saveexec_b64 s[14:15], vcc
	s_xor_b64 s[14:15], exec, s[14:15]
	s_cbranch_execz .LBB86_194
; %bb.172:
	s_movk_i32 s0, 0x80
	v_cmp_eq_u16_e32 vcc, s0, v2
	s_mov_b64 s[0:1], -1
                                        ; implicit-def: $sgpr24
	s_and_saveexec_b64 s[20:21], vcc
; %bb.173:
	s_mov_b32 s24, 0x7f800001
	s_xor_b64 s[0:1], exec, -1
; %bb.174:
	s_or_b64 exec, exec, s[20:21]
	s_and_b64 s[0:1], s[0:1], exec
	s_or_saveexec_b64 s[14:15], s[14:15]
	v_mov_b32_e32 v3, s24
	s_xor_b64 exec, exec, s[14:15]
	s_cbranch_execnz .LBB86_195
.LBB86_175:
	s_or_b64 exec, exec, s[14:15]
	s_and_saveexec_b64 s[14:15], s[0:1]
	s_cbranch_execz .LBB86_177
.LBB86_176:
	v_lshlrev_b32_e32 v3, 24, v2
	v_and_b32_e32 v2, 0xffff, v2
	v_and_b32_e32 v6, 3, v2
	v_ffbh_u32_e32 v8, v6
	v_min_u32_e32 v8, 32, v8
	v_subrev_u32_e32 v9, 29, v8
	v_bfe_u32 v7, v2, 2, 5
	v_lshlrev_b32_e32 v2, v9, v2
	v_sub_u32_e32 v8, 30, v8
	v_and_b32_e32 v2, 3, v2
	v_cmp_eq_u32_e32 vcc, 0, v7
	v_cndmask_b32_e32 v7, v7, v8, vcc
	v_cndmask_b32_e32 v2, v6, v2, vcc
	v_mov_b32_e32 v6, 0x37800000
	v_lshlrev_b32_e32 v2, 21, v2
	v_and_b32_e32 v3, 0x80000000, v3
	v_lshl_add_u32 v6, v7, 23, v6
	v_or3_b32 v3, v3, v6, v2
.LBB86_177:
	s_or_b64 exec, exec, s[14:15]
	s_mov_b64 s[0:1], 0
	s_branch .LBB86_183
.LBB86_178:
	s_mov_b64 s[14:15], -1
                                        ; implicit-def: $vgpr3
	s_branch .LBB86_189
.LBB86_179:
	s_or_saveexec_b64 s[14:15], s[14:15]
	v_mov_b32_e32 v3, s24
	s_xor_b64 exec, exec, s[14:15]
	s_cbranch_execz .LBB86_163
.LBB86_180:
	v_cmp_ne_u16_e32 vcc, 0, v2
	s_andn2_b64 s[0:1], s[0:1], exec
	s_and_b64 s[20:21], vcc, exec
	v_mov_b32_e32 v3, 0
	s_or_b64 s[0:1], s[0:1], s[20:21]
	s_or_b64 exec, exec, s[14:15]
	s_and_saveexec_b64 s[14:15], s[0:1]
	s_cbranch_execnz .LBB86_164
	s_branch .LBB86_165
.LBB86_181:
	s_mov_b64 s[0:1], -1
                                        ; implicit-def: $vgpr3
	s_branch .LBB86_186
.LBB86_182:
	s_mov_b64 s[0:1], -1
                                        ; implicit-def: $vgpr3
.LBB86_183:
	s_and_b64 vcc, exec, s[0:1]
	s_cbranch_vccz .LBB86_185
; %bb.184:
	global_load_ubyte v2, v[0:1], off
	s_mov_b32 s0, 0x7f800000
	s_waitcnt vmcnt(0)
	v_lshlrev_b32_e32 v2, 24, v2
	v_and_b32_e32 v3, 0x7f000000, v2
	v_ffbh_u32_e32 v6, v3
	v_min_u32_e32 v6, 32, v6
	v_sub_u32_e64 v6, v6, 4 clamp
	v_lshlrev_b32_e32 v8, v6, v3
	v_lshlrev_b32_e32 v6, 23, v6
	v_lshrrev_b32_e32 v8, 4, v8
	v_add_u32_e32 v7, 0x1000000, v3
	v_sub_u32_e32 v6, v8, v6
	v_ashrrev_i32_e32 v7, 8, v7
	v_add_u32_e32 v6, 0x3c000000, v6
	v_and_or_b32 v6, v7, s0, v6
	v_cmp_ne_u32_e32 vcc, 0, v3
	v_cndmask_b32_e32 v3, 0, v6, vcc
	s_brev_b32 s0, 1
	v_and_or_b32 v3, v2, s0, v3
.LBB86_185:
	s_mov_b64 s[0:1], 0
.LBB86_186:
	s_andn2_b64 vcc, exec, s[0:1]
	s_cbranch_vccnz .LBB86_188
; %bb.187:
	global_load_ubyte v2, v[0:1], off
	s_movk_i32 s0, 0x7f00
	s_brev_b32 s1, 16
	s_waitcnt vmcnt(0)
	v_lshlrev_b16_e32 v3, 8, v2
	v_lshlrev_b32_e32 v2, 25, v2
	v_lshrrev_b32_e32 v6, 4, v2
	v_and_or_b32 v7, v3, s0, 0.5
	v_or_b32_e32 v6, 0x70000000, v6
	v_add_f32_e32 v7, -0.5, v7
	v_mul_f32_e32 v6, 0x7800000, v6
	v_cmp_gt_u32_e32 vcc, s1, v2
	v_bfe_i32 v3, v3, 0, 16
	v_cndmask_b32_e32 v2, v6, v7, vcc
	s_brev_b32 s0, 1
	v_and_or_b32 v3, v3, s0, v2
.LBB86_188:
	s_mov_b64 s[14:15], 0
	s_mov_b64 s[0:1], -1
.LBB86_189:
	s_andn2_b64 vcc, exec, s[14:15]
	s_cbranch_vccnz .LBB86_202
; %bb.190:
	v_cmp_lt_i16_e32 vcc, 14, v5
	s_cbranch_vccz .LBB86_193
; %bb.191:
	v_cmp_eq_u16_e32 vcc, 15, v5
	s_cbranch_vccz .LBB86_196
; %bb.192:
	global_load_ushort v2, v[0:1], off
	s_mov_b64 s[0:1], -1
	s_mov_b64 s[16:17], 0
	s_waitcnt vmcnt(0)
	v_lshlrev_b32_e32 v3, 16, v2
	s_branch .LBB86_197
.LBB86_193:
	s_mov_b64 s[14:15], -1
                                        ; implicit-def: $vgpr3
	s_branch .LBB86_198
.LBB86_194:
	s_or_saveexec_b64 s[14:15], s[14:15]
	v_mov_b32_e32 v3, s24
	s_xor_b64 exec, exec, s[14:15]
	s_cbranch_execz .LBB86_175
.LBB86_195:
	v_cmp_ne_u16_e32 vcc, 0, v2
	s_andn2_b64 s[0:1], s[0:1], exec
	s_and_b64 s[20:21], vcc, exec
	v_mov_b32_e32 v3, 0
	s_or_b64 s[0:1], s[0:1], s[20:21]
	s_or_b64 exec, exec, s[14:15]
	s_and_saveexec_b64 s[14:15], s[0:1]
	s_cbranch_execnz .LBB86_176
	s_branch .LBB86_177
.LBB86_196:
	s_mov_b64 s[16:17], -1
                                        ; implicit-def: $vgpr3
.LBB86_197:
	s_mov_b64 s[14:15], 0
.LBB86_198:
	s_and_b64 vcc, exec, s[14:15]
	s_cbranch_vccz .LBB86_202
; %bb.199:
	v_cmp_eq_u16_e32 vcc, 11, v5
	s_cbranch_vccz .LBB86_201
; %bb.200:
	global_load_ubyte v2, v[0:1], off
	s_mov_b64 s[0:1], -1
	s_mov_b64 s[16:17], 0
	s_waitcnt vmcnt(0)
	v_cmp_ne_u16_e32 vcc, 0, v2
	v_cndmask_b32_e64 v3, 0, 1.0, vcc
	s_branch .LBB86_202
.LBB86_201:
	s_mov_b64 s[16:17], -1
                                        ; implicit-def: $vgpr3
.LBB86_202:
	s_branch .LBB86_10
.LBB86_203:
	v_cmp_gt_i16_e32 vcc, 5, v5
	s_cbranch_vccnz .LBB86_208
; %bb.204:
	v_cmp_gt_i16_e32 vcc, 8, v5
	s_cbranch_vccnz .LBB86_209
; %bb.205:
	;; [unrolled: 3-line block ×3, first 2 shown]
	v_cmp_lt_i16_e32 vcc, 9, v5
	s_cbranch_vccz .LBB86_211
; %bb.207:
	global_load_dwordx2 v[2:3], v[0:1], off
	s_mov_b64 s[0:1], 0
	s_waitcnt vmcnt(0)
	v_cvt_f32_f64_e32 v3, v[2:3]
	s_branch .LBB86_212
.LBB86_208:
                                        ; implicit-def: $vgpr3
	s_branch .LBB86_230
.LBB86_209:
	s_mov_b64 s[0:1], -1
                                        ; implicit-def: $vgpr3
	s_branch .LBB86_218
.LBB86_210:
	s_mov_b64 s[0:1], -1
                                        ; implicit-def: $vgpr3
	s_branch .LBB86_215
.LBB86_211:
	s_mov_b64 s[0:1], -1
                                        ; implicit-def: $vgpr3
.LBB86_212:
	s_andn2_b64 vcc, exec, s[0:1]
	s_cbranch_vccnz .LBB86_214
; %bb.213:
	global_load_dword v3, v[0:1], off
.LBB86_214:
	s_mov_b64 s[0:1], 0
.LBB86_215:
	s_andn2_b64 vcc, exec, s[0:1]
	s_cbranch_vccnz .LBB86_217
; %bb.216:
	global_load_dword v2, v[0:1], off
	s_waitcnt vmcnt(0)
	v_cvt_f32_f16_e32 v3, v2
.LBB86_217:
	s_mov_b64 s[0:1], 0
.LBB86_218:
	s_andn2_b64 vcc, exec, s[0:1]
	s_cbranch_vccnz .LBB86_229
; %bb.219:
	v_cmp_gt_i16_e32 vcc, 6, v5
	s_cbranch_vccnz .LBB86_222
; %bb.220:
	v_cmp_lt_i16_e32 vcc, 6, v5
	s_cbranch_vccz .LBB86_223
; %bb.221:
	global_load_dwordx2 v[2:3], v[0:1], off
	s_mov_b64 s[0:1], 0
	s_waitcnt vmcnt(0)
	v_cvt_f32_f64_e32 v3, v[2:3]
	s_branch .LBB86_224
.LBB86_222:
	s_mov_b64 s[0:1], -1
                                        ; implicit-def: $vgpr3
	s_branch .LBB86_227
.LBB86_223:
	s_mov_b64 s[0:1], -1
                                        ; implicit-def: $vgpr3
.LBB86_224:
	s_andn2_b64 vcc, exec, s[0:1]
	s_cbranch_vccnz .LBB86_226
; %bb.225:
	global_load_dword v3, v[0:1], off
.LBB86_226:
	s_mov_b64 s[0:1], 0
.LBB86_227:
	s_andn2_b64 vcc, exec, s[0:1]
	s_cbranch_vccnz .LBB86_229
; %bb.228:
	global_load_ushort v2, v[0:1], off
	s_waitcnt vmcnt(0)
	v_cvt_f32_f16_e32 v3, v2
.LBB86_229:
	s_cbranch_execnz .LBB86_249
.LBB86_230:
	v_cmp_gt_i16_e32 vcc, 2, v5
	s_cbranch_vccnz .LBB86_234
; %bb.231:
	v_cmp_gt_i16_e32 vcc, 3, v5
	s_cbranch_vccnz .LBB86_235
; %bb.232:
	v_cmp_lt_i16_e32 vcc, 3, v5
	s_cbranch_vccz .LBB86_236
; %bb.233:
	global_load_dwordx2 v[2:3], v[0:1], off
	s_mov_b64 s[0:1], 0
	s_waitcnt vmcnt(0)
	v_xor_b32_e32 v7, v2, v3
	v_ffbh_i32_e32 v6, v3
	v_ashrrev_i32_e32 v7, 31, v7
	v_add_u32_e32 v6, -1, v6
	v_add_u32_e32 v7, 32, v7
	v_min_u32_e32 v6, v6, v7
	v_lshlrev_b64 v[2:3], v6, v[2:3]
	v_min_u32_e32 v2, 1, v2
	v_or_b32_e32 v2, v3, v2
	v_cvt_f32_i32_e32 v2, v2
	v_sub_u32_e32 v3, 32, v6
	v_ldexp_f32 v3, v2, v3
	s_branch .LBB86_237
.LBB86_234:
	s_mov_b64 s[0:1], -1
                                        ; implicit-def: $vgpr3
	s_branch .LBB86_243
.LBB86_235:
	s_mov_b64 s[0:1], -1
                                        ; implicit-def: $vgpr3
	s_branch .LBB86_240
.LBB86_236:
	s_mov_b64 s[0:1], -1
                                        ; implicit-def: $vgpr3
.LBB86_237:
	s_andn2_b64 vcc, exec, s[0:1]
	s_cbranch_vccnz .LBB86_239
; %bb.238:
	global_load_dword v2, v[0:1], off
	s_waitcnt vmcnt(0)
	v_cvt_f32_i32_e32 v3, v2
.LBB86_239:
	s_mov_b64 s[0:1], 0
.LBB86_240:
	s_andn2_b64 vcc, exec, s[0:1]
	s_cbranch_vccnz .LBB86_242
; %bb.241:
	global_load_sshort v2, v[0:1], off
	s_waitcnt vmcnt(0)
	v_cvt_f32_i32_e32 v3, v2
.LBB86_242:
	s_mov_b64 s[0:1], 0
.LBB86_243:
	s_andn2_b64 vcc, exec, s[0:1]
	s_cbranch_vccnz .LBB86_249
; %bb.244:
	v_cmp_lt_i16_e32 vcc, 0, v5
	s_cbranch_vccz .LBB86_246
; %bb.245:
	global_load_sbyte v2, v[0:1], off
	s_mov_b64 s[0:1], 0
	s_waitcnt vmcnt(0)
	v_cvt_f32_i32_e32 v3, v2
	s_branch .LBB86_247
.LBB86_246:
	s_mov_b64 s[0:1], -1
                                        ; implicit-def: $vgpr3
.LBB86_247:
	s_andn2_b64 vcc, exec, s[0:1]
	s_cbranch_vccnz .LBB86_249
; %bb.248:
	global_load_ubyte v0, v[0:1], off
	s_waitcnt vmcnt(0)
	v_cvt_f32_ubyte0_e32 v3, v0
.LBB86_249:
	s_branch .LBB86_11
.LBB86_250:
	s_mov_b64 s[0:1], 0
                                        ; implicit-def: $vgpr4
	s_mov_b64 s[20:21], 0
.LBB86_251:
	s_and_b64 s[14:15], s[0:1], exec
	s_and_b64 s[16:17], s[16:17], exec
	s_orn2_b64 s[20:21], s[20:21], exec
.LBB86_252:
	s_or_b64 exec, exec, s[18:19]
	s_mov_b64 s[24:25], 0
	s_mov_b64 s[0:1], 0
                                        ; implicit-def: $vgpr0_vgpr1
                                        ; implicit-def: $vgpr3
	s_and_saveexec_b64 s[18:19], s[20:21]
	s_cbranch_execz .LBB86_261
; %bb.253:
	v_cmp_gt_i32_e32 vcc, s33, v4
	s_mov_b64 s[0:1], -1
	s_mov_b64 s[20:21], s[16:17]
	s_mov_b64 s[22:23], s[14:15]
	s_and_saveexec_b64 s[24:25], vcc
	s_cbranch_execz .LBB86_513
; %bb.254:
	v_mul_lo_u32 v0, v4, s13
	v_ashrrev_i32_e32 v1, 31, v0
	v_mov_b32_e32 v2, s11
	v_add_co_u32_e32 v0, vcc, s10, v0
	v_addc_co_u32_e32 v1, vcc, v2, v1, vcc
	v_cmp_gt_i16_e32 vcc, 11, v5
	s_cbranch_vccnz .LBB86_264
; %bb.255:
	v_cmp_lt_i16_e32 vcc, 25, v5
	s_cbranch_vccz .LBB86_273
; %bb.256:
	v_cmp_lt_i16_e32 vcc, 28, v5
	s_cbranch_vccz .LBB86_275
	;; [unrolled: 3-line block ×4, first 2 shown]
; %bb.259:
	v_cmp_eq_u16_e32 vcc, 46, v5
	s_mov_b64 s[22:23], 0
	s_cbranch_vccz .LBB86_285
; %bb.260:
	global_load_dword v2, v[0:1], off
	s_mov_b64 s[20:21], 0
	s_waitcnt vmcnt(0)
	v_lshlrev_b32_e32 v3, 16, v2
	s_branch .LBB86_286
.LBB86_261:
	s_or_b64 exec, exec, s[18:19]
	s_mov_b64 s[18:19], 0
	s_and_saveexec_b64 s[20:21], s[16:17]
	s_cbranch_execnz .LBB86_859
.LBB86_262:
	s_or_b64 exec, exec, s[20:21]
	s_and_saveexec_b64 s[16:17], s[22:23]
	s_xor_b64 s[16:17], exec, s[16:17]
	s_cbranch_execz .LBB86_860
.LBB86_263:
	global_load_ubyte v2, v[0:1], off
	s_or_b64 s[0:1], s[0:1], exec
	s_waitcnt vmcnt(0)
	v_cmp_ne_u16_e32 vcc, 0, v2
	v_cndmask_b32_e64 v3, 0, 1.0, vcc
	s_or_b64 exec, exec, s[16:17]
	s_and_saveexec_b64 s[16:17], s[24:25]
	s_cbranch_execz .LBB86_906
	s_branch .LBB86_861
.LBB86_264:
	s_mov_b64 s[0:1], 0
                                        ; implicit-def: $vgpr3
	s_mov_b64 s[20:21], s[16:17]
	s_cbranch_execnz .LBB86_463
.LBB86_265:
	s_andn2_b64 vcc, exec, s[0:1]
	s_cbranch_vccnz .LBB86_511
.LBB86_266:
	s_brev_b32 s0, -2
	v_mov_b32_e32 v0, s2
	s_waitcnt vmcnt(0)
	v_bfi_b32 v2, s0, v3, v0
	v_mul_lo_u32 v0, v4, s12
	v_ashrrev_i32_e32 v1, 31, v0
	v_mov_b32_e32 v6, s9
	v_add_co_u32_e32 v0, vcc, s8, v0
	v_addc_co_u32_e32 v1, vcc, v6, v1, vcc
	v_mov_b32_e32 v6, 11
	v_cmp_lt_i16_sdwa s[0:1], s3, v6 src0_sel:BYTE_0 src1_sel:DWORD
	s_and_b64 vcc, exec, s[0:1]
	s_cbranch_vccnz .LBB86_274
; %bb.267:
	v_mov_b32_e32 v6, 25
	v_cmp_gt_i16_sdwa s[0:1], s3, v6 src0_sel:BYTE_0 src1_sel:DWORD
	s_and_b64 vcc, exec, s[0:1]
	s_cbranch_vccz .LBB86_276
; %bb.268:
	v_mov_b32_e32 v6, 28
	v_cmp_gt_i16_sdwa s[0:1], s3, v6 src0_sel:BYTE_0 src1_sel:DWORD
	s_and_b64 vcc, exec, s[0:1]
	s_cbranch_vccz .LBB86_278
	;; [unrolled: 5-line block ×4, first 2 shown]
; %bb.271:
	v_mov_b32_e32 v6, 46
	v_cmp_eq_u16_sdwa s[22:23], s3, v6 src0_sel:BYTE_0 src1_sel:DWORD
	s_mov_b64 s[26:27], 0
	s_mov_b64 s[0:1], -1
	s_and_b64 vcc, exec, s[22:23]
	s_mov_b64 s[22:23], 0
	s_cbranch_vccz .LBB86_290
; %bb.272:
	v_bfe_u32 v6, v2, 16, 1
	s_movk_i32 s0, 0x7fff
	v_add3_u32 v6, v2, v6, s0
	v_lshrrev_b32_e32 v6, 16, v6
	v_mov_b32_e32 v7, 0x7fc0
	v_cmp_o_f32_e32 vcc, v2, v2
	v_cndmask_b32_e32 v6, v7, v6, vcc
	global_store_dword v[0:1], v6, off
	s_mov_b64 s[22:23], -1
	s_mov_b64 s[0:1], 0
	s_branch .LBB86_290
.LBB86_273:
	s_mov_b64 s[22:23], -1
	s_mov_b64 s[0:1], 0
	s_mov_b64 s[20:21], s[16:17]
                                        ; implicit-def: $vgpr3
	s_branch .LBB86_427
.LBB86_274:
	s_mov_b64 s[26:27], -1
	s_mov_b64 s[22:23], 0
	s_mov_b64 s[0:1], s[14:15]
	s_branch .LBB86_359
.LBB86_275:
	s_mov_b64 s[22:23], -1
	s_mov_b64 s[0:1], 0
	s_mov_b64 s[20:21], s[16:17]
                                        ; implicit-def: $vgpr3
	s_branch .LBB86_408
.LBB86_276:
	s_mov_b64 s[26:27], -1
	s_mov_b64 s[22:23], 0
	s_mov_b64 s[0:1], s[14:15]
	s_branch .LBB86_317
.LBB86_277:
	s_mov_b64 s[22:23], -1
	s_mov_b64 s[0:1], 0
	s_mov_b64 s[20:21], s[16:17]
                                        ; implicit-def: $vgpr3
	s_branch .LBB86_403
.LBB86_278:
	s_mov_b64 s[26:27], -1
	s_mov_b64 s[22:23], 0
	s_mov_b64 s[0:1], s[14:15]
	s_branch .LBB86_300
.LBB86_279:
	s_or_saveexec_b64 s[24:25], s[24:25]
                                        ; implicit-def: $sgpr26
	s_xor_b64 exec, exec, s[24:25]
	s_cbranch_execz .LBB86_55
.LBB86_280:
	s_mov_b32 s26, 0x46000000
	v_add_f32_e64 v6, |v3|, s26
	v_and_b32_e32 v6, 0xff, v6
	v_cmp_ne_u32_e32 vcc, 0, v6
	s_andn2_b64 s[20:21], s[20:21], exec
	s_and_b64 s[28:29], vcc, exec
	s_mov_b32 s26, 0
	s_or_b64 s[20:21], s[20:21], s[28:29]
	s_or_b64 exec, exec, s[24:25]
	v_mov_b32_e32 v7, s26
	s_and_saveexec_b64 s[24:25], s[20:21]
	s_cbranch_execnz .LBB86_56
	s_branch .LBB86_57
.LBB86_281:
	s_mov_b64 s[22:23], -1
	s_mov_b64 s[0:1], 0
	s_mov_b64 s[20:21], s[16:17]
                                        ; implicit-def: $vgpr3
	s_branch .LBB86_286
.LBB86_282:
	s_mov_b64 s[26:27], -1
	s_mov_b64 s[22:23], 0
	s_mov_b64 s[0:1], s[14:15]
	s_branch .LBB86_296
.LBB86_283:
	s_or_saveexec_b64 s[24:25], s[24:25]
                                        ; implicit-def: $sgpr26
	s_xor_b64 exec, exec, s[24:25]
	s_cbranch_execz .LBB86_68
.LBB86_284:
	s_mov_b32 s26, 0x42800000
	v_add_f32_e64 v6, |v3|, s26
	v_and_b32_e32 v6, 0xff, v6
	v_cmp_ne_u32_e32 vcc, 0, v6
	s_andn2_b64 s[20:21], s[20:21], exec
	s_and_b64 s[28:29], vcc, exec
	s_mov_b32 s26, 0
	s_or_b64 s[20:21], s[20:21], s[28:29]
	s_or_b64 exec, exec, s[24:25]
	v_mov_b32_e32 v7, s26
	s_and_saveexec_b64 s[24:25], s[20:21]
	s_cbranch_execnz .LBB86_69
	s_branch .LBB86_70
.LBB86_285:
	s_mov_b64 s[20:21], -1
                                        ; implicit-def: $vgpr3
	s_mov_b64 s[0:1], 0
.LBB86_286:
	s_and_b64 vcc, exec, s[22:23]
	s_cbranch_vccz .LBB86_402
; %bb.287:
	v_cmp_eq_u16_e32 vcc, 44, v5
	s_cbranch_vccz .LBB86_401
; %bb.288:
	global_load_ubyte v2, v[0:1], off
	s_movk_i32 s20, 0xff
	s_waitcnt vmcnt(1)
	v_mov_b32_e32 v3, 0x7f800001
	v_mov_b32_e32 v6, 0x400000
	s_mov_b64 s[0:1], -1
	s_waitcnt vmcnt(0)
	v_lshlrev_b32_e32 v7, 23, v2
	v_cmp_ne_u32_e32 vcc, s20, v2
	v_cndmask_b32_e32 v3, v3, v7, vcc
	v_cmp_ne_u32_e32 vcc, 0, v2
	v_cndmask_b32_e32 v3, v6, v3, vcc
	s_mov_b64 s[20:21], 0
	s_branch .LBB86_402
.LBB86_289:
	s_mov_b64 s[26:27], -1
	s_mov_b64 s[22:23], 0
	s_mov_b64 s[0:1], s[14:15]
.LBB86_290:
	s_and_b64 vcc, exec, s[26:27]
	s_cbranch_vccz .LBB86_295
; %bb.291:
	v_mov_b32_e32 v6, 44
	v_cmp_eq_u16_sdwa s[26:27], s3, v6 src0_sel:BYTE_0 src1_sel:DWORD
	s_mov_b64 s[0:1], -1
	s_and_b64 vcc, exec, s[26:27]
	s_cbranch_vccz .LBB86_295
; %bb.292:
	v_bfe_u32 v6, v2, 23, 8
	s_movk_i32 s0, 0xff
	v_cmp_ne_u32_e32 vcc, s0, v6
	v_mov_b32_e32 v7, 0xff
	s_and_saveexec_b64 s[22:23], vcc
; %bb.293:
	s_mov_b32 s0, 0x3fffff
	v_and_b32_e32 v8, 0x400000, v2
	v_and_or_b32 v6, v2, s0, v6
	v_cmp_ne_u32_e32 vcc, 0, v8
	v_cmp_ne_u32_e64 s[0:1], 0, v6
	s_and_b64 s[0:1], vcc, s[0:1]
	v_lshrrev_b32_e32 v7, 23, v2
	v_cndmask_b32_e64 v6, 0, 1, s[0:1]
	v_add_u32_e32 v7, v7, v6
; %bb.294:
	s_or_b64 exec, exec, s[22:23]
	s_mov_b64 s[22:23], -1
	s_mov_b64 s[0:1], 0
	global_store_byte v[0:1], v7, off
.LBB86_295:
	s_mov_b64 s[26:27], 0
.LBB86_296:
	s_and_b64 vcc, exec, s[26:27]
	s_cbranch_vccz .LBB86_299
; %bb.297:
	v_mov_b32_e32 v6, 29
	v_cmp_eq_u16_sdwa s[26:27], s3, v6 src0_sel:BYTE_0 src1_sel:DWORD
	s_mov_b64 s[0:1], -1
	s_and_b64 vcc, exec, s[26:27]
	s_cbranch_vccz .LBB86_299
; %bb.298:
	v_trunc_f32_e32 v6, v2
	v_mul_f32_e32 v7, 0x2f800000, v6
	v_floor_f32_e32 v8, v7
	v_fmac_f32_e32 v6, 0xcf800000, v8
	v_cvt_u32_f32_e32 v7, v8
	v_cvt_u32_f32_e32 v6, v6
	s_mov_b64 s[22:23], -1
	s_mov_b64 s[0:1], 0
	s_mov_b64 s[26:27], 0
	global_store_dwordx2 v[0:1], v[6:7], off
	s_branch .LBB86_300
.LBB86_299:
	s_mov_b64 s[26:27], 0
.LBB86_300:
	s_and_b64 vcc, exec, s[26:27]
	s_cbranch_vccz .LBB86_316
; %bb.301:
	v_mov_b32_e32 v6, 27
	v_cmp_lt_i16_sdwa s[26:27], s3, v6 src0_sel:BYTE_0 src1_sel:DWORD
	s_mov_b64 s[22:23], -1
	s_and_b64 vcc, exec, s[26:27]
	s_cbranch_vccnz .LBB86_307
; %bb.302:
	v_cmp_gt_i16_sdwa s[26:27], s3, v6 src0_sel:BYTE_0 src1_sel:DWORD
	v_cvt_u32_f32_e32 v6, v2
	s_and_b64 vcc, exec, s[26:27]
	s_cbranch_vccz .LBB86_304
; %bb.303:
	s_mov_b64 s[22:23], 0
	global_store_dword v[0:1], v6, off
.LBB86_304:
	s_andn2_b64 vcc, exec, s[22:23]
	s_cbranch_vccnz .LBB86_306
; %bb.305:
	global_store_short v[0:1], v6, off
.LBB86_306:
	s_mov_b64 s[22:23], 0
.LBB86_307:
	s_andn2_b64 vcc, exec, s[22:23]
	s_cbranch_vccnz .LBB86_315
; %bb.308:
	v_and_b32_e32 v6, 0x7fffffff, v3
	s_mov_b32 s22, 0x43800000
	v_cmp_gt_u32_e32 vcc, s22, v6
	v_mov_b32_e32 v7, 0x80
	s_and_saveexec_b64 s[22:23], vcc
	s_cbranch_execz .LBB86_314
; %bb.309:
	s_mov_b32 s26, 0x3bffffff
	v_cmp_lt_u32_e32 vcc, s26, v6
	s_mov_b64 s[26:27], 0
                                        ; implicit-def: $vgpr6
	s_and_saveexec_b64 s[28:29], vcc
	s_xor_b64 s[28:29], exec, s[28:29]
	s_cbranch_execz .LBB86_526
; %bb.310:
	v_bfe_u32 v6, v2, 20, 1
	s_mov_b32 s30, 0x487ffff
	v_add3_u32 v6, v2, v6, s30
	s_mov_b64 s[26:27], exec
	v_lshrrev_b32_e32 v6, 20, v6
	s_or_saveexec_b64 s[28:29], s[28:29]
                                        ; implicit-def: $sgpr30
	s_xor_b64 exec, exec, s[28:29]
	s_cbranch_execnz .LBB86_527
.LBB86_311:
	s_or_b64 exec, exec, s[28:29]
	v_mov_b32_e32 v7, s30
	s_and_saveexec_b64 s[28:29], s[26:27]
.LBB86_312:
	v_lshrrev_b32_e32 v7, 24, v2
	s_movk_i32 s26, 0x80
	v_and_or_b32 v7, v7, s26, v6
.LBB86_313:
	s_or_b64 exec, exec, s[28:29]
.LBB86_314:
	s_or_b64 exec, exec, s[22:23]
	global_store_byte v[0:1], v7, off
.LBB86_315:
	s_mov_b64 s[22:23], -1
.LBB86_316:
	s_mov_b64 s[26:27], 0
.LBB86_317:
	s_and_b64 vcc, exec, s[26:27]
	s_cbranch_vccz .LBB86_358
; %bb.318:
	v_mov_b32_e32 v6, 22
	v_cmp_gt_i16_sdwa s[28:29], s3, v6 src0_sel:BYTE_0 src1_sel:DWORD
	s_mov_b64 s[26:27], -1
	s_and_b64 vcc, exec, s[28:29]
	s_cbranch_vccz .LBB86_350
; %bb.319:
	v_mov_b32_e32 v6, 24
	v_cmp_lt_i16_sdwa s[26:27], s3, v6 src0_sel:BYTE_0 src1_sel:DWORD
	s_mov_b64 s[22:23], -1
	s_and_b64 vcc, exec, s[26:27]
	s_cbranch_vccnz .LBB86_339
; %bb.320:
	v_cmp_gt_i16_sdwa s[26:27], s3, v6 src0_sel:BYTE_0 src1_sel:DWORD
	s_and_b64 vcc, exec, s[26:27]
	s_cbranch_vccz .LBB86_328
; %bb.321:
	v_and_b32_e32 v6, 0x7fffffff, v3
	s_mov_b32 s22, 0x47800000
	v_cmp_gt_u32_e32 vcc, s22, v6
	v_mov_b32_e32 v7, 0x80
	s_and_saveexec_b64 s[22:23], vcc
	s_cbranch_execz .LBB86_327
; %bb.322:
	s_mov_b32 s26, 0x37ffffff
	v_cmp_lt_u32_e32 vcc, s26, v6
	s_mov_b64 s[26:27], 0
                                        ; implicit-def: $vgpr6
	s_and_saveexec_b64 s[28:29], vcc
	s_xor_b64 s[28:29], exec, s[28:29]
	s_cbranch_execz .LBB86_529
; %bb.323:
	v_bfe_u32 v6, v2, 21, 1
	s_mov_b32 s30, 0x88fffff
	v_add3_u32 v6, v2, v6, s30
	s_mov_b64 s[26:27], exec
	v_lshrrev_b32_e32 v6, 21, v6
	s_or_saveexec_b64 s[28:29], s[28:29]
                                        ; implicit-def: $sgpr30
	s_xor_b64 exec, exec, s[28:29]
	s_cbranch_execnz .LBB86_530
.LBB86_324:
	s_or_b64 exec, exec, s[28:29]
	v_mov_b32_e32 v7, s30
	s_and_saveexec_b64 s[28:29], s[26:27]
.LBB86_325:
	v_lshrrev_b32_e32 v7, 24, v2
	s_movk_i32 s26, 0x80
	v_and_or_b32 v7, v7, s26, v6
.LBB86_326:
	s_or_b64 exec, exec, s[28:29]
.LBB86_327:
	s_or_b64 exec, exec, s[22:23]
	s_mov_b64 s[22:23], 0
	global_store_byte v[0:1], v7, off
.LBB86_328:
	s_and_b64 vcc, exec, s[22:23]
	s_cbranch_vccz .LBB86_338
; %bb.329:
	v_and_b32_e32 v7, 0x7fffffff, v3
	s_mov_b32 s22, 0x43f00000
	v_cmp_gt_u32_e32 vcc, s22, v7
                                        ; implicit-def: $vgpr6
	s_and_saveexec_b64 s[22:23], vcc
	s_xor_b64 s[22:23], exec, s[22:23]
	s_cbranch_execz .LBB86_335
; %bb.330:
	s_mov_b32 s26, 0x3c7fffff
	v_cmp_lt_u32_e32 vcc, s26, v7
                                        ; implicit-def: $vgpr6
	s_and_saveexec_b64 s[26:27], vcc
	s_xor_b64 s[26:27], exec, s[26:27]
; %bb.331:
	v_bfe_u32 v6, v2, 20, 1
	s_mov_b32 s28, 0x407ffff
	v_add3_u32 v6, v2, v6, s28
	v_lshrrev_b32_e32 v7, 20, v6
	v_and_b32_e32 v6, 0xff00000, v6
	s_mov_b32 s28, 0x7f00000
	v_mov_b32_e32 v8, 0x7e
	v_cmp_ne_u32_e32 vcc, s28, v6
	v_cndmask_b32_e32 v6, v8, v7, vcc
; %bb.332:
	s_andn2_saveexec_b64 s[26:27], s[26:27]
; %bb.333:
	s_mov_b32 s28, 0x46800000
	v_add_f32_e64 v6, |v3|, s28
; %bb.334:
	s_or_b64 exec, exec, s[26:27]
                                        ; implicit-def: $vgpr7
.LBB86_335:
	s_andn2_saveexec_b64 s[22:23], s[22:23]
; %bb.336:
	s_mov_b32 s26, 0x7f800000
	v_mov_b32_e32 v6, 0x7e
	v_mov_b32_e32 v8, 0x7f
	v_cmp_lt_u32_e32 vcc, s26, v7
	v_cndmask_b32_e32 v6, v6, v8, vcc
; %bb.337:
	s_or_b64 exec, exec, s[22:23]
	v_lshrrev_b32_e32 v7, 24, v2
	s_movk_i32 s22, 0x80
	v_and_or_b32 v6, v7, s22, v6
	global_store_byte v[0:1], v6, off
.LBB86_338:
	s_mov_b64 s[22:23], 0
.LBB86_339:
	s_andn2_b64 vcc, exec, s[22:23]
	s_cbranch_vccnz .LBB86_349
; %bb.340:
	v_and_b32_e32 v7, 0x7fffffff, v3
	s_mov_b32 s22, 0x47800000
	v_cmp_gt_u32_e32 vcc, s22, v7
                                        ; implicit-def: $vgpr6
	s_and_saveexec_b64 s[22:23], vcc
	s_xor_b64 s[22:23], exec, s[22:23]
	s_cbranch_execz .LBB86_346
; %bb.341:
	s_mov_b32 s26, 0x387fffff
	v_cmp_lt_u32_e32 vcc, s26, v7
                                        ; implicit-def: $vgpr6
	s_and_saveexec_b64 s[26:27], vcc
	s_xor_b64 s[26:27], exec, s[26:27]
; %bb.342:
	v_bfe_u32 v3, v2, 21, 1
	s_mov_b32 s28, 0x80fffff
	v_add3_u32 v3, v2, v3, s28
	v_lshrrev_b32_e32 v6, 21, v3
                                        ; implicit-def: $vgpr3
; %bb.343:
	s_andn2_saveexec_b64 s[26:27], s[26:27]
; %bb.344:
	s_mov_b32 s28, 0x43000000
	v_add_f32_e64 v6, |v3|, s28
; %bb.345:
	s_or_b64 exec, exec, s[26:27]
                                        ; implicit-def: $vgpr7
.LBB86_346:
	s_andn2_saveexec_b64 s[22:23], s[22:23]
; %bb.347:
	s_mov_b32 s26, 0x7f800000
	v_mov_b32_e32 v3, 0x7c
	v_mov_b32_e32 v6, 0x7f
	v_cmp_lt_u32_e32 vcc, s26, v7
	v_cndmask_b32_e32 v6, v3, v6, vcc
; %bb.348:
	s_or_b64 exec, exec, s[22:23]
	v_lshrrev_b32_e32 v3, 24, v2
	s_movk_i32 s22, 0x80
	v_and_or_b32 v3, v3, s22, v6
	global_store_byte v[0:1], v3, off
.LBB86_349:
	s_mov_b64 s[26:27], 0
	s_mov_b64 s[22:23], -1
.LBB86_350:
	s_andn2_b64 vcc, exec, s[26:27]
	s_cbranch_vccnz .LBB86_358
; %bb.351:
	v_mov_b32_e32 v3, 14
	v_cmp_gt_i16_sdwa s[28:29], s3, v3 src0_sel:BYTE_0 src1_sel:DWORD
	s_mov_b64 s[26:27], -1
	s_and_b64 vcc, exec, s[28:29]
	s_cbranch_vccz .LBB86_355
; %bb.352:
	v_mov_b32_e32 v3, 15
	v_cmp_eq_u16_sdwa s[26:27], s3, v3 src0_sel:BYTE_0 src1_sel:DWORD
	s_mov_b64 s[0:1], -1
	s_and_b64 vcc, exec, s[26:27]
	s_cbranch_vccz .LBB86_354
; %bb.353:
	v_bfe_u32 v3, v2, 16, 1
	s_movk_i32 s0, 0x7fff
	v_add3_u32 v3, v2, v3, s0
	v_lshrrev_b32_e32 v3, 16, v3
	v_mov_b32_e32 v6, 0x7fc0
	v_cmp_o_f32_e32 vcc, v2, v2
	v_cndmask_b32_e32 v3, v6, v3, vcc
	global_store_short v[0:1], v3, off
	s_mov_b64 s[22:23], -1
	s_mov_b64 s[0:1], 0
.LBB86_354:
	s_mov_b64 s[26:27], 0
.LBB86_355:
	s_and_b64 vcc, exec, s[26:27]
	s_cbranch_vccz .LBB86_358
; %bb.356:
	v_mov_b32_e32 v3, 11
	v_cmp_eq_u16_sdwa s[26:27], s3, v3 src0_sel:BYTE_0 src1_sel:DWORD
	s_mov_b64 s[0:1], -1
	s_and_b64 vcc, exec, s[26:27]
	s_cbranch_vccz .LBB86_358
; %bb.357:
	v_cmp_neq_f32_e32 vcc, 0, v2
	v_cndmask_b32_e64 v3, 0, 1, vcc
	s_mov_b64 s[22:23], -1
	s_mov_b64 s[0:1], 0
	global_store_byte v[0:1], v3, off
.LBB86_358:
	s_mov_b64 s[26:27], 0
.LBB86_359:
	s_and_b64 vcc, exec, s[26:27]
	s_cbranch_vccz .LBB86_398
; %bb.360:
	v_mov_b32_e32 v3, 5
	v_cmp_lt_i16_sdwa s[26:27], s3, v3 src0_sel:BYTE_0 src1_sel:DWORD
	s_mov_b64 s[22:23], -1
	s_and_b64 vcc, exec, s[26:27]
	s_cbranch_vccnz .LBB86_381
; %bb.361:
	v_mov_b32_e32 v3, 8
	v_cmp_lt_i16_sdwa s[26:27], s3, v3 src0_sel:BYTE_0 src1_sel:DWORD
	s_and_b64 vcc, exec, s[26:27]
	s_cbranch_vccnz .LBB86_371
; %bb.362:
	v_mov_b32_e32 v3, 9
	v_cmp_lt_i16_sdwa s[26:27], s3, v3 src0_sel:BYTE_0 src1_sel:DWORD
	s_and_b64 vcc, exec, s[26:27]
	s_cbranch_vccnz .LBB86_368
; %bb.363:
	v_cmp_gt_i16_sdwa s[26:27], s3, v3 src0_sel:BYTE_0 src1_sel:DWORD
	s_and_b64 vcc, exec, s[26:27]
	s_cbranch_vccz .LBB86_365
; %bb.364:
	v_mov_b32_e32 v8, 0
	v_cvt_f64_f32_e32 v[6:7], v2
	v_mov_b32_e32 v9, v8
	s_mov_b64 s[22:23], 0
	global_store_dwordx4 v[0:1], v[6:9], off
.LBB86_365:
	s_andn2_b64 vcc, exec, s[22:23]
	s_cbranch_vccnz .LBB86_367
; %bb.366:
	v_mov_b32_e32 v3, 0
	global_store_dwordx2 v[0:1], v[2:3], off
.LBB86_367:
	s_mov_b64 s[22:23], 0
.LBB86_368:
	s_andn2_b64 vcc, exec, s[22:23]
	s_cbranch_vccnz .LBB86_370
; %bb.369:
	v_cvt_f16_f32_e32 v3, v2
	global_store_dword v[0:1], v3, off
.LBB86_370:
	s_mov_b64 s[22:23], 0
.LBB86_371:
	s_andn2_b64 vcc, exec, s[22:23]
	s_cbranch_vccnz .LBB86_380
; %bb.372:
	v_mov_b32_e32 v3, 6
	v_cmp_lt_i16_sdwa s[26:27], s3, v3 src0_sel:BYTE_0 src1_sel:DWORD
	s_mov_b64 s[22:23], -1
	s_and_b64 vcc, exec, s[26:27]
	s_cbranch_vccnz .LBB86_378
; %bb.373:
	v_cmp_gt_i16_sdwa s[26:27], s3, v3 src0_sel:BYTE_0 src1_sel:DWORD
	s_and_b64 vcc, exec, s[26:27]
	s_cbranch_vccz .LBB86_375
; %bb.374:
	v_cvt_f64_f32_e32 v[6:7], v2
	s_mov_b64 s[22:23], 0
	global_store_dwordx2 v[0:1], v[6:7], off
.LBB86_375:
	s_andn2_b64 vcc, exec, s[22:23]
	s_cbranch_vccnz .LBB86_377
; %bb.376:
	global_store_dword v[0:1], v2, off
.LBB86_377:
	s_mov_b64 s[22:23], 0
.LBB86_378:
	s_andn2_b64 vcc, exec, s[22:23]
	s_cbranch_vccnz .LBB86_380
; %bb.379:
	v_cvt_f16_f32_e32 v3, v2
	global_store_short v[0:1], v3, off
.LBB86_380:
	s_mov_b64 s[22:23], 0
.LBB86_381:
	s_andn2_b64 vcc, exec, s[22:23]
	s_cbranch_vccnz .LBB86_397
; %bb.382:
	v_mov_b32_e32 v3, 2
	v_cmp_lt_i16_sdwa s[26:27], s3, v3 src0_sel:BYTE_0 src1_sel:DWORD
	s_mov_b64 s[22:23], -1
	s_and_b64 vcc, exec, s[26:27]
	s_cbranch_vccnz .LBB86_392
; %bb.383:
	v_mov_b32_e32 v3, 3
	v_cmp_lt_i16_sdwa s[26:27], s3, v3 src0_sel:BYTE_0 src1_sel:DWORD
	s_and_b64 vcc, exec, s[26:27]
	s_cbranch_vccnz .LBB86_389
; %bb.384:
	v_cmp_gt_i16_sdwa s[26:27], s3, v3 src0_sel:BYTE_0 src1_sel:DWORD
	s_and_b64 vcc, exec, s[26:27]
	s_cbranch_vccz .LBB86_386
; %bb.385:
	v_trunc_f32_e32 v3, v2
	s_mov_b32 s22, 0x2f800000
	v_mul_f32_e64 v6, |v3|, s22
	v_floor_f32_e32 v6, v6
	s_mov_b32 s22, 0xcf800000
	v_cvt_u32_f32_e32 v7, v6
	v_fma_f32 v6, v6, s22, |v3|
	v_cvt_u32_f32_e32 v6, v6
	v_ashrrev_i32_e32 v3, 31, v3
	v_xor_b32_e32 v7, v7, v3
	s_mov_b64 s[22:23], 0
	v_xor_b32_e32 v6, v6, v3
	v_sub_co_u32_e32 v6, vcc, v6, v3
	v_subb_co_u32_e32 v7, vcc, v7, v3, vcc
	global_store_dwordx2 v[0:1], v[6:7], off
.LBB86_386:
	s_andn2_b64 vcc, exec, s[22:23]
	s_cbranch_vccnz .LBB86_388
; %bb.387:
	v_cvt_i32_f32_e32 v3, v2
	global_store_dword v[0:1], v3, off
.LBB86_388:
	s_mov_b64 s[22:23], 0
.LBB86_389:
	s_andn2_b64 vcc, exec, s[22:23]
	s_cbranch_vccnz .LBB86_391
; %bb.390:
	v_cvt_i32_f32_e32 v3, v2
	global_store_short v[0:1], v3, off
.LBB86_391:
	s_mov_b64 s[22:23], 0
.LBB86_392:
	s_andn2_b64 vcc, exec, s[22:23]
	s_cbranch_vccnz .LBB86_397
; %bb.393:
	v_mov_b32_e32 v3, 0
	v_cmp_gt_i16_sdwa s[26:27], s3, v3 src0_sel:BYTE_0 src1_sel:DWORD
	s_mov_b64 s[22:23], -1
	s_and_b64 vcc, exec, s[26:27]
	s_cbranch_vccz .LBB86_395
; %bb.394:
	v_cvt_i32_f32_e32 v3, v2
	s_mov_b64 s[22:23], 0
	global_store_byte v[0:1], v3, off
.LBB86_395:
	s_andn2_b64 vcc, exec, s[22:23]
	s_cbranch_vccnz .LBB86_397
; %bb.396:
	v_trunc_f32_e32 v2, v2
	s_mov_b32 s22, 0x2f800000
	v_mul_f32_e64 v3, |v2|, s22
	v_floor_f32_e32 v3, v3
	s_mov_b32 s22, 0xcf800000
	v_fma_f32 v3, v3, s22, |v2|
	v_cvt_u32_f32_e32 v3, v3
	v_ashrrev_i32_e32 v2, 31, v2
	v_xor_b32_e32 v3, v3, v2
	v_sub_u32_e32 v2, v3, v2
	global_store_byte v[0:1], v2, off
.LBB86_397:
	s_mov_b64 s[22:23], -1
.LBB86_398:
	s_andn2_b64 vcc, exec, s[22:23]
	s_cbranch_vccnz .LBB86_400
; %bb.399:
	v_add_u32_e32 v4, 0x80, v4
	s_mov_b64 s[26:27], -1
	s_branch .LBB86_512
.LBB86_400:
	s_mov_b64 s[26:27], 0
                                        ; implicit-def: $vgpr4
	s_branch .LBB86_512
.LBB86_401:
	s_mov_b64 s[20:21], -1
                                        ; implicit-def: $vgpr3
.LBB86_402:
	s_mov_b64 s[22:23], 0
.LBB86_403:
	s_and_b64 vcc, exec, s[22:23]
	s_cbranch_vccz .LBB86_407
; %bb.404:
	v_cmp_eq_u16_e32 vcc, 29, v5
	s_cbranch_vccz .LBB86_406
; %bb.405:
	global_load_dwordx2 v[2:3], v[0:1], off
	s_mov_b64 s[0:1], -1
	s_mov_b64 s[20:21], 0
	s_mov_b64 s[22:23], 0
	s_waitcnt vmcnt(0)
	v_ffbh_u32_e32 v6, v3
	v_min_u32_e32 v6, 32, v6
	v_lshlrev_b64 v[2:3], v6, v[2:3]
	v_min_u32_e32 v2, 1, v2
	v_or_b32_e32 v2, v3, v2
	v_cvt_f32_u32_e32 v2, v2
	v_sub_u32_e32 v3, 32, v6
	v_ldexp_f32 v3, v2, v3
	s_branch .LBB86_408
.LBB86_406:
	s_mov_b64 s[20:21], -1
                                        ; implicit-def: $vgpr3
.LBB86_407:
	s_mov_b64 s[22:23], 0
.LBB86_408:
	s_and_b64 vcc, exec, s[22:23]
	s_cbranch_vccz .LBB86_426
; %bb.409:
	v_cmp_gt_i16_e32 vcc, 27, v5
	s_cbranch_vccnz .LBB86_412
; %bb.410:
	v_cmp_lt_i16_e32 vcc, 27, v5
	s_cbranch_vccz .LBB86_413
; %bb.411:
	global_load_dword v2, v[0:1], off
	s_mov_b64 s[0:1], 0
	s_waitcnt vmcnt(0)
	v_cvt_f32_u32_e32 v3, v2
	s_branch .LBB86_414
.LBB86_412:
	s_mov_b64 s[0:1], -1
                                        ; implicit-def: $vgpr3
	s_branch .LBB86_417
.LBB86_413:
	s_mov_b64 s[0:1], -1
                                        ; implicit-def: $vgpr3
.LBB86_414:
	s_andn2_b64 vcc, exec, s[0:1]
	s_cbranch_vccnz .LBB86_416
; %bb.415:
	global_load_ushort v2, v[0:1], off
	s_waitcnt vmcnt(0)
	v_cvt_f32_u32_e32 v3, v2
.LBB86_416:
	s_mov_b64 s[0:1], 0
.LBB86_417:
	s_andn2_b64 vcc, exec, s[0:1]
	s_cbranch_vccnz .LBB86_425
; %bb.418:
	global_load_ubyte v2, v[0:1], off
	s_movk_i32 s0, 0x7f
                                        ; implicit-def: $sgpr28
	s_waitcnt vmcnt(0)
	v_cmp_lt_i16_e32 vcc, s0, v2
	s_mov_b64 s[0:1], 0
	s_and_saveexec_b64 s[22:23], vcc
	s_xor_b64 s[22:23], exec, s[22:23]
	s_cbranch_execz .LBB86_439
; %bb.419:
	s_movk_i32 s0, 0x80
	v_cmp_eq_u16_e32 vcc, s0, v2
	s_mov_b64 s[0:1], -1
                                        ; implicit-def: $sgpr28
	s_and_saveexec_b64 s[26:27], vcc
; %bb.420:
	s_mov_b32 s28, 0x7f800001
	s_xor_b64 s[0:1], exec, -1
; %bb.421:
	s_or_b64 exec, exec, s[26:27]
	s_and_b64 s[0:1], s[0:1], exec
	s_or_saveexec_b64 s[22:23], s[22:23]
	v_mov_b32_e32 v3, s28
	s_xor_b64 exec, exec, s[22:23]
	s_cbranch_execnz .LBB86_440
.LBB86_422:
	s_or_b64 exec, exec, s[22:23]
	s_and_saveexec_b64 s[22:23], s[0:1]
	s_cbranch_execz .LBB86_424
.LBB86_423:
	v_lshlrev_b32_e32 v3, 24, v2
	v_and_b32_e32 v2, 0xffff, v2
	v_and_b32_e32 v6, 7, v2
	v_ffbh_u32_e32 v8, v6
	v_min_u32_e32 v8, 32, v8
	v_subrev_u32_e32 v9, 28, v8
	v_bfe_u32 v7, v2, 3, 4
	v_lshlrev_b32_e32 v2, v9, v2
	v_sub_u32_e32 v8, 29, v8
	v_and_b32_e32 v2, 7, v2
	v_cmp_eq_u32_e32 vcc, 0, v7
	v_cndmask_b32_e32 v7, v7, v8, vcc
	v_cndmask_b32_e32 v2, v6, v2, vcc
	v_mov_b32_e32 v6, 0x3b800000
	v_lshlrev_b32_e32 v2, 20, v2
	v_and_b32_e32 v3, 0x80000000, v3
	v_lshl_add_u32 v6, v7, 23, v6
	v_or3_b32 v3, v3, v6, v2
.LBB86_424:
	s_or_b64 exec, exec, s[22:23]
.LBB86_425:
	s_mov_b64 s[0:1], -1
.LBB86_426:
	s_mov_b64 s[22:23], 0
.LBB86_427:
	s_and_b64 vcc, exec, s[22:23]
	s_cbranch_vccz .LBB86_462
; %bb.428:
	v_cmp_lt_i16_e32 vcc, 22, v5
	s_cbranch_vccz .LBB86_438
; %bb.429:
	v_cmp_gt_i16_e32 vcc, 24, v5
	s_cbranch_vccnz .LBB86_441
; %bb.430:
	v_cmp_lt_i16_e32 vcc, 24, v5
	s_cbranch_vccz .LBB86_442
; %bb.431:
	global_load_ubyte v2, v[0:1], off
	s_movk_i32 s0, 0x7f
                                        ; implicit-def: $sgpr28
	s_waitcnt vmcnt(0)
	v_cmp_lt_i16_e32 vcc, s0, v2
	s_mov_b64 s[0:1], 0
	s_and_saveexec_b64 s[22:23], vcc
	s_xor_b64 s[22:23], exec, s[22:23]
	s_cbranch_execz .LBB86_454
; %bb.432:
	s_movk_i32 s0, 0x80
	v_cmp_eq_u16_e32 vcc, s0, v2
	s_mov_b64 s[0:1], -1
                                        ; implicit-def: $sgpr28
	s_and_saveexec_b64 s[26:27], vcc
; %bb.433:
	s_mov_b32 s28, 0x7f800001
	s_xor_b64 s[0:1], exec, -1
; %bb.434:
	s_or_b64 exec, exec, s[26:27]
	s_and_b64 s[0:1], s[0:1], exec
	s_or_saveexec_b64 s[22:23], s[22:23]
	v_mov_b32_e32 v3, s28
	s_xor_b64 exec, exec, s[22:23]
	s_cbranch_execnz .LBB86_455
.LBB86_435:
	s_or_b64 exec, exec, s[22:23]
	s_and_saveexec_b64 s[22:23], s[0:1]
	s_cbranch_execz .LBB86_437
.LBB86_436:
	v_lshlrev_b32_e32 v3, 24, v2
	v_and_b32_e32 v2, 0xffff, v2
	v_and_b32_e32 v6, 3, v2
	v_ffbh_u32_e32 v8, v6
	v_min_u32_e32 v8, 32, v8
	v_subrev_u32_e32 v9, 29, v8
	v_bfe_u32 v7, v2, 2, 5
	v_lshlrev_b32_e32 v2, v9, v2
	v_sub_u32_e32 v8, 30, v8
	v_and_b32_e32 v2, 3, v2
	v_cmp_eq_u32_e32 vcc, 0, v7
	v_cndmask_b32_e32 v7, v7, v8, vcc
	v_cndmask_b32_e32 v2, v6, v2, vcc
	v_mov_b32_e32 v6, 0x37800000
	v_lshlrev_b32_e32 v2, 21, v2
	v_and_b32_e32 v3, 0x80000000, v3
	v_lshl_add_u32 v6, v7, 23, v6
	v_or3_b32 v3, v3, v6, v2
.LBB86_437:
	s_or_b64 exec, exec, s[22:23]
	s_mov_b64 s[0:1], 0
	s_branch .LBB86_443
.LBB86_438:
	s_mov_b64 s[22:23], -1
                                        ; implicit-def: $vgpr3
	s_branch .LBB86_449
.LBB86_439:
	s_or_saveexec_b64 s[22:23], s[22:23]
	v_mov_b32_e32 v3, s28
	s_xor_b64 exec, exec, s[22:23]
	s_cbranch_execz .LBB86_422
.LBB86_440:
	v_cmp_ne_u16_e32 vcc, 0, v2
	s_andn2_b64 s[0:1], s[0:1], exec
	s_and_b64 s[26:27], vcc, exec
	v_mov_b32_e32 v3, 0
	s_or_b64 s[0:1], s[0:1], s[26:27]
	s_or_b64 exec, exec, s[22:23]
	s_and_saveexec_b64 s[22:23], s[0:1]
	s_cbranch_execnz .LBB86_423
	s_branch .LBB86_424
.LBB86_441:
	s_mov_b64 s[0:1], -1
                                        ; implicit-def: $vgpr3
	s_branch .LBB86_446
.LBB86_442:
	s_mov_b64 s[0:1], -1
                                        ; implicit-def: $vgpr3
.LBB86_443:
	s_and_b64 vcc, exec, s[0:1]
	s_cbranch_vccz .LBB86_445
; %bb.444:
	global_load_ubyte v2, v[0:1], off
	s_mov_b32 s0, 0x7f800000
	s_waitcnt vmcnt(0)
	v_lshlrev_b32_e32 v2, 24, v2
	v_and_b32_e32 v3, 0x7f000000, v2
	v_ffbh_u32_e32 v6, v3
	v_min_u32_e32 v6, 32, v6
	v_sub_u32_e64 v6, v6, 4 clamp
	v_lshlrev_b32_e32 v8, v6, v3
	v_lshlrev_b32_e32 v6, 23, v6
	v_lshrrev_b32_e32 v8, 4, v8
	v_add_u32_e32 v7, 0x1000000, v3
	v_sub_u32_e32 v6, v8, v6
	v_ashrrev_i32_e32 v7, 8, v7
	v_add_u32_e32 v6, 0x3c000000, v6
	v_and_or_b32 v6, v7, s0, v6
	v_cmp_ne_u32_e32 vcc, 0, v3
	v_cndmask_b32_e32 v3, 0, v6, vcc
	s_brev_b32 s0, 1
	v_and_or_b32 v3, v2, s0, v3
.LBB86_445:
	s_mov_b64 s[0:1], 0
.LBB86_446:
	s_andn2_b64 vcc, exec, s[0:1]
	s_cbranch_vccnz .LBB86_448
; %bb.447:
	global_load_ubyte v2, v[0:1], off
	s_movk_i32 s0, 0x7f00
	s_brev_b32 s1, 16
	s_waitcnt vmcnt(0)
	v_lshlrev_b16_e32 v3, 8, v2
	v_lshlrev_b32_e32 v2, 25, v2
	v_lshrrev_b32_e32 v6, 4, v2
	v_and_or_b32 v7, v3, s0, 0.5
	v_or_b32_e32 v6, 0x70000000, v6
	v_add_f32_e32 v7, -0.5, v7
	v_mul_f32_e32 v6, 0x7800000, v6
	v_cmp_gt_u32_e32 vcc, s1, v2
	v_bfe_i32 v3, v3, 0, 16
	v_cndmask_b32_e32 v2, v6, v7, vcc
	s_brev_b32 s0, 1
	v_and_or_b32 v3, v3, s0, v2
.LBB86_448:
	s_mov_b64 s[22:23], 0
	s_mov_b64 s[0:1], -1
.LBB86_449:
	s_andn2_b64 vcc, exec, s[22:23]
	s_cbranch_vccnz .LBB86_462
; %bb.450:
	v_cmp_lt_i16_e32 vcc, 14, v5
	s_cbranch_vccz .LBB86_453
; %bb.451:
	v_cmp_eq_u16_e32 vcc, 15, v5
	s_cbranch_vccz .LBB86_456
; %bb.452:
	global_load_ushort v2, v[0:1], off
	s_mov_b64 s[0:1], -1
	s_mov_b64 s[20:21], 0
	s_waitcnt vmcnt(0)
	v_lshlrev_b32_e32 v3, 16, v2
	s_branch .LBB86_457
.LBB86_453:
	s_mov_b64 s[22:23], -1
                                        ; implicit-def: $vgpr3
	s_branch .LBB86_458
.LBB86_454:
	s_or_saveexec_b64 s[22:23], s[22:23]
	v_mov_b32_e32 v3, s28
	s_xor_b64 exec, exec, s[22:23]
	s_cbranch_execz .LBB86_435
.LBB86_455:
	v_cmp_ne_u16_e32 vcc, 0, v2
	s_andn2_b64 s[0:1], s[0:1], exec
	s_and_b64 s[26:27], vcc, exec
	v_mov_b32_e32 v3, 0
	s_or_b64 s[0:1], s[0:1], s[26:27]
	s_or_b64 exec, exec, s[22:23]
	s_and_saveexec_b64 s[22:23], s[0:1]
	s_cbranch_execnz .LBB86_436
	s_branch .LBB86_437
.LBB86_456:
	s_mov_b64 s[20:21], -1
                                        ; implicit-def: $vgpr3
.LBB86_457:
	s_mov_b64 s[22:23], 0
.LBB86_458:
	s_and_b64 vcc, exec, s[22:23]
	s_cbranch_vccz .LBB86_462
; %bb.459:
	v_cmp_eq_u16_e32 vcc, 11, v5
	s_cbranch_vccz .LBB86_461
; %bb.460:
	global_load_ubyte v2, v[0:1], off
	s_mov_b64 s[0:1], -1
	s_mov_b64 s[20:21], 0
	s_waitcnt vmcnt(0)
	v_cmp_ne_u16_e32 vcc, 0, v2
	v_cndmask_b32_e64 v3, 0, 1.0, vcc
	s_branch .LBB86_462
.LBB86_461:
	s_mov_b64 s[20:21], -1
                                        ; implicit-def: $vgpr3
.LBB86_462:
	s_branch .LBB86_265
.LBB86_463:
	v_cmp_gt_i16_e32 vcc, 5, v5
	s_cbranch_vccnz .LBB86_468
; %bb.464:
	v_cmp_gt_i16_e32 vcc, 8, v5
	s_cbranch_vccnz .LBB86_469
; %bb.465:
	;; [unrolled: 3-line block ×3, first 2 shown]
	v_cmp_lt_i16_e32 vcc, 9, v5
	s_cbranch_vccz .LBB86_471
; %bb.467:
	global_load_dwordx2 v[2:3], v[0:1], off
	s_mov_b64 s[0:1], 0
	s_waitcnt vmcnt(0)
	v_cvt_f32_f64_e32 v3, v[2:3]
	s_branch .LBB86_472
.LBB86_468:
	s_mov_b64 s[0:1], -1
                                        ; implicit-def: $vgpr3
	s_branch .LBB86_490
.LBB86_469:
	s_mov_b64 s[0:1], -1
                                        ; implicit-def: $vgpr3
	s_branch .LBB86_478
.LBB86_470:
	s_mov_b64 s[0:1], -1
                                        ; implicit-def: $vgpr3
	s_branch .LBB86_475
.LBB86_471:
	s_mov_b64 s[0:1], -1
                                        ; implicit-def: $vgpr3
.LBB86_472:
	s_andn2_b64 vcc, exec, s[0:1]
	s_cbranch_vccnz .LBB86_474
; %bb.473:
	global_load_dword v3, v[0:1], off
.LBB86_474:
	s_mov_b64 s[0:1], 0
.LBB86_475:
	s_andn2_b64 vcc, exec, s[0:1]
	s_cbranch_vccnz .LBB86_477
; %bb.476:
	global_load_dword v2, v[0:1], off
	s_waitcnt vmcnt(0)
	v_cvt_f32_f16_e32 v3, v2
.LBB86_477:
	s_mov_b64 s[0:1], 0
.LBB86_478:
	s_andn2_b64 vcc, exec, s[0:1]
	s_cbranch_vccnz .LBB86_489
; %bb.479:
	v_cmp_gt_i16_e32 vcc, 6, v5
	s_cbranch_vccnz .LBB86_482
; %bb.480:
	v_cmp_lt_i16_e32 vcc, 6, v5
	s_cbranch_vccz .LBB86_483
; %bb.481:
	global_load_dwordx2 v[2:3], v[0:1], off
	s_mov_b64 s[0:1], 0
	s_waitcnt vmcnt(0)
	v_cvt_f32_f64_e32 v3, v[2:3]
	s_branch .LBB86_484
.LBB86_482:
	s_mov_b64 s[0:1], -1
                                        ; implicit-def: $vgpr3
	s_branch .LBB86_487
.LBB86_483:
	s_mov_b64 s[0:1], -1
                                        ; implicit-def: $vgpr3
.LBB86_484:
	s_andn2_b64 vcc, exec, s[0:1]
	s_cbranch_vccnz .LBB86_486
; %bb.485:
	global_load_dword v3, v[0:1], off
.LBB86_486:
	s_mov_b64 s[0:1], 0
.LBB86_487:
	s_andn2_b64 vcc, exec, s[0:1]
	s_cbranch_vccnz .LBB86_489
; %bb.488:
	global_load_ushort v2, v[0:1], off
	s_waitcnt vmcnt(0)
	v_cvt_f32_f16_e32 v3, v2
.LBB86_489:
	s_mov_b64 s[0:1], 0
.LBB86_490:
	s_andn2_b64 vcc, exec, s[0:1]
	s_cbranch_vccnz .LBB86_510
; %bb.491:
	v_cmp_gt_i16_e32 vcc, 2, v5
	s_cbranch_vccnz .LBB86_495
; %bb.492:
	v_cmp_gt_i16_e32 vcc, 3, v5
	s_cbranch_vccnz .LBB86_496
; %bb.493:
	v_cmp_lt_i16_e32 vcc, 3, v5
	s_cbranch_vccz .LBB86_497
; %bb.494:
	global_load_dwordx2 v[2:3], v[0:1], off
	s_mov_b64 s[0:1], 0
	s_waitcnt vmcnt(0)
	v_xor_b32_e32 v7, v2, v3
	v_ffbh_i32_e32 v6, v3
	v_ashrrev_i32_e32 v7, 31, v7
	v_add_u32_e32 v6, -1, v6
	v_add_u32_e32 v7, 32, v7
	v_min_u32_e32 v6, v6, v7
	v_lshlrev_b64 v[2:3], v6, v[2:3]
	v_min_u32_e32 v2, 1, v2
	v_or_b32_e32 v2, v3, v2
	v_cvt_f32_i32_e32 v2, v2
	v_sub_u32_e32 v3, 32, v6
	v_ldexp_f32 v3, v2, v3
	s_branch .LBB86_498
.LBB86_495:
	s_mov_b64 s[0:1], -1
                                        ; implicit-def: $vgpr3
	s_branch .LBB86_504
.LBB86_496:
	s_mov_b64 s[0:1], -1
                                        ; implicit-def: $vgpr3
	s_branch .LBB86_501
.LBB86_497:
	s_mov_b64 s[0:1], -1
                                        ; implicit-def: $vgpr3
.LBB86_498:
	s_andn2_b64 vcc, exec, s[0:1]
	s_cbranch_vccnz .LBB86_500
; %bb.499:
	global_load_dword v2, v[0:1], off
	s_waitcnt vmcnt(0)
	v_cvt_f32_i32_e32 v3, v2
.LBB86_500:
	s_mov_b64 s[0:1], 0
.LBB86_501:
	s_andn2_b64 vcc, exec, s[0:1]
	s_cbranch_vccnz .LBB86_503
; %bb.502:
	global_load_sshort v2, v[0:1], off
	s_waitcnt vmcnt(0)
	v_cvt_f32_i32_e32 v3, v2
.LBB86_503:
	s_mov_b64 s[0:1], 0
.LBB86_504:
	s_andn2_b64 vcc, exec, s[0:1]
	s_cbranch_vccnz .LBB86_510
; %bb.505:
	v_cmp_lt_i16_e32 vcc, 0, v5
	s_cbranch_vccz .LBB86_507
; %bb.506:
	global_load_sbyte v2, v[0:1], off
	s_mov_b64 s[0:1], 0
	s_waitcnt vmcnt(0)
	v_cvt_f32_i32_e32 v3, v2
	s_branch .LBB86_508
.LBB86_507:
	s_mov_b64 s[0:1], -1
                                        ; implicit-def: $vgpr3
.LBB86_508:
	s_andn2_b64 vcc, exec, s[0:1]
	s_cbranch_vccnz .LBB86_510
; %bb.509:
	global_load_ubyte v0, v[0:1], off
	s_waitcnt vmcnt(0)
	v_cvt_f32_ubyte0_e32 v3, v0
.LBB86_510:
	s_branch .LBB86_266
.LBB86_511:
	s_mov_b64 s[26:27], 0
                                        ; implicit-def: $vgpr4
	s_mov_b64 s[0:1], s[14:15]
.LBB86_512:
	s_andn2_b64 s[22:23], s[14:15], exec
	s_and_b64 s[0:1], s[0:1], exec
	s_or_b64 s[22:23], s[22:23], s[0:1]
	s_andn2_b64 s[0:1], s[16:17], exec
	s_and_b64 s[20:21], s[20:21], exec
	s_or_b64 s[20:21], s[0:1], s[20:21]
	s_orn2_b64 s[0:1], s[26:27], exec
.LBB86_513:
	s_or_b64 exec, exec, s[24:25]
	s_mov_b64 s[26:27], 0
	s_mov_b64 s[28:29], 0
	;; [unrolled: 1-line block ×3, first 2 shown]
                                        ; implicit-def: $vgpr0_vgpr1
                                        ; implicit-def: $vgpr3
	s_and_saveexec_b64 s[24:25], s[0:1]
	s_cbranch_execz .LBB86_858
; %bb.514:
	v_cmp_gt_i32_e32 vcc, s33, v4
	s_mov_b64 s[36:37], -1
	s_mov_b64 s[0:1], s[20:21]
	s_mov_b64 s[30:31], s[22:23]
	s_and_saveexec_b64 s[26:27], vcc
	s_cbranch_execz .LBB86_772
; %bb.515:
	v_mul_lo_u32 v0, v4, s13
	v_ashrrev_i32_e32 v1, 31, v0
	v_mov_b32_e32 v2, s11
	v_add_co_u32_e32 v0, vcc, s10, v0
	v_addc_co_u32_e32 v1, vcc, v2, v1, vcc
	v_cmp_gt_i16_e32 vcc, 11, v5
	s_cbranch_vccnz .LBB86_522
; %bb.516:
	v_cmp_lt_i16_e32 vcc, 25, v5
	s_cbranch_vccz .LBB86_523
; %bb.517:
	v_cmp_lt_i16_e32 vcc, 28, v5
	s_cbranch_vccz .LBB86_524
	;; [unrolled: 3-line block ×4, first 2 shown]
; %bb.520:
	v_cmp_eq_u16_e32 vcc, 46, v5
	s_mov_b64 s[30:31], 0
	s_cbranch_vccz .LBB86_531
; %bb.521:
	global_load_dword v2, v[0:1], off
	s_mov_b64 s[0:1], -1
	s_waitcnt vmcnt(0)
	v_lshlrev_b32_e32 v3, 16, v2
	s_branch .LBB86_532
.LBB86_522:
	s_mov_b64 s[30:31], -1
	s_mov_b64 s[0:1], 0
                                        ; implicit-def: $vgpr3
	s_mov_b64 s[28:29], s[20:21]
	s_branch .LBB86_597
.LBB86_523:
	s_mov_b64 s[30:31], -1
	s_mov_b64 s[0:1], 0
	s_mov_b64 s[28:29], s[20:21]
                                        ; implicit-def: $vgpr3
	s_branch .LBB86_561
.LBB86_524:
	s_mov_b64 s[30:31], -1
	s_mov_b64 s[0:1], 0
	s_mov_b64 s[28:29], s[20:21]
                                        ; implicit-def: $vgpr3
	s_branch .LBB86_542
.LBB86_525:
	s_mov_b64 s[30:31], -1
	s_mov_b64 s[0:1], 0
	s_mov_b64 s[28:29], s[20:21]
                                        ; implicit-def: $vgpr3
	s_branch .LBB86_537
.LBB86_526:
	s_or_saveexec_b64 s[28:29], s[28:29]
                                        ; implicit-def: $sgpr30
	s_xor_b64 exec, exec, s[28:29]
	s_cbranch_execz .LBB86_311
.LBB86_527:
	s_mov_b32 s30, 0x46000000
	v_add_f32_e64 v6, |v3|, s30
	v_and_b32_e32 v6, 0xff, v6
	v_cmp_ne_u32_e32 vcc, 0, v6
	s_andn2_b64 s[26:27], s[26:27], exec
	s_and_b64 s[34:35], vcc, exec
	s_mov_b32 s30, 0
	s_or_b64 s[26:27], s[26:27], s[34:35]
	s_or_b64 exec, exec, s[28:29]
	v_mov_b32_e32 v7, s30
	s_and_saveexec_b64 s[28:29], s[26:27]
	s_cbranch_execnz .LBB86_312
	s_branch .LBB86_313
.LBB86_528:
	s_mov_b64 s[30:31], -1
	s_mov_b64 s[0:1], 0
	s_mov_b64 s[28:29], s[20:21]
                                        ; implicit-def: $vgpr3
	s_branch .LBB86_532
.LBB86_529:
	s_or_saveexec_b64 s[28:29], s[28:29]
                                        ; implicit-def: $sgpr30
	s_xor_b64 exec, exec, s[28:29]
	s_cbranch_execz .LBB86_324
.LBB86_530:
	s_mov_b32 s30, 0x42800000
	v_add_f32_e64 v6, |v3|, s30
	v_and_b32_e32 v6, 0xff, v6
	v_cmp_ne_u32_e32 vcc, 0, v6
	s_andn2_b64 s[26:27], s[26:27], exec
	s_and_b64 s[34:35], vcc, exec
	s_mov_b32 s30, 0
	s_or_b64 s[26:27], s[26:27], s[34:35]
	s_or_b64 exec, exec, s[28:29]
	v_mov_b32_e32 v7, s30
	s_and_saveexec_b64 s[28:29], s[26:27]
	s_cbranch_execnz .LBB86_325
	s_branch .LBB86_326
.LBB86_531:
	s_mov_b64 s[28:29], -1
                                        ; implicit-def: $vgpr3
	s_mov_b64 s[0:1], 0
.LBB86_532:
	s_and_b64 vcc, exec, s[30:31]
	s_cbranch_vccz .LBB86_536
; %bb.533:
	v_cmp_eq_u16_e32 vcc, 44, v5
	s_cbranch_vccz .LBB86_535
; %bb.534:
	global_load_ubyte v2, v[0:1], off
	s_movk_i32 s28, 0xff
	s_waitcnt vmcnt(1)
	v_mov_b32_e32 v3, 0x7f800001
	v_mov_b32_e32 v6, 0x400000
	s_mov_b64 s[0:1], -1
	s_waitcnt vmcnt(0)
	v_lshlrev_b32_e32 v7, 23, v2
	v_cmp_ne_u32_e32 vcc, s28, v2
	v_cndmask_b32_e32 v3, v3, v7, vcc
	v_cmp_ne_u32_e32 vcc, 0, v2
	v_cndmask_b32_e32 v3, v6, v3, vcc
	s_mov_b64 s[28:29], 0
	s_branch .LBB86_536
.LBB86_535:
	s_mov_b64 s[28:29], -1
                                        ; implicit-def: $vgpr3
.LBB86_536:
	s_mov_b64 s[30:31], 0
.LBB86_537:
	s_and_b64 vcc, exec, s[30:31]
	s_cbranch_vccz .LBB86_541
; %bb.538:
	v_cmp_eq_u16_e32 vcc, 29, v5
	s_cbranch_vccz .LBB86_540
; %bb.539:
	global_load_dwordx2 v[2:3], v[0:1], off
	s_mov_b64 s[0:1], -1
	s_mov_b64 s[28:29], 0
	s_mov_b64 s[30:31], 0
	s_waitcnt vmcnt(0)
	v_ffbh_u32_e32 v6, v3
	v_min_u32_e32 v6, 32, v6
	v_lshlrev_b64 v[2:3], v6, v[2:3]
	v_min_u32_e32 v2, 1, v2
	v_or_b32_e32 v2, v3, v2
	v_cvt_f32_u32_e32 v2, v2
	v_sub_u32_e32 v3, 32, v6
	v_ldexp_f32 v3, v2, v3
	s_branch .LBB86_542
.LBB86_540:
	s_mov_b64 s[28:29], -1
                                        ; implicit-def: $vgpr3
.LBB86_541:
	s_mov_b64 s[30:31], 0
.LBB86_542:
	s_and_b64 vcc, exec, s[30:31]
	s_cbranch_vccz .LBB86_560
; %bb.543:
	v_cmp_gt_i16_e32 vcc, 27, v5
	s_cbranch_vccnz .LBB86_546
; %bb.544:
	v_cmp_lt_i16_e32 vcc, 27, v5
	s_cbranch_vccz .LBB86_547
; %bb.545:
	global_load_dword v2, v[0:1], off
	s_mov_b64 s[0:1], 0
	s_waitcnt vmcnt(0)
	v_cvt_f32_u32_e32 v3, v2
	s_branch .LBB86_548
.LBB86_546:
	s_mov_b64 s[0:1], -1
                                        ; implicit-def: $vgpr3
	s_branch .LBB86_551
.LBB86_547:
	s_mov_b64 s[0:1], -1
                                        ; implicit-def: $vgpr3
.LBB86_548:
	s_andn2_b64 vcc, exec, s[0:1]
	s_cbranch_vccnz .LBB86_550
; %bb.549:
	global_load_ushort v2, v[0:1], off
	s_waitcnt vmcnt(0)
	v_cvt_f32_u32_e32 v3, v2
.LBB86_550:
	s_mov_b64 s[0:1], 0
.LBB86_551:
	s_andn2_b64 vcc, exec, s[0:1]
	s_cbranch_vccnz .LBB86_559
; %bb.552:
	global_load_ubyte v2, v[0:1], off
	s_movk_i32 s0, 0x7f
                                        ; implicit-def: $sgpr36
	s_waitcnt vmcnt(0)
	v_cmp_lt_i16_e32 vcc, s0, v2
	s_mov_b64 s[0:1], 0
	s_and_saveexec_b64 s[30:31], vcc
	s_xor_b64 s[30:31], exec, s[30:31]
	s_cbranch_execz .LBB86_573
; %bb.553:
	s_movk_i32 s0, 0x80
	v_cmp_eq_u16_e32 vcc, s0, v2
	s_mov_b64 s[0:1], -1
                                        ; implicit-def: $sgpr36
	s_and_saveexec_b64 s[34:35], vcc
; %bb.554:
	s_mov_b32 s36, 0x7f800001
	s_xor_b64 s[0:1], exec, -1
; %bb.555:
	s_or_b64 exec, exec, s[34:35]
	s_and_b64 s[0:1], s[0:1], exec
	s_or_saveexec_b64 s[30:31], s[30:31]
	v_mov_b32_e32 v3, s36
	s_xor_b64 exec, exec, s[30:31]
	s_cbranch_execnz .LBB86_574
.LBB86_556:
	s_or_b64 exec, exec, s[30:31]
	s_and_saveexec_b64 s[30:31], s[0:1]
	s_cbranch_execz .LBB86_558
.LBB86_557:
	v_lshlrev_b32_e32 v3, 24, v2
	v_and_b32_e32 v2, 0xffff, v2
	v_and_b32_e32 v6, 7, v2
	v_ffbh_u32_e32 v8, v6
	v_min_u32_e32 v8, 32, v8
	v_subrev_u32_e32 v9, 28, v8
	v_bfe_u32 v7, v2, 3, 4
	v_lshlrev_b32_e32 v2, v9, v2
	v_sub_u32_e32 v8, 29, v8
	v_and_b32_e32 v2, 7, v2
	v_cmp_eq_u32_e32 vcc, 0, v7
	v_cndmask_b32_e32 v7, v7, v8, vcc
	v_cndmask_b32_e32 v2, v6, v2, vcc
	v_mov_b32_e32 v6, 0x3b800000
	v_lshlrev_b32_e32 v2, 20, v2
	v_and_b32_e32 v3, 0x80000000, v3
	v_lshl_add_u32 v6, v7, 23, v6
	v_or3_b32 v3, v3, v6, v2
.LBB86_558:
	s_or_b64 exec, exec, s[30:31]
.LBB86_559:
	s_mov_b64 s[0:1], -1
.LBB86_560:
	s_mov_b64 s[30:31], 0
.LBB86_561:
	s_and_b64 vcc, exec, s[30:31]
	s_cbranch_vccz .LBB86_596
; %bb.562:
	v_cmp_lt_i16_e32 vcc, 22, v5
	s_cbranch_vccz .LBB86_572
; %bb.563:
	v_cmp_gt_i16_e32 vcc, 24, v5
	s_cbranch_vccnz .LBB86_575
; %bb.564:
	v_cmp_lt_i16_e32 vcc, 24, v5
	s_cbranch_vccz .LBB86_576
; %bb.565:
	global_load_ubyte v2, v[0:1], off
	s_movk_i32 s0, 0x7f
                                        ; implicit-def: $sgpr36
	s_waitcnt vmcnt(0)
	v_cmp_lt_i16_e32 vcc, s0, v2
	s_mov_b64 s[0:1], 0
	s_and_saveexec_b64 s[30:31], vcc
	s_xor_b64 s[30:31], exec, s[30:31]
	s_cbranch_execz .LBB86_588
; %bb.566:
	s_movk_i32 s0, 0x80
	v_cmp_eq_u16_e32 vcc, s0, v2
	s_mov_b64 s[0:1], -1
                                        ; implicit-def: $sgpr36
	s_and_saveexec_b64 s[34:35], vcc
; %bb.567:
	s_mov_b32 s36, 0x7f800001
	s_xor_b64 s[0:1], exec, -1
; %bb.568:
	s_or_b64 exec, exec, s[34:35]
	s_and_b64 s[0:1], s[0:1], exec
	s_or_saveexec_b64 s[30:31], s[30:31]
	v_mov_b32_e32 v3, s36
	s_xor_b64 exec, exec, s[30:31]
	s_cbranch_execnz .LBB86_589
.LBB86_569:
	s_or_b64 exec, exec, s[30:31]
	s_and_saveexec_b64 s[30:31], s[0:1]
	s_cbranch_execz .LBB86_571
.LBB86_570:
	v_lshlrev_b32_e32 v3, 24, v2
	v_and_b32_e32 v2, 0xffff, v2
	v_and_b32_e32 v6, 3, v2
	v_ffbh_u32_e32 v8, v6
	v_min_u32_e32 v8, 32, v8
	v_subrev_u32_e32 v9, 29, v8
	v_bfe_u32 v7, v2, 2, 5
	v_lshlrev_b32_e32 v2, v9, v2
	v_sub_u32_e32 v8, 30, v8
	v_and_b32_e32 v2, 3, v2
	v_cmp_eq_u32_e32 vcc, 0, v7
	v_cndmask_b32_e32 v7, v7, v8, vcc
	v_cndmask_b32_e32 v2, v6, v2, vcc
	v_mov_b32_e32 v6, 0x37800000
	v_lshlrev_b32_e32 v2, 21, v2
	v_and_b32_e32 v3, 0x80000000, v3
	v_lshl_add_u32 v6, v7, 23, v6
	v_or3_b32 v3, v3, v6, v2
.LBB86_571:
	s_or_b64 exec, exec, s[30:31]
	s_mov_b64 s[0:1], 0
	s_branch .LBB86_577
.LBB86_572:
	s_mov_b64 s[30:31], -1
                                        ; implicit-def: $vgpr3
	s_branch .LBB86_583
.LBB86_573:
	s_or_saveexec_b64 s[30:31], s[30:31]
	v_mov_b32_e32 v3, s36
	s_xor_b64 exec, exec, s[30:31]
	s_cbranch_execz .LBB86_556
.LBB86_574:
	v_cmp_ne_u16_e32 vcc, 0, v2
	s_andn2_b64 s[0:1], s[0:1], exec
	s_and_b64 s[34:35], vcc, exec
	v_mov_b32_e32 v3, 0
	s_or_b64 s[0:1], s[0:1], s[34:35]
	s_or_b64 exec, exec, s[30:31]
	s_and_saveexec_b64 s[30:31], s[0:1]
	s_cbranch_execnz .LBB86_557
	s_branch .LBB86_558
.LBB86_575:
	s_mov_b64 s[0:1], -1
                                        ; implicit-def: $vgpr3
	s_branch .LBB86_580
.LBB86_576:
	s_mov_b64 s[0:1], -1
                                        ; implicit-def: $vgpr3
.LBB86_577:
	s_and_b64 vcc, exec, s[0:1]
	s_cbranch_vccz .LBB86_579
; %bb.578:
	global_load_ubyte v2, v[0:1], off
	s_mov_b32 s0, 0x7f800000
	s_waitcnt vmcnt(0)
	v_lshlrev_b32_e32 v2, 24, v2
	v_and_b32_e32 v3, 0x7f000000, v2
	v_ffbh_u32_e32 v6, v3
	v_min_u32_e32 v6, 32, v6
	v_sub_u32_e64 v6, v6, 4 clamp
	v_lshlrev_b32_e32 v8, v6, v3
	v_lshlrev_b32_e32 v6, 23, v6
	v_lshrrev_b32_e32 v8, 4, v8
	v_add_u32_e32 v7, 0x1000000, v3
	v_sub_u32_e32 v6, v8, v6
	v_ashrrev_i32_e32 v7, 8, v7
	v_add_u32_e32 v6, 0x3c000000, v6
	v_and_or_b32 v6, v7, s0, v6
	v_cmp_ne_u32_e32 vcc, 0, v3
	v_cndmask_b32_e32 v3, 0, v6, vcc
	s_brev_b32 s0, 1
	v_and_or_b32 v3, v2, s0, v3
.LBB86_579:
	s_mov_b64 s[0:1], 0
.LBB86_580:
	s_andn2_b64 vcc, exec, s[0:1]
	s_cbranch_vccnz .LBB86_582
; %bb.581:
	global_load_ubyte v2, v[0:1], off
	s_movk_i32 s0, 0x7f00
	s_brev_b32 s1, 16
	s_waitcnt vmcnt(0)
	v_lshlrev_b16_e32 v3, 8, v2
	v_lshlrev_b32_e32 v2, 25, v2
	v_lshrrev_b32_e32 v6, 4, v2
	v_and_or_b32 v7, v3, s0, 0.5
	v_or_b32_e32 v6, 0x70000000, v6
	v_add_f32_e32 v7, -0.5, v7
	v_mul_f32_e32 v6, 0x7800000, v6
	v_cmp_gt_u32_e32 vcc, s1, v2
	v_bfe_i32 v3, v3, 0, 16
	v_cndmask_b32_e32 v2, v6, v7, vcc
	s_brev_b32 s0, 1
	v_and_or_b32 v3, v3, s0, v2
.LBB86_582:
	s_mov_b64 s[30:31], 0
	s_mov_b64 s[0:1], -1
.LBB86_583:
	s_andn2_b64 vcc, exec, s[30:31]
	s_cbranch_vccnz .LBB86_596
; %bb.584:
	v_cmp_lt_i16_e32 vcc, 14, v5
	s_cbranch_vccz .LBB86_587
; %bb.585:
	v_cmp_eq_u16_e32 vcc, 15, v5
	s_cbranch_vccz .LBB86_590
; %bb.586:
	global_load_ushort v2, v[0:1], off
	s_mov_b64 s[0:1], -1
	s_mov_b64 s[28:29], 0
	s_waitcnt vmcnt(0)
	v_lshlrev_b32_e32 v3, 16, v2
	s_branch .LBB86_591
.LBB86_587:
	s_mov_b64 s[30:31], -1
                                        ; implicit-def: $vgpr3
	s_branch .LBB86_592
.LBB86_588:
	s_or_saveexec_b64 s[30:31], s[30:31]
	v_mov_b32_e32 v3, s36
	s_xor_b64 exec, exec, s[30:31]
	s_cbranch_execz .LBB86_569
.LBB86_589:
	v_cmp_ne_u16_e32 vcc, 0, v2
	s_andn2_b64 s[0:1], s[0:1], exec
	s_and_b64 s[34:35], vcc, exec
	v_mov_b32_e32 v3, 0
	s_or_b64 s[0:1], s[0:1], s[34:35]
	s_or_b64 exec, exec, s[30:31]
	s_and_saveexec_b64 s[30:31], s[0:1]
	s_cbranch_execnz .LBB86_570
	s_branch .LBB86_571
.LBB86_590:
	s_mov_b64 s[28:29], -1
                                        ; implicit-def: $vgpr3
.LBB86_591:
	s_mov_b64 s[30:31], 0
.LBB86_592:
	s_and_b64 vcc, exec, s[30:31]
	s_cbranch_vccz .LBB86_596
; %bb.593:
	v_cmp_eq_u16_e32 vcc, 11, v5
	s_cbranch_vccz .LBB86_595
; %bb.594:
	global_load_ubyte v2, v[0:1], off
	s_mov_b64 s[0:1], -1
	s_mov_b64 s[28:29], 0
	s_waitcnt vmcnt(0)
	v_cmp_ne_u16_e32 vcc, 0, v2
	v_cndmask_b32_e64 v3, 0, 1.0, vcc
	s_branch .LBB86_596
.LBB86_595:
	s_mov_b64 s[28:29], -1
                                        ; implicit-def: $vgpr3
.LBB86_596:
	s_mov_b64 s[30:31], 0
.LBB86_597:
	s_and_b64 vcc, exec, s[30:31]
	s_cbranch_vccz .LBB86_646
; %bb.598:
	v_cmp_gt_i16_e32 vcc, 5, v5
	s_cbranch_vccnz .LBB86_603
; %bb.599:
	v_cmp_gt_i16_e32 vcc, 8, v5
	s_cbranch_vccnz .LBB86_604
	;; [unrolled: 3-line block ×3, first 2 shown]
; %bb.601:
	v_cmp_lt_i16_e32 vcc, 9, v5
	s_cbranch_vccz .LBB86_606
; %bb.602:
	global_load_dwordx2 v[2:3], v[0:1], off
	s_mov_b64 s[0:1], 0
	s_waitcnt vmcnt(0)
	v_cvt_f32_f64_e32 v3, v[2:3]
	s_branch .LBB86_607
.LBB86_603:
	s_mov_b64 s[0:1], -1
                                        ; implicit-def: $vgpr3
	s_branch .LBB86_625
.LBB86_604:
	s_mov_b64 s[0:1], -1
                                        ; implicit-def: $vgpr3
	s_branch .LBB86_613
.LBB86_605:
	s_mov_b64 s[0:1], -1
                                        ; implicit-def: $vgpr3
	s_branch .LBB86_610
.LBB86_606:
	s_mov_b64 s[0:1], -1
                                        ; implicit-def: $vgpr3
.LBB86_607:
	s_andn2_b64 vcc, exec, s[0:1]
	s_cbranch_vccnz .LBB86_609
; %bb.608:
	global_load_dword v3, v[0:1], off
.LBB86_609:
	s_mov_b64 s[0:1], 0
.LBB86_610:
	s_andn2_b64 vcc, exec, s[0:1]
	s_cbranch_vccnz .LBB86_612
; %bb.611:
	global_load_dword v2, v[0:1], off
	s_waitcnt vmcnt(0)
	v_cvt_f32_f16_e32 v3, v2
.LBB86_612:
	s_mov_b64 s[0:1], 0
.LBB86_613:
	s_andn2_b64 vcc, exec, s[0:1]
	s_cbranch_vccnz .LBB86_624
; %bb.614:
	v_cmp_gt_i16_e32 vcc, 6, v5
	s_cbranch_vccnz .LBB86_617
; %bb.615:
	v_cmp_lt_i16_e32 vcc, 6, v5
	s_cbranch_vccz .LBB86_618
; %bb.616:
	global_load_dwordx2 v[2:3], v[0:1], off
	s_mov_b64 s[0:1], 0
	s_waitcnt vmcnt(0)
	v_cvt_f32_f64_e32 v3, v[2:3]
	s_branch .LBB86_619
.LBB86_617:
	s_mov_b64 s[0:1], -1
                                        ; implicit-def: $vgpr3
	s_branch .LBB86_622
.LBB86_618:
	s_mov_b64 s[0:1], -1
                                        ; implicit-def: $vgpr3
.LBB86_619:
	s_andn2_b64 vcc, exec, s[0:1]
	s_cbranch_vccnz .LBB86_621
; %bb.620:
	global_load_dword v3, v[0:1], off
.LBB86_621:
	s_mov_b64 s[0:1], 0
.LBB86_622:
	s_andn2_b64 vcc, exec, s[0:1]
	s_cbranch_vccnz .LBB86_624
; %bb.623:
	global_load_ushort v2, v[0:1], off
	s_waitcnt vmcnt(0)
	v_cvt_f32_f16_e32 v3, v2
.LBB86_624:
	s_mov_b64 s[0:1], 0
.LBB86_625:
	s_andn2_b64 vcc, exec, s[0:1]
	s_cbranch_vccnz .LBB86_645
; %bb.626:
	v_cmp_gt_i16_e32 vcc, 2, v5
	s_cbranch_vccnz .LBB86_630
; %bb.627:
	v_cmp_gt_i16_e32 vcc, 3, v5
	s_cbranch_vccnz .LBB86_631
; %bb.628:
	v_cmp_lt_i16_e32 vcc, 3, v5
	s_cbranch_vccz .LBB86_632
; %bb.629:
	global_load_dwordx2 v[2:3], v[0:1], off
	s_mov_b64 s[0:1], 0
	s_waitcnt vmcnt(0)
	v_xor_b32_e32 v7, v2, v3
	v_ffbh_i32_e32 v6, v3
	v_ashrrev_i32_e32 v7, 31, v7
	v_add_u32_e32 v6, -1, v6
	v_add_u32_e32 v7, 32, v7
	v_min_u32_e32 v6, v6, v7
	v_lshlrev_b64 v[2:3], v6, v[2:3]
	v_min_u32_e32 v2, 1, v2
	v_or_b32_e32 v2, v3, v2
	v_cvt_f32_i32_e32 v2, v2
	v_sub_u32_e32 v3, 32, v6
	v_ldexp_f32 v3, v2, v3
	s_branch .LBB86_633
.LBB86_630:
	s_mov_b64 s[0:1], -1
                                        ; implicit-def: $vgpr3
	s_branch .LBB86_639
.LBB86_631:
	s_mov_b64 s[0:1], -1
                                        ; implicit-def: $vgpr3
	s_branch .LBB86_636
.LBB86_632:
	s_mov_b64 s[0:1], -1
                                        ; implicit-def: $vgpr3
.LBB86_633:
	s_andn2_b64 vcc, exec, s[0:1]
	s_cbranch_vccnz .LBB86_635
; %bb.634:
	global_load_dword v2, v[0:1], off
	s_waitcnt vmcnt(0)
	v_cvt_f32_i32_e32 v3, v2
.LBB86_635:
	s_mov_b64 s[0:1], 0
.LBB86_636:
	s_andn2_b64 vcc, exec, s[0:1]
	s_cbranch_vccnz .LBB86_638
; %bb.637:
	global_load_sshort v2, v[0:1], off
	s_waitcnt vmcnt(0)
	v_cvt_f32_i32_e32 v3, v2
.LBB86_638:
	s_mov_b64 s[0:1], 0
.LBB86_639:
	s_andn2_b64 vcc, exec, s[0:1]
	s_cbranch_vccnz .LBB86_645
; %bb.640:
	v_cmp_lt_i16_e32 vcc, 0, v5
	s_cbranch_vccz .LBB86_642
; %bb.641:
	global_load_sbyte v2, v[0:1], off
	s_mov_b64 s[0:1], 0
	s_waitcnt vmcnt(0)
	v_cvt_f32_i32_e32 v3, v2
	s_branch .LBB86_643
.LBB86_642:
	s_mov_b64 s[0:1], -1
                                        ; implicit-def: $vgpr3
.LBB86_643:
	s_andn2_b64 vcc, exec, s[0:1]
	s_cbranch_vccnz .LBB86_645
; %bb.644:
	global_load_ubyte v0, v[0:1], off
	s_waitcnt vmcnt(0)
	v_cvt_f32_ubyte0_e32 v3, v0
.LBB86_645:
	s_mov_b64 s[0:1], -1
.LBB86_646:
	s_andn2_b64 vcc, exec, s[0:1]
	s_cbranch_vccnz .LBB86_654
; %bb.647:
	s_brev_b32 s0, -2
	v_mov_b32_e32 v0, s2
	s_waitcnt vmcnt(0)
	v_bfi_b32 v2, s0, v3, v0
	v_mul_lo_u32 v0, v4, s12
	v_ashrrev_i32_e32 v1, 31, v0
	v_mov_b32_e32 v6, s9
	v_add_co_u32_e32 v0, vcc, s8, v0
	v_addc_co_u32_e32 v1, vcc, v6, v1, vcc
	v_mov_b32_e32 v6, 11
	v_cmp_lt_i16_sdwa s[0:1], s3, v6 src0_sel:BYTE_0 src1_sel:DWORD
	s_and_b64 vcc, exec, s[0:1]
	s_cbranch_vccnz .LBB86_655
; %bb.648:
	v_mov_b32_e32 v6, 25
	v_cmp_gt_i16_sdwa s[0:1], s3, v6 src0_sel:BYTE_0 src1_sel:DWORD
	s_and_b64 vcc, exec, s[0:1]
	s_cbranch_vccz .LBB86_656
; %bb.649:
	v_mov_b32_e32 v6, 28
	v_cmp_gt_i16_sdwa s[0:1], s3, v6 src0_sel:BYTE_0 src1_sel:DWORD
	s_and_b64 vcc, exec, s[0:1]
	s_cbranch_vccz .LBB86_657
	;; [unrolled: 5-line block ×4, first 2 shown]
; %bb.652:
	v_mov_b32_e32 v6, 46
	v_cmp_eq_u16_sdwa s[30:31], s3, v6 src0_sel:BYTE_0 src1_sel:DWORD
	s_mov_b64 s[34:35], 0
	s_mov_b64 s[0:1], -1
	s_and_b64 vcc, exec, s[30:31]
	s_mov_b64 s[30:31], 0
	s_cbranch_vccz .LBB86_660
; %bb.653:
	v_bfe_u32 v6, v2, 16, 1
	s_movk_i32 s0, 0x7fff
	v_add3_u32 v6, v2, v6, s0
	v_lshrrev_b32_e32 v6, 16, v6
	v_mov_b32_e32 v7, 0x7fc0
	v_cmp_o_f32_e32 vcc, v2, v2
	v_cndmask_b32_e32 v6, v7, v6, vcc
	global_store_dword v[0:1], v6, off
	s_mov_b64 s[30:31], -1
	s_mov_b64 s[0:1], 0
	s_branch .LBB86_660
.LBB86_654:
	s_mov_b64 s[34:35], 0
                                        ; implicit-def: $vgpr4
	s_mov_b64 s[0:1], s[22:23]
	s_branch .LBB86_771
.LBB86_655:
	s_mov_b64 s[34:35], -1
	s_mov_b64 s[30:31], 0
	s_mov_b64 s[0:1], s[22:23]
	s_branch .LBB86_729
.LBB86_656:
	s_mov_b64 s[34:35], -1
	s_mov_b64 s[30:31], 0
	s_mov_b64 s[0:1], s[22:23]
	s_branch .LBB86_687
.LBB86_657:
	s_mov_b64 s[34:35], -1
	s_mov_b64 s[30:31], 0
	s_mov_b64 s[0:1], s[22:23]
	s_branch .LBB86_670
.LBB86_658:
	s_mov_b64 s[34:35], -1
	s_mov_b64 s[30:31], 0
	s_mov_b64 s[0:1], s[22:23]
	s_branch .LBB86_666
.LBB86_659:
	s_mov_b64 s[34:35], -1
	s_mov_b64 s[30:31], 0
	s_mov_b64 s[0:1], s[22:23]
.LBB86_660:
	s_and_b64 vcc, exec, s[34:35]
	s_cbranch_vccz .LBB86_665
; %bb.661:
	v_mov_b32_e32 v6, 44
	v_cmp_eq_u16_sdwa s[34:35], s3, v6 src0_sel:BYTE_0 src1_sel:DWORD
	s_mov_b64 s[0:1], -1
	s_and_b64 vcc, exec, s[34:35]
	s_cbranch_vccz .LBB86_665
; %bb.662:
	v_bfe_u32 v6, v2, 23, 8
	s_movk_i32 s0, 0xff
	v_cmp_ne_u32_e32 vcc, s0, v6
	v_mov_b32_e32 v7, 0xff
	s_and_saveexec_b64 s[30:31], vcc
; %bb.663:
	s_mov_b32 s0, 0x3fffff
	v_and_b32_e32 v8, 0x400000, v2
	v_and_or_b32 v6, v2, s0, v6
	v_cmp_ne_u32_e32 vcc, 0, v8
	v_cmp_ne_u32_e64 s[0:1], 0, v6
	s_and_b64 s[0:1], vcc, s[0:1]
	v_lshrrev_b32_e32 v7, 23, v2
	v_cndmask_b32_e64 v6, 0, 1, s[0:1]
	v_add_u32_e32 v7, v7, v6
; %bb.664:
	s_or_b64 exec, exec, s[30:31]
	s_mov_b64 s[30:31], -1
	s_mov_b64 s[0:1], 0
	global_store_byte v[0:1], v7, off
.LBB86_665:
	s_mov_b64 s[34:35], 0
.LBB86_666:
	s_and_b64 vcc, exec, s[34:35]
	s_cbranch_vccz .LBB86_669
; %bb.667:
	v_mov_b32_e32 v6, 29
	v_cmp_eq_u16_sdwa s[34:35], s3, v6 src0_sel:BYTE_0 src1_sel:DWORD
	s_mov_b64 s[0:1], -1
	s_and_b64 vcc, exec, s[34:35]
	s_cbranch_vccz .LBB86_669
; %bb.668:
	v_trunc_f32_e32 v6, v2
	v_mul_f32_e32 v7, 0x2f800000, v6
	v_floor_f32_e32 v8, v7
	v_fmac_f32_e32 v6, 0xcf800000, v8
	v_cvt_u32_f32_e32 v7, v8
	v_cvt_u32_f32_e32 v6, v6
	s_mov_b64 s[30:31], -1
	s_mov_b64 s[0:1], 0
	s_mov_b64 s[34:35], 0
	global_store_dwordx2 v[0:1], v[6:7], off
	s_branch .LBB86_670
.LBB86_669:
	s_mov_b64 s[34:35], 0
.LBB86_670:
	s_and_b64 vcc, exec, s[34:35]
	s_cbranch_vccz .LBB86_686
; %bb.671:
	v_mov_b32_e32 v6, 27
	v_cmp_lt_i16_sdwa s[34:35], s3, v6 src0_sel:BYTE_0 src1_sel:DWORD
	s_mov_b64 s[30:31], -1
	s_and_b64 vcc, exec, s[34:35]
	s_cbranch_vccnz .LBB86_677
; %bb.672:
	v_cmp_gt_i16_sdwa s[34:35], s3, v6 src0_sel:BYTE_0 src1_sel:DWORD
	v_cvt_u32_f32_e32 v6, v2
	s_and_b64 vcc, exec, s[34:35]
	s_cbranch_vccz .LBB86_674
; %bb.673:
	s_mov_b64 s[30:31], 0
	global_store_dword v[0:1], v6, off
.LBB86_674:
	s_andn2_b64 vcc, exec, s[30:31]
	s_cbranch_vccnz .LBB86_676
; %bb.675:
	global_store_short v[0:1], v6, off
.LBB86_676:
	s_mov_b64 s[30:31], 0
.LBB86_677:
	s_andn2_b64 vcc, exec, s[30:31]
	s_cbranch_vccnz .LBB86_685
; %bb.678:
	v_and_b32_e32 v6, 0x7fffffff, v3
	s_mov_b32 s30, 0x43800000
	v_cmp_gt_u32_e32 vcc, s30, v6
	v_mov_b32_e32 v7, 0x80
	s_and_saveexec_b64 s[30:31], vcc
	s_cbranch_execz .LBB86_684
; %bb.679:
	s_mov_b32 s34, 0x3bffffff
	v_cmp_lt_u32_e32 vcc, s34, v6
	s_mov_b64 s[34:35], 0
                                        ; implicit-def: $vgpr6
	s_and_saveexec_b64 s[36:37], vcc
	s_xor_b64 s[36:37], exec, s[36:37]
	s_cbranch_execz .LBB86_785
; %bb.680:
	v_bfe_u32 v6, v2, 20, 1
	s_mov_b32 s38, 0x487ffff
	v_add3_u32 v6, v2, v6, s38
	s_mov_b64 s[34:35], exec
	v_lshrrev_b32_e32 v6, 20, v6
	s_or_saveexec_b64 s[36:37], s[36:37]
                                        ; implicit-def: $sgpr38
	s_xor_b64 exec, exec, s[36:37]
	s_cbranch_execnz .LBB86_786
.LBB86_681:
	s_or_b64 exec, exec, s[36:37]
	v_mov_b32_e32 v7, s38
	s_and_saveexec_b64 s[36:37], s[34:35]
.LBB86_682:
	v_lshrrev_b32_e32 v7, 24, v2
	s_movk_i32 s34, 0x80
	v_and_or_b32 v7, v7, s34, v6
.LBB86_683:
	s_or_b64 exec, exec, s[36:37]
.LBB86_684:
	s_or_b64 exec, exec, s[30:31]
	global_store_byte v[0:1], v7, off
.LBB86_685:
	s_mov_b64 s[30:31], -1
.LBB86_686:
	s_mov_b64 s[34:35], 0
.LBB86_687:
	s_and_b64 vcc, exec, s[34:35]
	s_cbranch_vccz .LBB86_728
; %bb.688:
	v_mov_b32_e32 v6, 22
	v_cmp_gt_i16_sdwa s[36:37], s3, v6 src0_sel:BYTE_0 src1_sel:DWORD
	s_mov_b64 s[34:35], -1
	s_and_b64 vcc, exec, s[36:37]
	s_cbranch_vccz .LBB86_720
; %bb.689:
	v_mov_b32_e32 v6, 24
	v_cmp_lt_i16_sdwa s[34:35], s3, v6 src0_sel:BYTE_0 src1_sel:DWORD
	s_mov_b64 s[30:31], -1
	s_and_b64 vcc, exec, s[34:35]
	s_cbranch_vccnz .LBB86_709
; %bb.690:
	v_cmp_gt_i16_sdwa s[34:35], s3, v6 src0_sel:BYTE_0 src1_sel:DWORD
	s_and_b64 vcc, exec, s[34:35]
	s_cbranch_vccz .LBB86_698
; %bb.691:
	v_and_b32_e32 v6, 0x7fffffff, v3
	s_mov_b32 s30, 0x47800000
	v_cmp_gt_u32_e32 vcc, s30, v6
	v_mov_b32_e32 v7, 0x80
	s_and_saveexec_b64 s[30:31], vcc
	s_cbranch_execz .LBB86_697
; %bb.692:
	s_mov_b32 s34, 0x37ffffff
	v_cmp_lt_u32_e32 vcc, s34, v6
	s_mov_b64 s[34:35], 0
                                        ; implicit-def: $vgpr6
	s_and_saveexec_b64 s[36:37], vcc
	s_xor_b64 s[36:37], exec, s[36:37]
	s_cbranch_execz .LBB86_788
; %bb.693:
	v_bfe_u32 v6, v2, 21, 1
	s_mov_b32 s38, 0x88fffff
	v_add3_u32 v6, v2, v6, s38
	s_mov_b64 s[34:35], exec
	v_lshrrev_b32_e32 v6, 21, v6
	s_or_saveexec_b64 s[36:37], s[36:37]
                                        ; implicit-def: $sgpr38
	s_xor_b64 exec, exec, s[36:37]
	s_cbranch_execnz .LBB86_789
.LBB86_694:
	s_or_b64 exec, exec, s[36:37]
	v_mov_b32_e32 v7, s38
	s_and_saveexec_b64 s[36:37], s[34:35]
.LBB86_695:
	v_lshrrev_b32_e32 v7, 24, v2
	s_movk_i32 s34, 0x80
	v_and_or_b32 v7, v7, s34, v6
.LBB86_696:
	s_or_b64 exec, exec, s[36:37]
.LBB86_697:
	s_or_b64 exec, exec, s[30:31]
	s_mov_b64 s[30:31], 0
	global_store_byte v[0:1], v7, off
.LBB86_698:
	s_and_b64 vcc, exec, s[30:31]
	s_cbranch_vccz .LBB86_708
; %bb.699:
	v_and_b32_e32 v7, 0x7fffffff, v3
	s_mov_b32 s30, 0x43f00000
	v_cmp_gt_u32_e32 vcc, s30, v7
                                        ; implicit-def: $vgpr6
	s_and_saveexec_b64 s[30:31], vcc
	s_xor_b64 s[30:31], exec, s[30:31]
	s_cbranch_execz .LBB86_705
; %bb.700:
	s_mov_b32 s34, 0x3c7fffff
	v_cmp_lt_u32_e32 vcc, s34, v7
                                        ; implicit-def: $vgpr6
	s_and_saveexec_b64 s[34:35], vcc
	s_xor_b64 s[34:35], exec, s[34:35]
; %bb.701:
	v_bfe_u32 v6, v2, 20, 1
	s_mov_b32 s36, 0x407ffff
	v_add3_u32 v6, v2, v6, s36
	v_lshrrev_b32_e32 v7, 20, v6
	v_and_b32_e32 v6, 0xff00000, v6
	s_mov_b32 s36, 0x7f00000
	v_mov_b32_e32 v8, 0x7e
	v_cmp_ne_u32_e32 vcc, s36, v6
	v_cndmask_b32_e32 v6, v8, v7, vcc
; %bb.702:
	s_andn2_saveexec_b64 s[34:35], s[34:35]
; %bb.703:
	s_mov_b32 s36, 0x46800000
	v_add_f32_e64 v6, |v3|, s36
; %bb.704:
	s_or_b64 exec, exec, s[34:35]
                                        ; implicit-def: $vgpr7
.LBB86_705:
	s_andn2_saveexec_b64 s[30:31], s[30:31]
; %bb.706:
	s_mov_b32 s34, 0x7f800000
	v_mov_b32_e32 v6, 0x7e
	v_mov_b32_e32 v8, 0x7f
	v_cmp_lt_u32_e32 vcc, s34, v7
	v_cndmask_b32_e32 v6, v6, v8, vcc
; %bb.707:
	s_or_b64 exec, exec, s[30:31]
	v_lshrrev_b32_e32 v7, 24, v2
	s_movk_i32 s30, 0x80
	v_and_or_b32 v6, v7, s30, v6
	global_store_byte v[0:1], v6, off
.LBB86_708:
	s_mov_b64 s[30:31], 0
.LBB86_709:
	s_andn2_b64 vcc, exec, s[30:31]
	s_cbranch_vccnz .LBB86_719
; %bb.710:
	v_and_b32_e32 v7, 0x7fffffff, v3
	s_mov_b32 s30, 0x47800000
	v_cmp_gt_u32_e32 vcc, s30, v7
                                        ; implicit-def: $vgpr6
	s_and_saveexec_b64 s[30:31], vcc
	s_xor_b64 s[30:31], exec, s[30:31]
	s_cbranch_execz .LBB86_716
; %bb.711:
	s_mov_b32 s34, 0x387fffff
	v_cmp_lt_u32_e32 vcc, s34, v7
                                        ; implicit-def: $vgpr6
	s_and_saveexec_b64 s[34:35], vcc
	s_xor_b64 s[34:35], exec, s[34:35]
; %bb.712:
	v_bfe_u32 v3, v2, 21, 1
	s_mov_b32 s36, 0x80fffff
	v_add3_u32 v3, v2, v3, s36
	v_lshrrev_b32_e32 v6, 21, v3
                                        ; implicit-def: $vgpr3
; %bb.713:
	s_andn2_saveexec_b64 s[34:35], s[34:35]
; %bb.714:
	s_mov_b32 s36, 0x43000000
	v_add_f32_e64 v6, |v3|, s36
; %bb.715:
	s_or_b64 exec, exec, s[34:35]
                                        ; implicit-def: $vgpr7
.LBB86_716:
	s_andn2_saveexec_b64 s[30:31], s[30:31]
; %bb.717:
	s_mov_b32 s34, 0x7f800000
	v_mov_b32_e32 v3, 0x7c
	v_mov_b32_e32 v6, 0x7f
	v_cmp_lt_u32_e32 vcc, s34, v7
	v_cndmask_b32_e32 v6, v3, v6, vcc
; %bb.718:
	s_or_b64 exec, exec, s[30:31]
	v_lshrrev_b32_e32 v3, 24, v2
	s_movk_i32 s30, 0x80
	v_and_or_b32 v3, v3, s30, v6
	global_store_byte v[0:1], v3, off
.LBB86_719:
	s_mov_b64 s[34:35], 0
	s_mov_b64 s[30:31], -1
.LBB86_720:
	s_andn2_b64 vcc, exec, s[34:35]
	s_cbranch_vccnz .LBB86_728
; %bb.721:
	v_mov_b32_e32 v3, 14
	v_cmp_gt_i16_sdwa s[36:37], s3, v3 src0_sel:BYTE_0 src1_sel:DWORD
	s_mov_b64 s[34:35], -1
	s_and_b64 vcc, exec, s[36:37]
	s_cbranch_vccz .LBB86_725
; %bb.722:
	v_mov_b32_e32 v3, 15
	v_cmp_eq_u16_sdwa s[34:35], s3, v3 src0_sel:BYTE_0 src1_sel:DWORD
	s_mov_b64 s[0:1], -1
	s_and_b64 vcc, exec, s[34:35]
	s_cbranch_vccz .LBB86_724
; %bb.723:
	v_bfe_u32 v3, v2, 16, 1
	s_movk_i32 s0, 0x7fff
	v_add3_u32 v3, v2, v3, s0
	v_lshrrev_b32_e32 v3, 16, v3
	v_mov_b32_e32 v6, 0x7fc0
	v_cmp_o_f32_e32 vcc, v2, v2
	v_cndmask_b32_e32 v3, v6, v3, vcc
	global_store_short v[0:1], v3, off
	s_mov_b64 s[30:31], -1
	s_mov_b64 s[0:1], 0
.LBB86_724:
	s_mov_b64 s[34:35], 0
.LBB86_725:
	s_and_b64 vcc, exec, s[34:35]
	s_cbranch_vccz .LBB86_728
; %bb.726:
	v_mov_b32_e32 v3, 11
	v_cmp_eq_u16_sdwa s[34:35], s3, v3 src0_sel:BYTE_0 src1_sel:DWORD
	s_mov_b64 s[0:1], -1
	s_and_b64 vcc, exec, s[34:35]
	s_cbranch_vccz .LBB86_728
; %bb.727:
	v_cmp_neq_f32_e32 vcc, 0, v2
	v_cndmask_b32_e64 v3, 0, 1, vcc
	s_mov_b64 s[30:31], -1
	s_mov_b64 s[0:1], 0
	global_store_byte v[0:1], v3, off
.LBB86_728:
	s_mov_b64 s[34:35], 0
.LBB86_729:
	s_and_b64 vcc, exec, s[34:35]
	s_cbranch_vccz .LBB86_768
; %bb.730:
	v_mov_b32_e32 v3, 5
	v_cmp_lt_i16_sdwa s[34:35], s3, v3 src0_sel:BYTE_0 src1_sel:DWORD
	s_mov_b64 s[30:31], -1
	s_and_b64 vcc, exec, s[34:35]
	s_cbranch_vccnz .LBB86_751
; %bb.731:
	v_mov_b32_e32 v3, 8
	v_cmp_lt_i16_sdwa s[34:35], s3, v3 src0_sel:BYTE_0 src1_sel:DWORD
	s_and_b64 vcc, exec, s[34:35]
	s_cbranch_vccnz .LBB86_741
; %bb.732:
	v_mov_b32_e32 v3, 9
	v_cmp_lt_i16_sdwa s[34:35], s3, v3 src0_sel:BYTE_0 src1_sel:DWORD
	s_and_b64 vcc, exec, s[34:35]
	s_cbranch_vccnz .LBB86_738
; %bb.733:
	v_cmp_gt_i16_sdwa s[34:35], s3, v3 src0_sel:BYTE_0 src1_sel:DWORD
	s_and_b64 vcc, exec, s[34:35]
	s_cbranch_vccz .LBB86_735
; %bb.734:
	v_mov_b32_e32 v8, 0
	v_cvt_f64_f32_e32 v[6:7], v2
	v_mov_b32_e32 v9, v8
	s_mov_b64 s[30:31], 0
	global_store_dwordx4 v[0:1], v[6:9], off
.LBB86_735:
	s_andn2_b64 vcc, exec, s[30:31]
	s_cbranch_vccnz .LBB86_737
; %bb.736:
	v_mov_b32_e32 v3, 0
	global_store_dwordx2 v[0:1], v[2:3], off
.LBB86_737:
	s_mov_b64 s[30:31], 0
.LBB86_738:
	s_andn2_b64 vcc, exec, s[30:31]
	s_cbranch_vccnz .LBB86_740
; %bb.739:
	v_cvt_f16_f32_e32 v3, v2
	global_store_dword v[0:1], v3, off
.LBB86_740:
	s_mov_b64 s[30:31], 0
.LBB86_741:
	s_andn2_b64 vcc, exec, s[30:31]
	s_cbranch_vccnz .LBB86_750
; %bb.742:
	v_mov_b32_e32 v3, 6
	v_cmp_lt_i16_sdwa s[34:35], s3, v3 src0_sel:BYTE_0 src1_sel:DWORD
	s_mov_b64 s[30:31], -1
	s_and_b64 vcc, exec, s[34:35]
	s_cbranch_vccnz .LBB86_748
; %bb.743:
	v_cmp_gt_i16_sdwa s[34:35], s3, v3 src0_sel:BYTE_0 src1_sel:DWORD
	s_and_b64 vcc, exec, s[34:35]
	s_cbranch_vccz .LBB86_745
; %bb.744:
	v_cvt_f64_f32_e32 v[6:7], v2
	s_mov_b64 s[30:31], 0
	global_store_dwordx2 v[0:1], v[6:7], off
.LBB86_745:
	s_andn2_b64 vcc, exec, s[30:31]
	s_cbranch_vccnz .LBB86_747
; %bb.746:
	global_store_dword v[0:1], v2, off
.LBB86_747:
	s_mov_b64 s[30:31], 0
.LBB86_748:
	s_andn2_b64 vcc, exec, s[30:31]
	s_cbranch_vccnz .LBB86_750
; %bb.749:
	v_cvt_f16_f32_e32 v3, v2
	global_store_short v[0:1], v3, off
.LBB86_750:
	s_mov_b64 s[30:31], 0
.LBB86_751:
	s_andn2_b64 vcc, exec, s[30:31]
	s_cbranch_vccnz .LBB86_767
; %bb.752:
	v_mov_b32_e32 v3, 2
	v_cmp_lt_i16_sdwa s[34:35], s3, v3 src0_sel:BYTE_0 src1_sel:DWORD
	s_mov_b64 s[30:31], -1
	s_and_b64 vcc, exec, s[34:35]
	s_cbranch_vccnz .LBB86_762
; %bb.753:
	v_mov_b32_e32 v3, 3
	v_cmp_lt_i16_sdwa s[34:35], s3, v3 src0_sel:BYTE_0 src1_sel:DWORD
	s_and_b64 vcc, exec, s[34:35]
	s_cbranch_vccnz .LBB86_759
; %bb.754:
	v_cmp_gt_i16_sdwa s[34:35], s3, v3 src0_sel:BYTE_0 src1_sel:DWORD
	s_and_b64 vcc, exec, s[34:35]
	s_cbranch_vccz .LBB86_756
; %bb.755:
	v_trunc_f32_e32 v3, v2
	s_mov_b32 s30, 0x2f800000
	v_mul_f32_e64 v6, |v3|, s30
	v_floor_f32_e32 v6, v6
	s_mov_b32 s30, 0xcf800000
	v_cvt_u32_f32_e32 v7, v6
	v_fma_f32 v6, v6, s30, |v3|
	v_cvt_u32_f32_e32 v6, v6
	v_ashrrev_i32_e32 v3, 31, v3
	v_xor_b32_e32 v7, v7, v3
	s_mov_b64 s[30:31], 0
	v_xor_b32_e32 v6, v6, v3
	v_sub_co_u32_e32 v6, vcc, v6, v3
	v_subb_co_u32_e32 v7, vcc, v7, v3, vcc
	global_store_dwordx2 v[0:1], v[6:7], off
.LBB86_756:
	s_andn2_b64 vcc, exec, s[30:31]
	s_cbranch_vccnz .LBB86_758
; %bb.757:
	v_cvt_i32_f32_e32 v3, v2
	global_store_dword v[0:1], v3, off
.LBB86_758:
	s_mov_b64 s[30:31], 0
.LBB86_759:
	s_andn2_b64 vcc, exec, s[30:31]
	s_cbranch_vccnz .LBB86_761
; %bb.760:
	v_cvt_i32_f32_e32 v3, v2
	global_store_short v[0:1], v3, off
.LBB86_761:
	s_mov_b64 s[30:31], 0
.LBB86_762:
	s_andn2_b64 vcc, exec, s[30:31]
	s_cbranch_vccnz .LBB86_767
; %bb.763:
	v_mov_b32_e32 v3, 0
	v_cmp_gt_i16_sdwa s[34:35], s3, v3 src0_sel:BYTE_0 src1_sel:DWORD
	s_mov_b64 s[30:31], -1
	s_and_b64 vcc, exec, s[34:35]
	s_cbranch_vccz .LBB86_765
; %bb.764:
	v_cvt_i32_f32_e32 v3, v2
	s_mov_b64 s[30:31], 0
	global_store_byte v[0:1], v3, off
.LBB86_765:
	s_andn2_b64 vcc, exec, s[30:31]
	s_cbranch_vccnz .LBB86_767
; %bb.766:
	v_trunc_f32_e32 v2, v2
	s_mov_b32 s30, 0x2f800000
	v_mul_f32_e64 v3, |v2|, s30
	v_floor_f32_e32 v3, v3
	s_mov_b32 s30, 0xcf800000
	v_fma_f32 v3, v3, s30, |v2|
	v_cvt_u32_f32_e32 v3, v3
	v_ashrrev_i32_e32 v2, 31, v2
	v_xor_b32_e32 v3, v3, v2
	v_sub_u32_e32 v2, v3, v2
	global_store_byte v[0:1], v2, off
.LBB86_767:
	s_mov_b64 s[30:31], -1
.LBB86_768:
	s_andn2_b64 vcc, exec, s[30:31]
	s_cbranch_vccnz .LBB86_770
; %bb.769:
	v_add_u32_e32 v4, 0x80, v4
	s_mov_b64 s[34:35], -1
	s_branch .LBB86_771
.LBB86_770:
	s_mov_b64 s[34:35], 0
                                        ; implicit-def: $vgpr4
.LBB86_771:
	s_andn2_b64 s[30:31], s[22:23], exec
	s_and_b64 s[0:1], s[0:1], exec
	s_or_b64 s[30:31], s[30:31], s[0:1]
	s_andn2_b64 s[0:1], s[20:21], exec
	s_and_b64 s[28:29], s[28:29], exec
	s_or_b64 s[0:1], s[0:1], s[28:29]
	s_orn2_b64 s[36:37], s[34:35], exec
.LBB86_772:
	s_or_b64 exec, exec, s[26:27]
	s_mov_b64 s[34:35], 0
	s_mov_b64 s[28:29], 0
	;; [unrolled: 1-line block ×3, first 2 shown]
                                        ; implicit-def: $vgpr0_vgpr1
                                        ; implicit-def: $vgpr3
	s_and_saveexec_b64 s[26:27], s[36:37]
	s_cbranch_execz .LBB86_857
; %bb.773:
	v_cmp_gt_i32_e32 vcc, s33, v4
	s_mov_b64 s[36:37], 0
	s_mov_b64 s[40:41], s[0:1]
	;; [unrolled: 1-line block ×3, first 2 shown]
                                        ; implicit-def: $vgpr0_vgpr1
                                        ; implicit-def: $vgpr3
	s_and_saveexec_b64 s[28:29], vcc
	s_cbranch_execz .LBB86_856
; %bb.774:
	v_mul_lo_u32 v0, v4, s13
	v_ashrrev_i32_e32 v1, 31, v0
	v_mov_b32_e32 v2, s11
	v_add_co_u32_e32 v0, vcc, s10, v0
	v_addc_co_u32_e32 v1, vcc, v2, v1, vcc
	v_cmp_gt_i16_e32 vcc, 11, v5
	s_cbranch_vccnz .LBB86_781
; %bb.775:
	v_cmp_lt_i16_e32 vcc, 25, v5
	s_cbranch_vccz .LBB86_782
; %bb.776:
	v_cmp_lt_i16_e32 vcc, 28, v5
	s_cbranch_vccz .LBB86_783
	;; [unrolled: 3-line block ×4, first 2 shown]
; %bb.779:
	v_cmp_eq_u16_e32 vcc, 46, v5
	s_mov_b64 s[40:41], 0
	s_cbranch_vccz .LBB86_790
; %bb.780:
	global_load_dword v2, v[0:1], off
	s_mov_b64 s[38:39], -1
	s_waitcnt vmcnt(0)
	v_lshlrev_b32_e32 v3, 16, v2
	s_branch .LBB86_792
.LBB86_781:
	s_mov_b64 s[40:41], -1
                                        ; implicit-def: $vgpr3
	s_mov_b64 s[34:35], s[0:1]
	s_branch .LBB86_855
.LBB86_782:
	s_mov_b64 s[40:41], -1
	s_mov_b64 s[34:35], s[0:1]
                                        ; implicit-def: $vgpr3
	s_branch .LBB86_821
.LBB86_783:
	s_mov_b64 s[40:41], -1
	s_mov_b64 s[34:35], s[0:1]
                                        ; implicit-def: $vgpr3
	s_branch .LBB86_802
.LBB86_784:
	s_mov_b64 s[40:41], -1
	s_mov_b64 s[34:35], s[0:1]
                                        ; implicit-def: $vgpr3
	s_branch .LBB86_797
.LBB86_785:
	s_or_saveexec_b64 s[36:37], s[36:37]
                                        ; implicit-def: $sgpr38
	s_xor_b64 exec, exec, s[36:37]
	s_cbranch_execz .LBB86_681
.LBB86_786:
	s_mov_b32 s38, 0x46000000
	v_add_f32_e64 v6, |v3|, s38
	v_and_b32_e32 v6, 0xff, v6
	v_cmp_ne_u32_e32 vcc, 0, v6
	s_andn2_b64 s[34:35], s[34:35], exec
	s_and_b64 s[40:41], vcc, exec
	s_mov_b32 s38, 0
	s_or_b64 s[34:35], s[34:35], s[40:41]
	s_or_b64 exec, exec, s[36:37]
	v_mov_b32_e32 v7, s38
	s_and_saveexec_b64 s[36:37], s[34:35]
	s_cbranch_execnz .LBB86_682
	s_branch .LBB86_683
.LBB86_787:
	s_mov_b64 s[40:41], -1
	s_mov_b64 s[34:35], s[0:1]
	s_branch .LBB86_791
.LBB86_788:
	s_or_saveexec_b64 s[36:37], s[36:37]
                                        ; implicit-def: $sgpr38
	s_xor_b64 exec, exec, s[36:37]
	s_cbranch_execz .LBB86_694
.LBB86_789:
	s_mov_b32 s38, 0x42800000
	v_add_f32_e64 v6, |v3|, s38
	v_and_b32_e32 v6, 0xff, v6
	v_cmp_ne_u32_e32 vcc, 0, v6
	s_andn2_b64 s[34:35], s[34:35], exec
	s_and_b64 s[40:41], vcc, exec
	s_mov_b32 s38, 0
	s_or_b64 s[34:35], s[34:35], s[40:41]
	s_or_b64 exec, exec, s[36:37]
	v_mov_b32_e32 v7, s38
	s_and_saveexec_b64 s[36:37], s[34:35]
	s_cbranch_execnz .LBB86_695
	s_branch .LBB86_696
.LBB86_790:
	s_mov_b64 s[34:35], -1
.LBB86_791:
                                        ; implicit-def: $vgpr3
.LBB86_792:
	s_and_b64 vcc, exec, s[40:41]
	s_cbranch_vccz .LBB86_796
; %bb.793:
	v_cmp_eq_u16_e32 vcc, 44, v5
	s_cbranch_vccz .LBB86_795
; %bb.794:
	global_load_ubyte v2, v[0:1], off
	s_movk_i32 s33, 0xff
	s_waitcnt vmcnt(1)
	v_mov_b32_e32 v3, 0x7f800001
	v_mov_b32_e32 v6, 0x400000
	s_mov_b64 s[34:35], 0
	s_mov_b64 s[38:39], -1
	s_waitcnt vmcnt(0)
	v_lshlrev_b32_e32 v7, 23, v2
	v_cmp_ne_u32_e32 vcc, s33, v2
	v_cndmask_b32_e32 v3, v3, v7, vcc
	v_cmp_ne_u32_e32 vcc, 0, v2
	v_cndmask_b32_e32 v3, v6, v3, vcc
	s_branch .LBB86_796
.LBB86_795:
	s_mov_b64 s[34:35], -1
                                        ; implicit-def: $vgpr3
.LBB86_796:
	s_mov_b64 s[40:41], 0
.LBB86_797:
	s_and_b64 vcc, exec, s[40:41]
	s_cbranch_vccz .LBB86_801
; %bb.798:
	v_cmp_eq_u16_e32 vcc, 29, v5
	s_cbranch_vccz .LBB86_800
; %bb.799:
	global_load_dwordx2 v[2:3], v[0:1], off
	s_mov_b64 s[34:35], 0
	s_mov_b64 s[38:39], -1
	s_mov_b64 s[40:41], 0
	s_waitcnt vmcnt(0)
	v_ffbh_u32_e32 v6, v3
	v_min_u32_e32 v6, 32, v6
	v_lshlrev_b64 v[2:3], v6, v[2:3]
	v_min_u32_e32 v2, 1, v2
	v_or_b32_e32 v2, v3, v2
	v_cvt_f32_u32_e32 v2, v2
	v_sub_u32_e32 v3, 32, v6
	v_ldexp_f32 v3, v2, v3
	s_branch .LBB86_802
.LBB86_800:
	s_mov_b64 s[34:35], -1
                                        ; implicit-def: $vgpr3
.LBB86_801:
	s_mov_b64 s[40:41], 0
.LBB86_802:
	s_and_b64 vcc, exec, s[40:41]
	s_cbranch_vccz .LBB86_820
; %bb.803:
	v_cmp_gt_i16_e32 vcc, 27, v5
	s_cbranch_vccnz .LBB86_806
; %bb.804:
	v_cmp_lt_i16_e32 vcc, 27, v5
	s_cbranch_vccz .LBB86_807
; %bb.805:
	global_load_dword v2, v[0:1], off
	s_mov_b64 s[38:39], 0
	s_waitcnt vmcnt(0)
	v_cvt_f32_u32_e32 v3, v2
	s_branch .LBB86_808
.LBB86_806:
	s_mov_b64 s[38:39], -1
                                        ; implicit-def: $vgpr3
	s_branch .LBB86_811
.LBB86_807:
	s_mov_b64 s[38:39], -1
                                        ; implicit-def: $vgpr3
.LBB86_808:
	s_andn2_b64 vcc, exec, s[38:39]
	s_cbranch_vccnz .LBB86_810
; %bb.809:
	global_load_ushort v2, v[0:1], off
	s_waitcnt vmcnt(0)
	v_cvt_f32_u32_e32 v3, v2
.LBB86_810:
	s_mov_b64 s[38:39], 0
.LBB86_811:
	s_andn2_b64 vcc, exec, s[38:39]
	s_cbranch_vccnz .LBB86_819
; %bb.812:
	global_load_ubyte v2, v[0:1], off
	s_movk_i32 s33, 0x7f
	s_mov_b64 s[38:39], 0
	s_waitcnt vmcnt(0)
	v_cmp_lt_i16_e32 vcc, s33, v2
                                        ; implicit-def: $sgpr33
	s_and_saveexec_b64 s[40:41], vcc
	s_xor_b64 s[40:41], exec, s[40:41]
	s_cbranch_execz .LBB86_833
; %bb.813:
	s_movk_i32 s33, 0x80
	v_cmp_eq_u16_e32 vcc, s33, v2
	s_mov_b64 s[38:39], -1
                                        ; implicit-def: $sgpr33
	s_and_saveexec_b64 s[42:43], vcc
; %bb.814:
	s_mov_b32 s33, 0x7f800001
	s_xor_b64 s[38:39], exec, -1
; %bb.815:
	s_or_b64 exec, exec, s[42:43]
	s_and_b64 s[38:39], s[38:39], exec
	s_or_saveexec_b64 s[40:41], s[40:41]
	v_mov_b32_e32 v3, s33
	s_xor_b64 exec, exec, s[40:41]
	s_cbranch_execnz .LBB86_834
.LBB86_816:
	s_or_b64 exec, exec, s[40:41]
	s_and_saveexec_b64 s[40:41], s[38:39]
	s_cbranch_execz .LBB86_818
.LBB86_817:
	v_lshlrev_b32_e32 v3, 24, v2
	v_and_b32_e32 v2, 0xffff, v2
	v_and_b32_e32 v6, 7, v2
	v_ffbh_u32_e32 v8, v6
	v_min_u32_e32 v8, 32, v8
	v_subrev_u32_e32 v9, 28, v8
	v_bfe_u32 v7, v2, 3, 4
	v_lshlrev_b32_e32 v2, v9, v2
	v_sub_u32_e32 v8, 29, v8
	v_and_b32_e32 v2, 7, v2
	v_cmp_eq_u32_e32 vcc, 0, v7
	v_cndmask_b32_e32 v7, v7, v8, vcc
	v_cndmask_b32_e32 v2, v6, v2, vcc
	v_mov_b32_e32 v6, 0x3b800000
	v_lshlrev_b32_e32 v2, 20, v2
	v_and_b32_e32 v3, 0x80000000, v3
	v_lshl_add_u32 v6, v7, 23, v6
	v_or3_b32 v3, v3, v6, v2
.LBB86_818:
	s_or_b64 exec, exec, s[40:41]
.LBB86_819:
	s_mov_b64 s[38:39], -1
.LBB86_820:
	s_mov_b64 s[40:41], 0
.LBB86_821:
	s_and_b64 vcc, exec, s[40:41]
	s_cbranch_vccz .LBB86_854
; %bb.822:
	v_cmp_lt_i16_e32 vcc, 22, v5
	s_cbranch_vccz .LBB86_832
; %bb.823:
	v_cmp_gt_i16_e32 vcc, 24, v5
	s_cbranch_vccnz .LBB86_835
; %bb.824:
	v_cmp_lt_i16_e32 vcc, 24, v5
	s_cbranch_vccz .LBB86_836
; %bb.825:
	global_load_ubyte v2, v[0:1], off
	s_movk_i32 s33, 0x7f
	s_waitcnt vmcnt(0)
	v_cmp_lt_i16_e32 vcc, s33, v2
                                        ; implicit-def: $sgpr33
	s_and_saveexec_b64 s[38:39], vcc
	s_xor_b64 s[38:39], exec, s[38:39]
	s_cbranch_execz .LBB86_848
; %bb.826:
	s_movk_i32 s33, 0x80
	v_cmp_eq_u16_e32 vcc, s33, v2
	s_mov_b64 s[36:37], -1
                                        ; implicit-def: $sgpr33
	s_and_saveexec_b64 s[40:41], vcc
; %bb.827:
	s_mov_b32 s33, 0x7f800001
	s_xor_b64 s[36:37], exec, -1
; %bb.828:
	s_or_b64 exec, exec, s[40:41]
	s_and_b64 s[36:37], s[36:37], exec
	s_or_saveexec_b64 s[38:39], s[38:39]
	v_mov_b32_e32 v3, s33
	s_xor_b64 exec, exec, s[38:39]
	s_cbranch_execnz .LBB86_849
.LBB86_829:
	s_or_b64 exec, exec, s[38:39]
	s_and_saveexec_b64 s[38:39], s[36:37]
	s_cbranch_execz .LBB86_831
.LBB86_830:
	v_lshlrev_b32_e32 v3, 24, v2
	v_and_b32_e32 v2, 0xffff, v2
	v_and_b32_e32 v6, 3, v2
	v_ffbh_u32_e32 v8, v6
	v_min_u32_e32 v8, 32, v8
	v_subrev_u32_e32 v9, 29, v8
	v_bfe_u32 v7, v2, 2, 5
	v_lshlrev_b32_e32 v2, v9, v2
	v_sub_u32_e32 v8, 30, v8
	v_and_b32_e32 v2, 3, v2
	v_cmp_eq_u32_e32 vcc, 0, v7
	v_cndmask_b32_e32 v7, v7, v8, vcc
	v_cndmask_b32_e32 v2, v6, v2, vcc
	v_mov_b32_e32 v6, 0x37800000
	v_lshlrev_b32_e32 v2, 21, v2
	v_and_b32_e32 v3, 0x80000000, v3
	v_lshl_add_u32 v6, v7, 23, v6
	v_or3_b32 v3, v3, v6, v2
.LBB86_831:
	s_or_b64 exec, exec, s[38:39]
	s_mov_b64 s[36:37], 0
	s_branch .LBB86_837
.LBB86_832:
	s_mov_b64 s[36:37], -1
                                        ; implicit-def: $vgpr3
	s_branch .LBB86_843
.LBB86_833:
	s_or_saveexec_b64 s[40:41], s[40:41]
	v_mov_b32_e32 v3, s33
	s_xor_b64 exec, exec, s[40:41]
	s_cbranch_execz .LBB86_816
.LBB86_834:
	v_cmp_ne_u16_e32 vcc, 0, v2
	s_andn2_b64 s[38:39], s[38:39], exec
	s_and_b64 s[42:43], vcc, exec
	v_mov_b32_e32 v3, 0
	s_or_b64 s[38:39], s[38:39], s[42:43]
	s_or_b64 exec, exec, s[40:41]
	s_and_saveexec_b64 s[40:41], s[38:39]
	s_cbranch_execnz .LBB86_817
	s_branch .LBB86_818
.LBB86_835:
	s_mov_b64 s[36:37], -1
                                        ; implicit-def: $vgpr3
	s_branch .LBB86_840
.LBB86_836:
	s_mov_b64 s[36:37], -1
                                        ; implicit-def: $vgpr3
.LBB86_837:
	s_and_b64 vcc, exec, s[36:37]
	s_cbranch_vccz .LBB86_839
; %bb.838:
	global_load_ubyte v2, v[0:1], off
	s_mov_b32 s33, 0x7f800000
	s_waitcnt vmcnt(0)
	v_lshlrev_b32_e32 v2, 24, v2
	v_and_b32_e32 v3, 0x7f000000, v2
	v_ffbh_u32_e32 v6, v3
	v_min_u32_e32 v6, 32, v6
	v_sub_u32_e64 v6, v6, 4 clamp
	v_lshlrev_b32_e32 v8, v6, v3
	v_lshlrev_b32_e32 v6, 23, v6
	v_lshrrev_b32_e32 v8, 4, v8
	v_add_u32_e32 v7, 0x1000000, v3
	v_sub_u32_e32 v6, v8, v6
	v_ashrrev_i32_e32 v7, 8, v7
	v_add_u32_e32 v6, 0x3c000000, v6
	v_and_or_b32 v6, v7, s33, v6
	v_cmp_ne_u32_e32 vcc, 0, v3
	v_cndmask_b32_e32 v3, 0, v6, vcc
	s_brev_b32 s33, 1
	v_and_or_b32 v3, v2, s33, v3
.LBB86_839:
	s_mov_b64 s[36:37], 0
.LBB86_840:
	s_andn2_b64 vcc, exec, s[36:37]
	s_cbranch_vccnz .LBB86_842
; %bb.841:
	global_load_ubyte v2, v[0:1], off
	s_movk_i32 s33, 0x7f00
	s_brev_b32 s36, 16
	s_waitcnt vmcnt(0)
	v_lshlrev_b16_e32 v3, 8, v2
	v_lshlrev_b32_e32 v2, 25, v2
	v_lshrrev_b32_e32 v6, 4, v2
	v_and_or_b32 v7, v3, s33, 0.5
	v_or_b32_e32 v6, 0x70000000, v6
	v_add_f32_e32 v7, -0.5, v7
	v_mul_f32_e32 v6, 0x7800000, v6
	v_cmp_gt_u32_e32 vcc, s36, v2
	v_bfe_i32 v3, v3, 0, 16
	v_cndmask_b32_e32 v2, v6, v7, vcc
	s_brev_b32 s33, 1
	v_and_or_b32 v3, v3, s33, v2
.LBB86_842:
	s_mov_b64 s[36:37], 0
	s_mov_b64 s[38:39], -1
.LBB86_843:
	s_andn2_b64 vcc, exec, s[36:37]
	s_mov_b64 s[36:37], 0
	s_cbranch_vccnz .LBB86_854
; %bb.844:
	v_cmp_lt_i16_e32 vcc, 14, v5
	s_cbranch_vccz .LBB86_847
; %bb.845:
	v_cmp_eq_u16_e32 vcc, 15, v5
	s_cbranch_vccz .LBB86_850
; %bb.846:
	global_load_ushort v2, v[0:1], off
	s_mov_b64 s[34:35], 0
	s_mov_b64 s[38:39], -1
	s_waitcnt vmcnt(0)
	v_lshlrev_b32_e32 v3, 16, v2
	s_branch .LBB86_851
.LBB86_847:
	s_mov_b64 s[40:41], -1
                                        ; implicit-def: $vgpr3
	s_branch .LBB86_852
.LBB86_848:
	s_or_saveexec_b64 s[38:39], s[38:39]
	v_mov_b32_e32 v3, s33
	s_xor_b64 exec, exec, s[38:39]
	s_cbranch_execz .LBB86_829
.LBB86_849:
	v_cmp_ne_u16_e32 vcc, 0, v2
	s_andn2_b64 s[36:37], s[36:37], exec
	s_and_b64 s[40:41], vcc, exec
	v_mov_b32_e32 v3, 0
	s_or_b64 s[36:37], s[36:37], s[40:41]
	s_or_b64 exec, exec, s[38:39]
	s_and_saveexec_b64 s[38:39], s[36:37]
	s_cbranch_execnz .LBB86_830
	s_branch .LBB86_831
.LBB86_850:
	s_mov_b64 s[34:35], -1
                                        ; implicit-def: $vgpr3
.LBB86_851:
	s_mov_b64 s[40:41], 0
.LBB86_852:
	s_and_b64 vcc, exec, s[40:41]
	s_cbranch_vccz .LBB86_854
; %bb.853:
	v_cmp_ne_u16_e32 vcc, 11, v5
	s_andn2_b64 s[34:35], s[34:35], exec
	s_and_b64 s[40:41], vcc, exec
	s_mov_b64 s[36:37], -1
	s_or_b64 s[34:35], s[34:35], s[40:41]
                                        ; implicit-def: $vgpr3
.LBB86_854:
	s_mov_b64 s[40:41], 0
.LBB86_855:
	s_and_b64 s[42:43], s[40:41], exec
	s_andn2_b64 s[40:41], s[0:1], exec
	s_and_b64 s[34:35], s[34:35], exec
	s_and_b64 s[38:39], s[38:39], exec
	;; [unrolled: 1-line block ×3, first 2 shown]
	s_or_b64 s[40:41], s[40:41], s[34:35]
.LBB86_856:
	s_or_b64 exec, exec, s[28:29]
	s_and_b64 s[34:35], s[36:37], exec
	s_andn2_b64 s[0:1], s[0:1], exec
	s_and_b64 s[36:37], s[40:41], exec
	s_and_b64 s[38:39], s[38:39], exec
	;; [unrolled: 1-line block ×3, first 2 shown]
	s_or_b64 s[0:1], s[0:1], s[36:37]
.LBB86_857:
	s_or_b64 exec, exec, s[26:27]
	s_andn2_b64 s[22:23], s[22:23], exec
	s_and_b64 s[26:27], s[30:31], exec
	s_andn2_b64 s[20:21], s[20:21], exec
	s_and_b64 s[0:1], s[0:1], exec
	s_or_b64 s[22:23], s[22:23], s[26:27]
	s_and_b64 s[30:31], s[38:39], exec
	s_and_b64 s[28:29], s[28:29], exec
	;; [unrolled: 1-line block ×3, first 2 shown]
	s_or_b64 s[20:21], s[20:21], s[0:1]
.LBB86_858:
	s_or_b64 exec, exec, s[24:25]
	s_andn2_b64 s[0:1], s[14:15], exec
	s_and_b64 s[14:15], s[22:23], exec
	s_andn2_b64 s[16:17], s[16:17], exec
	s_and_b64 s[20:21], s[20:21], exec
	s_or_b64 s[14:15], s[0:1], s[14:15]
	s_and_b64 s[0:1], s[30:31], exec
	s_and_b64 s[24:25], s[28:29], exec
	;; [unrolled: 1-line block ×3, first 2 shown]
	s_or_b64 s[16:17], s[16:17], s[20:21]
	s_or_b64 exec, exec, s[18:19]
	s_mov_b64 s[18:19], 0
	s_and_saveexec_b64 s[20:21], s[16:17]
	s_cbranch_execz .LBB86_262
.LBB86_859:
	s_mov_b64 s[18:19], exec
	s_andn2_b64 s[22:23], s[22:23], exec
	s_trap 2
                                        ; implicit-def: $vgpr3
	s_or_b64 exec, exec, s[20:21]
	s_and_saveexec_b64 s[16:17], s[22:23]
	s_xor_b64 s[16:17], exec, s[16:17]
	s_cbranch_execnz .LBB86_263
.LBB86_860:
	s_or_b64 exec, exec, s[16:17]
	s_and_saveexec_b64 s[16:17], s[24:25]
	s_cbranch_execz .LBB86_906
.LBB86_861:
	v_cmp_gt_i16_e32 vcc, 5, v5
	s_cbranch_vccnz .LBB86_866
; %bb.862:
	v_cmp_gt_i16_e32 vcc, 8, v5
	s_cbranch_vccnz .LBB86_867
; %bb.863:
	;; [unrolled: 3-line block ×3, first 2 shown]
	v_cmp_lt_i16_e32 vcc, 9, v5
	s_cbranch_vccz .LBB86_869
; %bb.865:
	global_load_dwordx2 v[2:3], v[0:1], off
	s_mov_b64 s[20:21], 0
	s_waitcnt vmcnt(0)
	v_cvt_f32_f64_e32 v3, v[2:3]
	s_branch .LBB86_870
.LBB86_866:
                                        ; implicit-def: $vgpr3
	s_branch .LBB86_887
.LBB86_867:
                                        ; implicit-def: $vgpr3
	s_branch .LBB86_876
.LBB86_868:
	s_mov_b64 s[20:21], -1
                                        ; implicit-def: $vgpr3
	s_branch .LBB86_873
.LBB86_869:
	s_mov_b64 s[20:21], -1
                                        ; implicit-def: $vgpr3
.LBB86_870:
	s_andn2_b64 vcc, exec, s[20:21]
	s_cbranch_vccnz .LBB86_872
; %bb.871:
	global_load_dword v3, v[0:1], off
.LBB86_872:
	s_mov_b64 s[20:21], 0
.LBB86_873:
	s_andn2_b64 vcc, exec, s[20:21]
	s_cbranch_vccnz .LBB86_875
; %bb.874:
	global_load_dword v2, v[0:1], off
	s_waitcnt vmcnt(0)
	v_cvt_f32_f16_e32 v3, v2
.LBB86_875:
	s_cbranch_execnz .LBB86_886
.LBB86_876:
	v_cmp_gt_i16_e32 vcc, 6, v5
	s_cbranch_vccnz .LBB86_879
; %bb.877:
	v_cmp_lt_i16_e32 vcc, 6, v5
	s_cbranch_vccz .LBB86_880
; %bb.878:
	global_load_dwordx2 v[2:3], v[0:1], off
	s_mov_b64 s[20:21], 0
	s_waitcnt vmcnt(0)
	v_cvt_f32_f64_e32 v3, v[2:3]
	s_branch .LBB86_881
.LBB86_879:
	s_mov_b64 s[20:21], -1
                                        ; implicit-def: $vgpr3
	s_branch .LBB86_884
.LBB86_880:
	s_mov_b64 s[20:21], -1
                                        ; implicit-def: $vgpr3
.LBB86_881:
	s_andn2_b64 vcc, exec, s[20:21]
	s_cbranch_vccnz .LBB86_883
; %bb.882:
	global_load_dword v3, v[0:1], off
.LBB86_883:
	s_mov_b64 s[20:21], 0
.LBB86_884:
	s_andn2_b64 vcc, exec, s[20:21]
	s_cbranch_vccnz .LBB86_886
; %bb.885:
	global_load_ushort v2, v[0:1], off
	s_waitcnt vmcnt(0)
	v_cvt_f32_f16_e32 v3, v2
.LBB86_886:
	s_cbranch_execnz .LBB86_905
.LBB86_887:
	v_cmp_gt_i16_e32 vcc, 2, v5
	s_cbranch_vccnz .LBB86_891
; %bb.888:
	v_cmp_gt_i16_e32 vcc, 3, v5
	s_cbranch_vccnz .LBB86_892
; %bb.889:
	v_cmp_lt_i16_e32 vcc, 3, v5
	s_cbranch_vccz .LBB86_893
; %bb.890:
	global_load_dwordx2 v[2:3], v[0:1], off
	s_mov_b64 s[20:21], 0
	s_waitcnt vmcnt(0)
	v_xor_b32_e32 v7, v2, v3
	v_ffbh_i32_e32 v6, v3
	v_ashrrev_i32_e32 v7, 31, v7
	v_add_u32_e32 v6, -1, v6
	v_add_u32_e32 v7, 32, v7
	v_min_u32_e32 v6, v6, v7
	v_lshlrev_b64 v[2:3], v6, v[2:3]
	v_min_u32_e32 v2, 1, v2
	v_or_b32_e32 v2, v3, v2
	v_cvt_f32_i32_e32 v2, v2
	v_sub_u32_e32 v3, 32, v6
	v_ldexp_f32 v3, v2, v3
	s_branch .LBB86_894
.LBB86_891:
                                        ; implicit-def: $vgpr3
	s_branch .LBB86_900
.LBB86_892:
	s_mov_b64 s[20:21], -1
                                        ; implicit-def: $vgpr3
	s_branch .LBB86_897
.LBB86_893:
	s_mov_b64 s[20:21], -1
                                        ; implicit-def: $vgpr3
.LBB86_894:
	s_andn2_b64 vcc, exec, s[20:21]
	s_cbranch_vccnz .LBB86_896
; %bb.895:
	global_load_dword v2, v[0:1], off
	s_waitcnt vmcnt(0)
	v_cvt_f32_i32_e32 v3, v2
.LBB86_896:
	s_mov_b64 s[20:21], 0
.LBB86_897:
	s_andn2_b64 vcc, exec, s[20:21]
	s_cbranch_vccnz .LBB86_899
; %bb.898:
	global_load_sshort v2, v[0:1], off
	s_waitcnt vmcnt(0)
	v_cvt_f32_i32_e32 v3, v2
.LBB86_899:
	s_cbranch_execnz .LBB86_905
.LBB86_900:
	v_cmp_lt_i16_e32 vcc, 0, v5
	s_cbranch_vccz .LBB86_902
; %bb.901:
	global_load_sbyte v2, v[0:1], off
	s_mov_b64 s[20:21], 0
	s_waitcnt vmcnt(0)
	v_cvt_f32_i32_e32 v3, v2
	s_branch .LBB86_903
.LBB86_902:
	s_mov_b64 s[20:21], -1
                                        ; implicit-def: $vgpr3
.LBB86_903:
	s_andn2_b64 vcc, exec, s[20:21]
	s_cbranch_vccnz .LBB86_905
; %bb.904:
	global_load_ubyte v0, v[0:1], off
	s_waitcnt vmcnt(0)
	v_cvt_f32_ubyte0_e32 v3, v0
.LBB86_905:
	s_or_b64 s[0:1], s[0:1], exec
.LBB86_906:
	s_or_b64 exec, exec, s[16:17]
	s_mov_b64 s[22:23], 0
	s_mov_b64 s[20:21], 0
                                        ; implicit-def: $vgpr5
                                        ; implicit-def: $vgpr0_vgpr1
                                        ; implicit-def: $vgpr2
	s_and_saveexec_b64 s[16:17], s[0:1]
	s_cbranch_execz .LBB86_924
; %bb.907:
	s_brev_b32 s0, -2
	v_mov_b32_e32 v0, s2
	s_waitcnt vmcnt(0)
	v_bfi_b32 v2, s0, v3, v0
	v_mul_lo_u32 v0, v4, s12
	v_ashrrev_i32_e32 v1, 31, v0
	v_mov_b32_e32 v4, s9
	v_add_co_u32_e32 v0, vcc, s8, v0
	v_addc_co_u32_e32 v1, vcc, v4, v1, vcc
	v_mov_b32_e32 v4, 0xff
	v_and_b32_e32 v5, s3, v4
	v_cmp_gt_i16_e32 vcc, 11, v5
	s_cbranch_vccnz .LBB86_927
; %bb.908:
	v_cmp_lt_i16_e32 vcc, 25, v5
	s_mov_b64 s[22:23], -1
	s_mov_b64 s[0:1], s[14:15]
	s_cbranch_vccz .LBB86_945
; %bb.909:
	v_cmp_lt_i16_e32 vcc, 28, v5
	s_mov_b64 s[20:21], -1
	s_mov_b64 s[0:1], s[14:15]
	s_cbranch_vccz .LBB86_929
; %bb.910:
	v_cmp_lt_i16_e32 vcc, 43, v5
	s_mov_b64 s[0:1], s[14:15]
	s_cbranch_vccz .LBB86_921
; %bb.911:
	v_cmp_lt_i16_e32 vcc, 45, v5
	s_mov_b64 s[0:1], s[14:15]
	s_cbranch_vccz .LBB86_915
; %bb.912:
	v_cmp_eq_u16_e32 vcc, 46, v5
	s_mov_b64 s[0:1], -1
	s_cbranch_vccz .LBB86_914
; %bb.913:
	v_bfe_u32 v4, v2, 16, 1
	s_movk_i32 s0, 0x7fff
	v_add3_u32 v4, v2, v4, s0
	v_lshrrev_b32_e32 v4, 16, v4
	v_mov_b32_e32 v6, 0x7fc0
	v_cmp_o_f32_e32 vcc, v2, v2
	v_cndmask_b32_e32 v4, v6, v4, vcc
	global_store_dword v[0:1], v4, off
	s_mov_b64 s[0:1], 0
.LBB86_914:
	s_mov_b64 s[20:21], 0
.LBB86_915:
	s_and_b64 vcc, exec, s[20:21]
	s_cbranch_vccz .LBB86_920
; %bb.916:
	v_cmp_eq_u16_e32 vcc, 44, v5
	s_mov_b64 s[0:1], -1
	s_cbranch_vccz .LBB86_920
; %bb.917:
	v_bfe_u32 v4, v2, 23, 8
	s_movk_i32 s0, 0xff
	v_cmp_ne_u32_e32 vcc, s0, v4
	v_mov_b32_e32 v6, 0xff
	s_and_saveexec_b64 s[20:21], vcc
; %bb.918:
	s_mov_b32 s0, 0x3fffff
	v_and_b32_e32 v7, 0x400000, v2
	v_and_or_b32 v4, v2, s0, v4
	v_cmp_ne_u32_e32 vcc, 0, v7
	v_cmp_ne_u32_e64 s[0:1], 0, v4
	s_and_b64 s[0:1], vcc, s[0:1]
	v_lshrrev_b32_e32 v6, 23, v2
	v_cndmask_b32_e64 v4, 0, 1, s[0:1]
	v_add_u32_e32 v6, v6, v4
; %bb.919:
	s_or_b64 exec, exec, s[20:21]
	s_mov_b64 s[0:1], 0
	global_store_byte v[0:1], v6, off
.LBB86_920:
	s_mov_b64 s[20:21], 0
.LBB86_921:
	s_and_b64 vcc, exec, s[20:21]
	s_cbranch_vccz .LBB86_928
; %bb.922:
	v_cmp_eq_u16_e32 vcc, 29, v5
	s_mov_b64 s[0:1], -1
	s_cbranch_vccz .LBB86_928
; %bb.923:
	v_trunc_f32_e32 v4, v2
	v_mul_f32_e32 v6, 0x2f800000, v4
	v_floor_f32_e32 v6, v6
	v_fmac_f32_e32 v4, 0xcf800000, v6
	v_cvt_u32_f32_e32 v7, v6
	v_cvt_u32_f32_e32 v6, v4
	s_mov_b64 s[0:1], 0
	s_mov_b64 s[20:21], 0
	global_store_dwordx2 v[0:1], v[6:7], off
	s_branch .LBB86_929
.LBB86_924:
	s_or_b64 exec, exec, s[16:17]
	s_and_saveexec_b64 s[0:1], s[14:15]
	s_cbranch_execnz .LBB86_987
.LBB86_925:
	s_or_b64 exec, exec, s[0:1]
	s_and_saveexec_b64 s[0:1], s[22:23]
	s_xor_b64 s[0:1], exec, s[0:1]
	s_cbranch_execz .LBB86_988
.LBB86_926:
	v_cmp_neq_f32_e32 vcc, 0, v2
	s_waitcnt vmcnt(0)
	v_cndmask_b32_e64 v3, 0, 1, vcc
	global_store_byte v[0:1], v3, off
	s_or_b64 exec, exec, s[0:1]
	s_and_saveexec_b64 s[0:1], s[20:21]
	s_xor_b64 s[0:1], exec, s[0:1]
	s_cbranch_execz .LBB86_1026
	s_branch .LBB86_989
.LBB86_927:
	s_mov_b64 s[20:21], -1
	s_mov_b64 s[0:1], s[14:15]
	s_branch .LBB86_986
.LBB86_928:
	s_mov_b64 s[20:21], 0
.LBB86_929:
	s_and_b64 vcc, exec, s[20:21]
	s_cbranch_vccz .LBB86_944
; %bb.930:
	v_cmp_gt_i16_e32 vcc, 27, v5
	s_mov_b64 s[20:21], -1
	s_cbranch_vccnz .LBB86_936
; %bb.931:
	v_cvt_u32_f32_e32 v4, v2
	v_cmp_lt_i16_e32 vcc, 27, v5
	s_cbranch_vccz .LBB86_933
; %bb.932:
	s_mov_b64 s[20:21], 0
	global_store_dword v[0:1], v4, off
.LBB86_933:
	s_andn2_b64 vcc, exec, s[20:21]
	s_cbranch_vccnz .LBB86_935
; %bb.934:
	global_store_short v[0:1], v4, off
.LBB86_935:
	s_mov_b64 s[20:21], 0
.LBB86_936:
	s_andn2_b64 vcc, exec, s[20:21]
	s_cbranch_vccnz .LBB86_944
; %bb.937:
	v_and_b32_e32 v4, 0x7fffffff, v3
	s_mov_b32 s20, 0x43800000
	v_cmp_gt_u32_e32 vcc, s20, v4
	v_mov_b32_e32 v6, 0x80
	s_and_saveexec_b64 s[20:21], vcc
	s_cbranch_execz .LBB86_943
; %bb.938:
	s_mov_b32 s22, 0x3bffffff
	v_cmp_lt_u32_e32 vcc, s22, v4
	s_mov_b64 s[22:23], 0
                                        ; implicit-def: $vgpr4
	s_and_saveexec_b64 s[24:25], vcc
	s_xor_b64 s[24:25], exec, s[24:25]
	s_cbranch_execz .LBB86_1041
; %bb.939:
	v_bfe_u32 v4, v2, 20, 1
	s_mov_b32 s26, 0x487ffff
	v_add3_u32 v4, v2, v4, s26
	s_mov_b64 s[22:23], exec
	v_lshrrev_b32_e32 v4, 20, v4
	s_or_saveexec_b64 s[24:25], s[24:25]
                                        ; implicit-def: $sgpr26
	s_xor_b64 exec, exec, s[24:25]
	s_cbranch_execnz .LBB86_1042
.LBB86_940:
	s_or_b64 exec, exec, s[24:25]
	v_mov_b32_e32 v6, s26
	s_and_saveexec_b64 s[24:25], s[22:23]
.LBB86_941:
	v_lshrrev_b32_e32 v6, 24, v2
	s_movk_i32 s22, 0x80
	v_and_or_b32 v6, v6, s22, v4
.LBB86_942:
	s_or_b64 exec, exec, s[24:25]
.LBB86_943:
	s_or_b64 exec, exec, s[20:21]
	global_store_byte v[0:1], v6, off
.LBB86_944:
	s_mov_b64 s[22:23], 0
.LBB86_945:
	s_mov_b64 s[20:21], 0
	s_and_b64 vcc, exec, s[22:23]
	s_cbranch_vccz .LBB86_985
; %bb.946:
	v_cmp_lt_i16_e32 vcc, 22, v5
	s_mov_b64 s[22:23], -1
	s_cbranch_vccz .LBB86_978
; %bb.947:
	v_cmp_gt_i16_e32 vcc, 24, v5
	s_cbranch_vccnz .LBB86_967
; %bb.948:
	v_cmp_lt_i16_e32 vcc, 24, v5
	s_cbranch_vccz .LBB86_956
; %bb.949:
	v_and_b32_e32 v4, 0x7fffffff, v3
	s_mov_b32 s22, 0x47800000
	v_cmp_gt_u32_e32 vcc, s22, v4
	v_mov_b32_e32 v6, 0x80
	s_and_saveexec_b64 s[22:23], vcc
	s_cbranch_execz .LBB86_955
; %bb.950:
	s_mov_b32 s24, 0x37ffffff
	v_cmp_lt_u32_e32 vcc, s24, v4
	s_mov_b64 s[24:25], 0
                                        ; implicit-def: $vgpr4
	s_and_saveexec_b64 s[26:27], vcc
	s_xor_b64 s[26:27], exec, s[26:27]
	s_cbranch_execz .LBB86_1166
; %bb.951:
	v_bfe_u32 v4, v2, 21, 1
	s_mov_b32 s28, 0x88fffff
	v_add3_u32 v4, v2, v4, s28
	s_mov_b64 s[24:25], exec
	v_lshrrev_b32_e32 v4, 21, v4
	s_or_saveexec_b64 s[26:27], s[26:27]
                                        ; implicit-def: $sgpr28
	s_xor_b64 exec, exec, s[26:27]
	s_cbranch_execnz .LBB86_1167
.LBB86_952:
	s_or_b64 exec, exec, s[26:27]
	v_mov_b32_e32 v6, s28
	s_and_saveexec_b64 s[26:27], s[24:25]
.LBB86_953:
	v_lshrrev_b32_e32 v6, 24, v2
	s_movk_i32 s24, 0x80
	v_and_or_b32 v6, v6, s24, v4
.LBB86_954:
	s_or_b64 exec, exec, s[26:27]
.LBB86_955:
	s_or_b64 exec, exec, s[22:23]
	s_mov_b64 s[22:23], 0
	global_store_byte v[0:1], v6, off
.LBB86_956:
	s_and_b64 vcc, exec, s[22:23]
	s_cbranch_vccz .LBB86_966
; %bb.957:
	v_and_b32_e32 v6, 0x7fffffff, v3
	s_mov_b32 s22, 0x43f00000
	v_cmp_gt_u32_e32 vcc, s22, v6
                                        ; implicit-def: $vgpr4
	s_and_saveexec_b64 s[22:23], vcc
	s_xor_b64 s[22:23], exec, s[22:23]
	s_cbranch_execz .LBB86_963
; %bb.958:
	s_mov_b32 s24, 0x3c7fffff
	v_cmp_lt_u32_e32 vcc, s24, v6
                                        ; implicit-def: $vgpr4
	s_and_saveexec_b64 s[24:25], vcc
	s_xor_b64 s[24:25], exec, s[24:25]
; %bb.959:
	v_bfe_u32 v4, v2, 20, 1
	s_mov_b32 s26, 0x407ffff
	v_add3_u32 v4, v2, v4, s26
	v_lshrrev_b32_e32 v6, 20, v4
	v_and_b32_e32 v4, 0xff00000, v4
	s_mov_b32 s26, 0x7f00000
	v_mov_b32_e32 v7, 0x7e
	v_cmp_ne_u32_e32 vcc, s26, v4
	v_cndmask_b32_e32 v4, v7, v6, vcc
; %bb.960:
	s_andn2_saveexec_b64 s[24:25], s[24:25]
; %bb.961:
	s_mov_b32 s26, 0x46800000
	v_add_f32_e64 v4, |v3|, s26
; %bb.962:
	s_or_b64 exec, exec, s[24:25]
                                        ; implicit-def: $vgpr6
.LBB86_963:
	s_andn2_saveexec_b64 s[22:23], s[22:23]
; %bb.964:
	s_mov_b32 s24, 0x7f800000
	v_mov_b32_e32 v4, 0x7e
	v_mov_b32_e32 v7, 0x7f
	v_cmp_lt_u32_e32 vcc, s24, v6
	v_cndmask_b32_e32 v4, v4, v7, vcc
; %bb.965:
	s_or_b64 exec, exec, s[22:23]
	v_lshrrev_b32_e32 v6, 24, v2
	s_movk_i32 s22, 0x80
	v_and_or_b32 v4, v6, s22, v4
	global_store_byte v[0:1], v4, off
.LBB86_966:
	s_mov_b64 s[22:23], 0
.LBB86_967:
	s_andn2_b64 vcc, exec, s[22:23]
	s_cbranch_vccnz .LBB86_977
; %bb.968:
	v_and_b32_e32 v6, 0x7fffffff, v3
	s_mov_b32 s22, 0x47800000
	v_cmp_gt_u32_e32 vcc, s22, v6
                                        ; implicit-def: $vgpr4
	s_and_saveexec_b64 s[22:23], vcc
	s_xor_b64 s[22:23], exec, s[22:23]
	s_cbranch_execz .LBB86_974
; %bb.969:
	s_mov_b32 s24, 0x387fffff
	v_cmp_lt_u32_e32 vcc, s24, v6
                                        ; implicit-def: $vgpr4
	s_and_saveexec_b64 s[24:25], vcc
	s_xor_b64 s[24:25], exec, s[24:25]
; %bb.970:
	v_bfe_u32 v3, v2, 21, 1
	s_mov_b32 s26, 0x80fffff
	v_add3_u32 v3, v2, v3, s26
	v_lshrrev_b32_e32 v4, 21, v3
                                        ; implicit-def: $vgpr3
; %bb.971:
	s_andn2_saveexec_b64 s[24:25], s[24:25]
; %bb.972:
	s_mov_b32 s26, 0x43000000
	v_add_f32_e64 v4, |v3|, s26
; %bb.973:
	s_or_b64 exec, exec, s[24:25]
                                        ; implicit-def: $vgpr6
.LBB86_974:
	s_andn2_saveexec_b64 s[22:23], s[22:23]
; %bb.975:
	s_mov_b32 s24, 0x7f800000
	v_mov_b32_e32 v3, 0x7c
	v_mov_b32_e32 v4, 0x7f
	v_cmp_lt_u32_e32 vcc, s24, v6
	v_cndmask_b32_e32 v4, v3, v4, vcc
; %bb.976:
	s_or_b64 exec, exec, s[22:23]
	v_lshrrev_b32_e32 v3, 24, v2
	s_movk_i32 s22, 0x80
	v_and_or_b32 v3, v3, s22, v4
	global_store_byte v[0:1], v3, off
.LBB86_977:
	s_mov_b64 s[22:23], 0
.LBB86_978:
	s_andn2_b64 vcc, exec, s[22:23]
	s_mov_b64 s[22:23], 0
	s_cbranch_vccnz .LBB86_986
; %bb.979:
	v_cmp_lt_i16_e32 vcc, 14, v5
	s_mov_b64 s[24:25], -1
	s_cbranch_vccz .LBB86_983
; %bb.980:
	v_cmp_eq_u16_e32 vcc, 15, v5
	s_mov_b64 s[0:1], -1
	s_cbranch_vccz .LBB86_982
; %bb.981:
	v_bfe_u32 v3, v2, 16, 1
	s_movk_i32 s0, 0x7fff
	v_add3_u32 v3, v2, v3, s0
	v_lshrrev_b32_e32 v3, 16, v3
	v_mov_b32_e32 v4, 0x7fc0
	v_cmp_o_f32_e32 vcc, v2, v2
	v_cndmask_b32_e32 v3, v4, v3, vcc
	global_store_short v[0:1], v3, off
	s_mov_b64 s[0:1], 0
.LBB86_982:
	s_mov_b64 s[24:25], 0
.LBB86_983:
	s_and_b64 vcc, exec, s[24:25]
	s_cbranch_vccz .LBB86_986
; %bb.984:
	v_cmp_ne_u16_e32 vcc, 11, v5
	s_andn2_b64 s[0:1], s[0:1], exec
	s_and_b64 s[24:25], vcc, exec
	s_mov_b64 s[22:23], -1
	s_or_b64 s[0:1], s[0:1], s[24:25]
	s_branch .LBB86_986
.LBB86_985:
	s_mov_b64 s[22:23], 0
.LBB86_986:
	s_andn2_b64 s[14:15], s[14:15], exec
	s_and_b64 s[0:1], s[0:1], exec
	s_and_b64 s[20:21], s[20:21], exec
	;; [unrolled: 1-line block ×3, first 2 shown]
	s_or_b64 s[14:15], s[14:15], s[0:1]
	s_or_b64 exec, exec, s[16:17]
	s_and_saveexec_b64 s[0:1], s[14:15]
	s_cbranch_execz .LBB86_925
.LBB86_987:
	s_or_b64 s[18:19], s[18:19], exec
	s_andn2_b64 s[22:23], s[22:23], exec
	s_trap 2
	s_or_b64 exec, exec, s[0:1]
	s_and_saveexec_b64 s[0:1], s[22:23]
	s_xor_b64 s[0:1], exec, s[0:1]
	s_cbranch_execnz .LBB86_926
.LBB86_988:
	s_or_b64 exec, exec, s[0:1]
	s_and_saveexec_b64 s[0:1], s[20:21]
	s_xor_b64 s[0:1], exec, s[0:1]
	s_cbranch_execz .LBB86_1026
.LBB86_989:
	v_cmp_gt_i16_e32 vcc, 5, v5
	s_mov_b64 s[14:15], -1
	s_cbranch_vccnz .LBB86_1010
; %bb.990:
	v_cmp_gt_i16_e32 vcc, 8, v5
	s_cbranch_vccnz .LBB86_1000
; %bb.991:
	v_cmp_gt_i16_e32 vcc, 9, v5
	s_cbranch_vccnz .LBB86_997
; %bb.992:
	v_cmp_lt_i16_e32 vcc, 9, v5
	s_cbranch_vccz .LBB86_994
; %bb.993:
	v_mov_b32_e32 v8, 0
	v_cvt_f64_f32_e32 v[6:7], v2
	v_mov_b32_e32 v9, v8
	s_mov_b64 s[14:15], 0
	global_store_dwordx4 v[0:1], v[6:9], off
.LBB86_994:
	s_andn2_b64 vcc, exec, s[14:15]
	s_cbranch_vccnz .LBB86_996
; %bb.995:
	s_waitcnt vmcnt(0)
	v_mov_b32_e32 v3, 0
	global_store_dwordx2 v[0:1], v[2:3], off
.LBB86_996:
	s_mov_b64 s[14:15], 0
.LBB86_997:
	s_andn2_b64 vcc, exec, s[14:15]
	s_cbranch_vccnz .LBB86_999
; %bb.998:
	s_waitcnt vmcnt(0)
	v_cvt_f16_f32_e32 v3, v2
	global_store_dword v[0:1], v3, off
.LBB86_999:
	s_mov_b64 s[14:15], 0
.LBB86_1000:
	s_andn2_b64 vcc, exec, s[14:15]
	s_cbranch_vccnz .LBB86_1009
; %bb.1001:
	v_cmp_gt_i16_e32 vcc, 6, v5
	s_mov_b64 s[14:15], -1
	s_cbranch_vccnz .LBB86_1007
; %bb.1002:
	v_cmp_lt_i16_e32 vcc, 6, v5
	s_cbranch_vccz .LBB86_1004
; %bb.1003:
	v_cvt_f64_f32_e32 v[6:7], v2
	s_mov_b64 s[14:15], 0
	global_store_dwordx2 v[0:1], v[6:7], off
.LBB86_1004:
	s_andn2_b64 vcc, exec, s[14:15]
	s_cbranch_vccnz .LBB86_1006
; %bb.1005:
	global_store_dword v[0:1], v2, off
.LBB86_1006:
	s_mov_b64 s[14:15], 0
.LBB86_1007:
	s_andn2_b64 vcc, exec, s[14:15]
	s_cbranch_vccnz .LBB86_1009
; %bb.1008:
	s_waitcnt vmcnt(0)
	v_cvt_f16_f32_e32 v3, v2
	global_store_short v[0:1], v3, off
.LBB86_1009:
	s_mov_b64 s[14:15], 0
.LBB86_1010:
	s_andn2_b64 vcc, exec, s[14:15]
	s_cbranch_vccnz .LBB86_1026
; %bb.1011:
	v_cmp_gt_i16_e32 vcc, 2, v5
	s_mov_b64 s[14:15], -1
	s_cbranch_vccnz .LBB86_1021
; %bb.1012:
	v_cmp_gt_i16_e32 vcc, 3, v5
	s_cbranch_vccnz .LBB86_1018
; %bb.1013:
	v_cmp_lt_i16_e32 vcc, 3, v5
	s_cbranch_vccz .LBB86_1015
; %bb.1014:
	s_waitcnt vmcnt(0)
	v_trunc_f32_e32 v3, v2
	s_mov_b32 s14, 0x2f800000
	v_mul_f32_e64 v4, |v3|, s14
	v_floor_f32_e32 v4, v4
	s_mov_b32 s14, 0xcf800000
	v_cvt_u32_f32_e32 v6, v4
	v_fma_f32 v4, v4, s14, |v3|
	v_cvt_u32_f32_e32 v4, v4
	v_ashrrev_i32_e32 v3, 31, v3
	v_xor_b32_e32 v7, v6, v3
	s_mov_b64 s[14:15], 0
	v_xor_b32_e32 v4, v4, v3
	v_sub_co_u32_e32 v6, vcc, v4, v3
	v_subb_co_u32_e32 v7, vcc, v7, v3, vcc
	global_store_dwordx2 v[0:1], v[6:7], off
.LBB86_1015:
	s_andn2_b64 vcc, exec, s[14:15]
	s_cbranch_vccnz .LBB86_1017
; %bb.1016:
	s_waitcnt vmcnt(0)
	v_cvt_i32_f32_e32 v3, v2
	global_store_dword v[0:1], v3, off
.LBB86_1017:
	s_mov_b64 s[14:15], 0
.LBB86_1018:
	s_andn2_b64 vcc, exec, s[14:15]
	s_cbranch_vccnz .LBB86_1020
; %bb.1019:
	s_waitcnt vmcnt(0)
	v_cvt_i32_f32_e32 v3, v2
	global_store_short v[0:1], v3, off
.LBB86_1020:
	s_mov_b64 s[14:15], 0
.LBB86_1021:
	s_andn2_b64 vcc, exec, s[14:15]
	s_cbranch_vccnz .LBB86_1026
; %bb.1022:
	v_cmp_lt_i16_e32 vcc, 0, v5
	s_mov_b64 s[14:15], -1
	s_cbranch_vccz .LBB86_1024
; %bb.1023:
	s_waitcnt vmcnt(0)
	v_cvt_i32_f32_e32 v3, v2
	s_mov_b64 s[14:15], 0
	global_store_byte v[0:1], v3, off
.LBB86_1024:
	s_andn2_b64 vcc, exec, s[14:15]
	s_cbranch_vccnz .LBB86_1026
; %bb.1025:
	v_trunc_f32_e32 v2, v2
	s_mov_b32 s14, 0x2f800000
	s_waitcnt vmcnt(0)
	v_mul_f32_e64 v3, |v2|, s14
	v_floor_f32_e32 v3, v3
	s_mov_b32 s14, 0xcf800000
	v_fma_f32 v3, v3, s14, |v2|
	v_cvt_u32_f32_e32 v3, v3
	v_ashrrev_i32_e32 v2, 31, v2
	v_xor_b32_e32 v3, v3, v2
	v_sub_u32_e32 v2, v3, v2
	global_store_byte v[0:1], v2, off
.LBB86_1026:
	s_or_b64 exec, exec, s[0:1]
	s_and_b64 s[14:15], s[18:19], exec
                                        ; implicit-def: $vgpr4
                                        ; implicit-def: $vgpr5
.LBB86_1027:
	s_or_saveexec_b64 s[6:7], s[6:7]
	s_mov_b64 s[0:1], 0
                                        ; implicit-def: $vgpr6
                                        ; implicit-def: $vgpr0_vgpr1
                                        ; implicit-def: $vgpr2
	s_xor_b64 exec, exec, s[6:7]
	s_cbranch_execz .LBB86_1995
; %bb.1028:
	v_mul_lo_u32 v2, s13, v4
	v_ashrrev_i32_e32 v1, 31, v2
	s_waitcnt vmcnt(0)
	v_mov_b32_e32 v3, s11
	v_add_co_u32_e32 v0, vcc, s10, v2
	v_addc_co_u32_e32 v1, vcc, v3, v1, vcc
	v_cmp_gt_i16_e64 s[0:1], 11, v5
	s_and_b64 vcc, exec, s[0:1]
	s_cbranch_vccnz .LBB86_1035
; %bb.1029:
	v_cmp_lt_i16_e32 vcc, 25, v5
	s_mov_b64 s[18:19], 0
	s_cbranch_vccz .LBB86_1037
; %bb.1030:
	v_cmp_lt_i16_e32 vcc, 28, v5
	s_cbranch_vccz .LBB86_1038
; %bb.1031:
	v_cmp_lt_i16_e32 vcc, 43, v5
	;; [unrolled: 3-line block ×3, first 2 shown]
	s_cbranch_vccz .LBB86_1040
; %bb.1033:
	v_cmp_eq_u16_e32 vcc, 46, v5
	s_mov_b64 s[16:17], 0
	s_cbranch_vccz .LBB86_1043
; %bb.1034:
	global_load_dword v3, v[0:1], off
	s_mov_b64 s[20:21], -1
	s_waitcnt vmcnt(0)
	v_lshlrev_b32_e32 v3, 16, v3
	s_branch .LBB86_1044
.LBB86_1035:
	s_mov_b64 s[20:21], 0
                                        ; implicit-def: $vgpr3
	s_mov_b64 s[16:17], s[14:15]
	s_cbranch_execnz .LBB86_1107
.LBB86_1036:
	s_andn2_b64 vcc, exec, s[20:21]
	s_cbranch_vccz .LBB86_1152
	s_branch .LBB86_1993
.LBB86_1037:
	s_mov_b64 s[20:21], 0
                                        ; implicit-def: $vgpr3
	s_cbranch_execnz .LBB86_1072
	s_branch .LBB86_1103
.LBB86_1038:
	s_mov_b64 s[16:17], -1
	s_mov_b64 s[20:21], 0
                                        ; implicit-def: $vgpr3
	s_branch .LBB86_1053
.LBB86_1039:
	s_mov_b64 s[20:21], 0
                                        ; implicit-def: $vgpr3
	s_cbranch_execnz .LBB86_1049
	s_branch .LBB86_1052
.LBB86_1040:
	s_mov_b64 s[16:17], -1
	s_mov_b64 s[20:21], 0
                                        ; implicit-def: $vgpr3
	s_branch .LBB86_1044
.LBB86_1041:
	s_or_saveexec_b64 s[24:25], s[24:25]
                                        ; implicit-def: $sgpr26
	s_xor_b64 exec, exec, s[24:25]
	s_cbranch_execz .LBB86_940
.LBB86_1042:
	s_mov_b32 s26, 0x46000000
	v_add_f32_e64 v4, |v3|, s26
	v_and_b32_e32 v4, 0xff, v4
	v_cmp_ne_u32_e32 vcc, 0, v4
	s_andn2_b64 s[22:23], s[22:23], exec
	s_and_b64 s[28:29], vcc, exec
	s_mov_b32 s26, 0
	s_or_b64 s[22:23], s[22:23], s[28:29]
	s_or_b64 exec, exec, s[24:25]
	v_mov_b32_e32 v6, s26
	s_and_saveexec_b64 s[24:25], s[22:23]
	s_cbranch_execnz .LBB86_941
	s_branch .LBB86_942
.LBB86_1043:
	s_mov_b64 s[4:5], -1
                                        ; implicit-def: $vgpr3
	s_mov_b64 s[20:21], 0
.LBB86_1044:
	s_and_b64 vcc, exec, s[16:17]
	s_cbranch_vccz .LBB86_1047
; %bb.1045:
	v_cmp_eq_u16_e32 vcc, 44, v5
	s_cbranch_vccz .LBB86_1048
; %bb.1046:
	global_load_ubyte v3, v[0:1], off
	s_movk_i32 s16, 0xff
	v_mov_b32_e32 v6, 0x7f800001
	v_mov_b32_e32 v7, 0x400000
	s_mov_b64 s[4:5], 0
	s_mov_b64 s[20:21], -1
	s_waitcnt vmcnt(0)
	v_lshlrev_b32_e32 v8, 23, v3
	v_cmp_ne_u32_e32 vcc, s16, v3
	v_cndmask_b32_e32 v6, v6, v8, vcc
	v_cmp_ne_u32_e32 vcc, 0, v3
	v_cndmask_b32_e32 v3, v7, v6, vcc
.LBB86_1047:
	s_branch .LBB86_1052
.LBB86_1048:
	s_mov_b64 s[4:5], -1
                                        ; implicit-def: $vgpr3
	s_branch .LBB86_1052
.LBB86_1049:
	v_cmp_eq_u16_e32 vcc, 29, v5
	s_cbranch_vccz .LBB86_1051
; %bb.1050:
	global_load_dwordx2 v[6:7], v[0:1], off
	s_mov_b64 s[4:5], 0
	s_mov_b64 s[20:21], -1
	s_mov_b64 s[16:17], 0
	s_waitcnt vmcnt(0)
	v_ffbh_u32_e32 v3, v7
	v_min_u32_e32 v3, 32, v3
	v_lshlrev_b64 v[6:7], v3, v[6:7]
	v_min_u32_e32 v6, 1, v6
	v_or_b32_e32 v6, v7, v6
	v_cvt_f32_u32_e32 v6, v6
	v_sub_u32_e32 v3, 32, v3
	v_ldexp_f32 v3, v6, v3
	s_branch .LBB86_1053
.LBB86_1051:
	s_mov_b64 s[4:5], -1
                                        ; implicit-def: $vgpr3
.LBB86_1052:
	s_mov_b64 s[16:17], 0
.LBB86_1053:
	s_and_b64 vcc, exec, s[16:17]
	s_cbranch_vccz .LBB86_1071
; %bb.1054:
	v_cmp_gt_i16_e32 vcc, 27, v5
	s_cbranch_vccnz .LBB86_1057
; %bb.1055:
	v_cmp_lt_i16_e32 vcc, 27, v5
	s_cbranch_vccz .LBB86_1058
; %bb.1056:
	global_load_dword v3, v[0:1], off
	s_mov_b64 s[16:17], 0
	s_waitcnt vmcnt(0)
	v_cvt_f32_u32_e32 v3, v3
	s_branch .LBB86_1059
.LBB86_1057:
	s_mov_b64 s[16:17], -1
                                        ; implicit-def: $vgpr3
	s_branch .LBB86_1062
.LBB86_1058:
	s_mov_b64 s[16:17], -1
                                        ; implicit-def: $vgpr3
.LBB86_1059:
	s_andn2_b64 vcc, exec, s[16:17]
	s_cbranch_vccnz .LBB86_1061
; %bb.1060:
	global_load_ushort v3, v[0:1], off
	s_waitcnt vmcnt(0)
	v_cvt_f32_u32_e32 v3, v3
.LBB86_1061:
	s_mov_b64 s[16:17], 0
.LBB86_1062:
	s_andn2_b64 vcc, exec, s[16:17]
	s_cbranch_vccnz .LBB86_1070
; %bb.1063:
	global_load_ubyte v6, v[0:1], off
	s_movk_i32 s16, 0x7f
                                        ; implicit-def: $sgpr24
	s_waitcnt vmcnt(0)
	v_cmp_lt_i16_e32 vcc, s16, v6
	s_mov_b64 s[16:17], 0
	s_and_saveexec_b64 s[20:21], vcc
	s_xor_b64 s[20:21], exec, s[20:21]
	s_cbranch_execz .LBB86_1083
; %bb.1064:
	s_movk_i32 s16, 0x80
	v_cmp_eq_u16_e32 vcc, s16, v6
	s_mov_b64 s[16:17], -1
                                        ; implicit-def: $sgpr24
	s_and_saveexec_b64 s[22:23], vcc
; %bb.1065:
	s_mov_b32 s24, 0x7f800001
	s_xor_b64 s[16:17], exec, -1
; %bb.1066:
	s_or_b64 exec, exec, s[22:23]
	s_and_b64 s[16:17], s[16:17], exec
	s_or_saveexec_b64 s[20:21], s[20:21]
	v_mov_b32_e32 v3, s24
	s_xor_b64 exec, exec, s[20:21]
	s_cbranch_execnz .LBB86_1084
.LBB86_1067:
	s_or_b64 exec, exec, s[20:21]
	s_and_saveexec_b64 s[20:21], s[16:17]
	s_cbranch_execz .LBB86_1069
.LBB86_1068:
	v_lshlrev_b32_e32 v3, 24, v6
	v_and_b32_e32 v6, 0xffff, v6
	v_and_b32_e32 v7, 7, v6
	v_ffbh_u32_e32 v9, v7
	v_min_u32_e32 v9, 32, v9
	v_subrev_u32_e32 v10, 28, v9
	v_bfe_u32 v8, v6, 3, 4
	v_lshlrev_b32_e32 v6, v10, v6
	v_sub_u32_e32 v9, 29, v9
	v_and_b32_e32 v6, 7, v6
	v_cmp_eq_u32_e32 vcc, 0, v8
	v_cndmask_b32_e32 v8, v8, v9, vcc
	v_cndmask_b32_e32 v6, v7, v6, vcc
	v_mov_b32_e32 v7, 0x3b800000
	v_lshlrev_b32_e32 v6, 20, v6
	v_and_b32_e32 v3, 0x80000000, v3
	v_lshl_add_u32 v7, v8, 23, v7
	v_or3_b32 v3, v3, v7, v6
.LBB86_1069:
	s_or_b64 exec, exec, s[20:21]
.LBB86_1070:
	s_mov_b64 s[20:21], -1
.LBB86_1071:
	s_branch .LBB86_1103
.LBB86_1072:
	v_cmp_lt_i16_e32 vcc, 22, v5
	s_cbranch_vccz .LBB86_1082
; %bb.1073:
	v_cmp_gt_i16_e32 vcc, 24, v5
	s_cbranch_vccnz .LBB86_1085
; %bb.1074:
	v_cmp_lt_i16_e32 vcc, 24, v5
	s_cbranch_vccz .LBB86_1086
; %bb.1075:
	global_load_ubyte v6, v[0:1], off
	s_movk_i32 s16, 0x7f
                                        ; implicit-def: $sgpr22
	s_waitcnt vmcnt(0)
	v_cmp_lt_i16_e32 vcc, s16, v6
	s_mov_b64 s[16:17], 0
	s_and_saveexec_b64 s[18:19], vcc
	s_xor_b64 s[18:19], exec, s[18:19]
	s_cbranch_execz .LBB86_1097
; %bb.1076:
	s_movk_i32 s16, 0x80
	v_cmp_eq_u16_e32 vcc, s16, v6
	s_mov_b64 s[16:17], -1
                                        ; implicit-def: $sgpr22
	s_and_saveexec_b64 s[20:21], vcc
; %bb.1077:
	s_mov_b32 s22, 0x7f800001
	s_xor_b64 s[16:17], exec, -1
; %bb.1078:
	s_or_b64 exec, exec, s[20:21]
	s_and_b64 s[16:17], s[16:17], exec
	s_or_saveexec_b64 s[18:19], s[18:19]
	v_mov_b32_e32 v3, s22
	s_xor_b64 exec, exec, s[18:19]
	s_cbranch_execnz .LBB86_1098
.LBB86_1079:
	s_or_b64 exec, exec, s[18:19]
	s_and_saveexec_b64 s[18:19], s[16:17]
	s_cbranch_execz .LBB86_1081
.LBB86_1080:
	v_lshlrev_b32_e32 v3, 24, v6
	v_and_b32_e32 v6, 0xffff, v6
	v_and_b32_e32 v7, 3, v6
	v_ffbh_u32_e32 v9, v7
	v_min_u32_e32 v9, 32, v9
	v_subrev_u32_e32 v10, 29, v9
	v_bfe_u32 v8, v6, 2, 5
	v_lshlrev_b32_e32 v6, v10, v6
	v_sub_u32_e32 v9, 30, v9
	v_and_b32_e32 v6, 3, v6
	v_cmp_eq_u32_e32 vcc, 0, v8
	v_cndmask_b32_e32 v8, v8, v9, vcc
	v_cndmask_b32_e32 v6, v7, v6, vcc
	v_mov_b32_e32 v7, 0x37800000
	v_lshlrev_b32_e32 v6, 21, v6
	v_and_b32_e32 v3, 0x80000000, v3
	v_lshl_add_u32 v7, v8, 23, v7
	v_or3_b32 v3, v3, v7, v6
.LBB86_1081:
	s_or_b64 exec, exec, s[18:19]
	s_mov_b64 s[16:17], 0
	s_branch .LBB86_1087
.LBB86_1082:
                                        ; implicit-def: $vgpr3
	s_mov_b64 s[18:19], 0
	s_branch .LBB86_1093
.LBB86_1083:
	s_or_saveexec_b64 s[20:21], s[20:21]
	v_mov_b32_e32 v3, s24
	s_xor_b64 exec, exec, s[20:21]
	s_cbranch_execz .LBB86_1067
.LBB86_1084:
	v_cmp_ne_u16_e32 vcc, 0, v6
	s_andn2_b64 s[16:17], s[16:17], exec
	s_and_b64 s[22:23], vcc, exec
	v_mov_b32_e32 v3, 0
	s_or_b64 s[16:17], s[16:17], s[22:23]
	s_or_b64 exec, exec, s[20:21]
	s_and_saveexec_b64 s[20:21], s[16:17]
	s_cbranch_execnz .LBB86_1068
	s_branch .LBB86_1069
.LBB86_1085:
	s_mov_b64 s[16:17], -1
                                        ; implicit-def: $vgpr3
	s_branch .LBB86_1090
.LBB86_1086:
	s_mov_b64 s[16:17], -1
                                        ; implicit-def: $vgpr3
.LBB86_1087:
	s_and_b64 vcc, exec, s[16:17]
	s_cbranch_vccz .LBB86_1089
; %bb.1088:
	global_load_ubyte v3, v[0:1], off
	s_mov_b32 s16, 0x7f800000
	s_waitcnt vmcnt(0)
	v_lshlrev_b32_e32 v3, 24, v3
	v_and_b32_e32 v6, 0x7f000000, v3
	v_ffbh_u32_e32 v7, v6
	v_min_u32_e32 v7, 32, v7
	v_sub_u32_e64 v7, v7, 4 clamp
	v_lshlrev_b32_e32 v9, v7, v6
	v_lshlrev_b32_e32 v7, 23, v7
	v_lshrrev_b32_e32 v9, 4, v9
	v_add_u32_e32 v8, 0x1000000, v6
	v_sub_u32_e32 v7, v9, v7
	v_ashrrev_i32_e32 v8, 8, v8
	v_add_u32_e32 v7, 0x3c000000, v7
	v_and_or_b32 v7, v8, s16, v7
	v_cmp_ne_u32_e32 vcc, 0, v6
	v_cndmask_b32_e32 v6, 0, v7, vcc
	s_brev_b32 s16, 1
	v_and_or_b32 v3, v3, s16, v6
.LBB86_1089:
	s_mov_b64 s[16:17], 0
.LBB86_1090:
	s_andn2_b64 vcc, exec, s[16:17]
	s_cbranch_vccnz .LBB86_1092
; %bb.1091:
	global_load_ubyte v3, v[0:1], off
	s_movk_i32 s16, 0x7f00
	s_brev_b32 s17, 16
	s_waitcnt vmcnt(0)
	v_lshlrev_b16_e32 v6, 8, v3
	v_lshlrev_b32_e32 v3, 25, v3
	v_lshrrev_b32_e32 v7, 4, v3
	v_and_or_b32 v8, v6, s16, 0.5
	v_or_b32_e32 v7, 0x70000000, v7
	v_add_f32_e32 v8, -0.5, v8
	v_mul_f32_e32 v7, 0x7800000, v7
	v_cmp_gt_u32_e32 vcc, s17, v3
	v_bfe_i32 v6, v6, 0, 16
	v_cndmask_b32_e32 v3, v7, v8, vcc
	s_brev_b32 s16, 1
	v_and_or_b32 v3, v6, s16, v3
.LBB86_1092:
	s_mov_b64 s[20:21], -1
	s_mov_b64 s[18:19], 0
	s_cbranch_execnz .LBB86_1103
.LBB86_1093:
	v_cmp_lt_i16_e32 vcc, 14, v5
	s_cbranch_vccz .LBB86_1096
; %bb.1094:
	v_cmp_eq_u16_e32 vcc, 15, v5
	s_cbranch_vccz .LBB86_1099
; %bb.1095:
	global_load_ushort v3, v[0:1], off
	s_mov_b64 s[4:5], 0
	s_mov_b64 s[20:21], -1
	s_waitcnt vmcnt(0)
	v_lshlrev_b32_e32 v3, 16, v3
	s_branch .LBB86_1100
.LBB86_1096:
	s_mov_b64 s[16:17], -1
                                        ; implicit-def: $vgpr3
	s_branch .LBB86_1101
.LBB86_1097:
	s_or_saveexec_b64 s[18:19], s[18:19]
	v_mov_b32_e32 v3, s22
	s_xor_b64 exec, exec, s[18:19]
	s_cbranch_execz .LBB86_1079
.LBB86_1098:
	v_cmp_ne_u16_e32 vcc, 0, v6
	s_andn2_b64 s[16:17], s[16:17], exec
	s_and_b64 s[20:21], vcc, exec
	v_mov_b32_e32 v3, 0
	s_or_b64 s[16:17], s[16:17], s[20:21]
	s_or_b64 exec, exec, s[18:19]
	s_and_saveexec_b64 s[18:19], s[16:17]
	s_cbranch_execnz .LBB86_1080
	s_branch .LBB86_1081
.LBB86_1099:
	s_mov_b64 s[4:5], -1
                                        ; implicit-def: $vgpr3
.LBB86_1100:
	s_mov_b64 s[16:17], 0
.LBB86_1101:
	s_and_b64 vcc, exec, s[16:17]
	s_cbranch_vccz .LBB86_1103
; %bb.1102:
	v_cmp_ne_u16_e64 s[4:5], 11, v5
	s_mov_b64 s[18:19], -1
                                        ; implicit-def: $vgpr3
.LBB86_1103:
	s_and_b64 vcc, exec, s[4:5]
	s_mov_b64 s[16:17], s[14:15]
	s_cbranch_vccnz .LBB86_1164
; %bb.1104:
	s_andn2_b64 vcc, exec, s[18:19]
	s_cbranch_vccnz .LBB86_1106
.LBB86_1105:
	global_load_ubyte v3, v[0:1], off
	s_mov_b64 s[20:21], -1
	s_waitcnt vmcnt(0)
	v_cmp_ne_u16_e32 vcc, 0, v3
	v_cndmask_b32_e64 v3, 0, 1.0, vcc
.LBB86_1106:
	s_branch .LBB86_1036
.LBB86_1107:
	v_cmp_gt_i16_e32 vcc, 5, v5
	s_cbranch_vccnz .LBB86_1112
; %bb.1108:
	v_cmp_gt_i16_e32 vcc, 8, v5
	s_cbranch_vccnz .LBB86_1113
; %bb.1109:
	;; [unrolled: 3-line block ×3, first 2 shown]
	v_cmp_lt_i16_e32 vcc, 9, v5
	s_cbranch_vccz .LBB86_1115
; %bb.1111:
	global_load_dwordx2 v[6:7], v[0:1], off
	s_mov_b64 s[4:5], 0
	s_waitcnt vmcnt(0)
	v_cvt_f32_f64_e32 v3, v[6:7]
	s_branch .LBB86_1116
.LBB86_1112:
                                        ; implicit-def: $vgpr3
	s_branch .LBB86_1133
.LBB86_1113:
                                        ; implicit-def: $vgpr3
	s_branch .LBB86_1122
.LBB86_1114:
	s_mov_b64 s[4:5], -1
                                        ; implicit-def: $vgpr3
	s_branch .LBB86_1119
.LBB86_1115:
	s_mov_b64 s[4:5], -1
                                        ; implicit-def: $vgpr3
.LBB86_1116:
	s_andn2_b64 vcc, exec, s[4:5]
	s_cbranch_vccnz .LBB86_1118
; %bb.1117:
	global_load_dword v3, v[0:1], off
.LBB86_1118:
	s_mov_b64 s[4:5], 0
.LBB86_1119:
	s_andn2_b64 vcc, exec, s[4:5]
	s_cbranch_vccnz .LBB86_1121
; %bb.1120:
	global_load_dword v3, v[0:1], off
	s_waitcnt vmcnt(0)
	v_cvt_f32_f16_e32 v3, v3
.LBB86_1121:
	s_cbranch_execnz .LBB86_1132
.LBB86_1122:
	v_cmp_gt_i16_e32 vcc, 6, v5
	s_cbranch_vccnz .LBB86_1125
; %bb.1123:
	v_cmp_lt_i16_e32 vcc, 6, v5
	s_cbranch_vccz .LBB86_1126
; %bb.1124:
	global_load_dwordx2 v[6:7], v[0:1], off
	s_mov_b64 s[4:5], 0
	s_waitcnt vmcnt(0)
	v_cvt_f32_f64_e32 v3, v[6:7]
	s_branch .LBB86_1127
.LBB86_1125:
	s_mov_b64 s[4:5], -1
                                        ; implicit-def: $vgpr3
	s_branch .LBB86_1130
.LBB86_1126:
	s_mov_b64 s[4:5], -1
                                        ; implicit-def: $vgpr3
.LBB86_1127:
	s_andn2_b64 vcc, exec, s[4:5]
	s_cbranch_vccnz .LBB86_1129
; %bb.1128:
	global_load_dword v3, v[0:1], off
.LBB86_1129:
	s_mov_b64 s[4:5], 0
.LBB86_1130:
	s_andn2_b64 vcc, exec, s[4:5]
	s_cbranch_vccnz .LBB86_1132
; %bb.1131:
	global_load_ushort v3, v[0:1], off
	s_waitcnt vmcnt(0)
	v_cvt_f32_f16_e32 v3, v3
.LBB86_1132:
	s_cbranch_execnz .LBB86_1151
.LBB86_1133:
	v_cmp_gt_i16_e32 vcc, 2, v5
	s_cbranch_vccnz .LBB86_1137
; %bb.1134:
	v_cmp_gt_i16_e32 vcc, 3, v5
	s_cbranch_vccnz .LBB86_1138
; %bb.1135:
	v_cmp_lt_i16_e32 vcc, 3, v5
	s_cbranch_vccz .LBB86_1139
; %bb.1136:
	global_load_dwordx2 v[6:7], v[0:1], off
	s_mov_b64 s[4:5], 0
	s_waitcnt vmcnt(0)
	v_xor_b32_e32 v8, v6, v7
	v_ffbh_i32_e32 v3, v7
	v_ashrrev_i32_e32 v8, 31, v8
	v_add_u32_e32 v3, -1, v3
	v_add_u32_e32 v8, 32, v8
	v_min_u32_e32 v3, v3, v8
	v_lshlrev_b64 v[6:7], v3, v[6:7]
	v_min_u32_e32 v6, 1, v6
	v_or_b32_e32 v6, v7, v6
	v_cvt_f32_i32_e32 v6, v6
	v_sub_u32_e32 v3, 32, v3
	v_ldexp_f32 v3, v6, v3
	s_branch .LBB86_1140
.LBB86_1137:
                                        ; implicit-def: $vgpr3
	s_branch .LBB86_1146
.LBB86_1138:
	s_mov_b64 s[4:5], -1
                                        ; implicit-def: $vgpr3
	s_branch .LBB86_1143
.LBB86_1139:
	s_mov_b64 s[4:5], -1
                                        ; implicit-def: $vgpr3
.LBB86_1140:
	s_andn2_b64 vcc, exec, s[4:5]
	s_cbranch_vccnz .LBB86_1142
; %bb.1141:
	global_load_dword v3, v[0:1], off
	s_waitcnt vmcnt(0)
	v_cvt_f32_i32_e32 v3, v3
.LBB86_1142:
	s_mov_b64 s[4:5], 0
.LBB86_1143:
	s_andn2_b64 vcc, exec, s[4:5]
	s_cbranch_vccnz .LBB86_1145
; %bb.1144:
	global_load_sshort v3, v[0:1], off
	s_waitcnt vmcnt(0)
	v_cvt_f32_i32_e32 v3, v3
.LBB86_1145:
	s_cbranch_execnz .LBB86_1151
.LBB86_1146:
	v_cmp_lt_i16_e32 vcc, 0, v5
	s_cbranch_vccz .LBB86_1148
; %bb.1147:
	global_load_sbyte v3, v[0:1], off
	s_mov_b64 s[4:5], 0
	s_waitcnt vmcnt(0)
	v_cvt_f32_i32_e32 v3, v3
	s_branch .LBB86_1149
.LBB86_1148:
	s_mov_b64 s[4:5], -1
                                        ; implicit-def: $vgpr3
.LBB86_1149:
	s_andn2_b64 vcc, exec, s[4:5]
	s_cbranch_vccnz .LBB86_1151
; %bb.1150:
	global_load_ubyte v0, v[0:1], off
	s_waitcnt vmcnt(0)
	v_cvt_f32_ubyte0_e32 v3, v0
.LBB86_1151:
.LBB86_1152:
	s_lshl_b32 s13, s13, 7
	v_add_u32_e32 v2, s13, v2
	v_ashrrev_i32_e32 v1, 31, v2
	v_mov_b32_e32 v6, s11
	v_add_co_u32_e32 v0, vcc, s10, v2
	v_addc_co_u32_e32 v1, vcc, v6, v1, vcc
	s_and_b64 vcc, exec, s[0:1]
	s_cbranch_vccnz .LBB86_1159
; %bb.1153:
	v_cmp_lt_i16_e32 vcc, 25, v5
	s_mov_b64 s[18:19], 0
	s_cbranch_vccz .LBB86_1161
; %bb.1154:
	v_cmp_lt_i16_e32 vcc, 28, v5
	s_cbranch_vccz .LBB86_1162
; %bb.1155:
	v_cmp_lt_i16_e32 vcc, 43, v5
	;; [unrolled: 3-line block ×3, first 2 shown]
	s_cbranch_vccz .LBB86_1165
; %bb.1157:
	v_cmp_eq_u16_e32 vcc, 46, v5
	s_mov_b64 s[22:23], 0
	s_cbranch_vccz .LBB86_1168
; %bb.1158:
	global_load_dword v6, v[0:1], off
	s_mov_b64 s[4:5], 0
	s_mov_b64 s[20:21], -1
	s_waitcnt vmcnt(0)
	v_lshlrev_b32_e32 v6, 16, v6
	s_branch .LBB86_1169
.LBB86_1159:
	s_mov_b64 s[20:21], 0
                                        ; implicit-def: $vgpr6
	s_cbranch_execnz .LBB86_1234
.LBB86_1160:
	s_andn2_b64 vcc, exec, s[20:21]
	s_cbranch_vccnz .LBB86_1993
	s_branch .LBB86_1281
.LBB86_1161:
	s_mov_b64 s[20:21], 0
	s_mov_b64 s[4:5], 0
                                        ; implicit-def: $vgpr6
	s_cbranch_execnz .LBB86_1198
	s_branch .LBB86_1230
.LBB86_1162:
	s_mov_b64 s[22:23], -1
	s_mov_b64 s[20:21], 0
	s_mov_b64 s[4:5], 0
                                        ; implicit-def: $vgpr6
	s_branch .LBB86_1179
.LBB86_1163:
	s_mov_b64 s[22:23], -1
	s_mov_b64 s[20:21], 0
	s_mov_b64 s[4:5], 0
                                        ; implicit-def: $vgpr6
	s_branch .LBB86_1174
.LBB86_1164:
	s_or_b64 s[16:17], s[14:15], exec
	s_trap 2
                                        ; implicit-def: $vgpr3
	s_cbranch_execz .LBB86_1105
	s_branch .LBB86_1106
.LBB86_1165:
	s_mov_b64 s[22:23], -1
	s_mov_b64 s[20:21], 0
	s_mov_b64 s[4:5], 0
                                        ; implicit-def: $vgpr6
	s_branch .LBB86_1169
.LBB86_1166:
	s_or_saveexec_b64 s[26:27], s[26:27]
                                        ; implicit-def: $sgpr28
	s_xor_b64 exec, exec, s[26:27]
	s_cbranch_execz .LBB86_952
.LBB86_1167:
	s_mov_b32 s28, 0x42800000
	v_add_f32_e64 v4, |v3|, s28
	v_and_b32_e32 v4, 0xff, v4
	v_cmp_ne_u32_e32 vcc, 0, v4
	s_andn2_b64 s[24:25], s[24:25], exec
	s_and_b64 s[30:31], vcc, exec
	s_mov_b32 s28, 0
	s_or_b64 s[24:25], s[24:25], s[30:31]
	s_or_b64 exec, exec, s[26:27]
	v_mov_b32_e32 v6, s28
	s_and_saveexec_b64 s[26:27], s[24:25]
	s_cbranch_execnz .LBB86_953
	s_branch .LBB86_954
.LBB86_1168:
	s_mov_b64 s[4:5], -1
                                        ; implicit-def: $vgpr6
	s_mov_b64 s[20:21], 0
.LBB86_1169:
	s_and_b64 vcc, exec, s[22:23]
	s_cbranch_vccz .LBB86_1173
; %bb.1170:
	v_cmp_eq_u16_e32 vcc, 44, v5
	s_cbranch_vccz .LBB86_1172
; %bb.1171:
	global_load_ubyte v6, v[0:1], off
	s_movk_i32 s20, 0xff
	v_mov_b32_e32 v7, 0x7f800001
	v_mov_b32_e32 v8, 0x400000
	s_mov_b64 s[4:5], 0
	s_waitcnt vmcnt(0)
	v_lshlrev_b32_e32 v9, 23, v6
	v_cmp_ne_u32_e32 vcc, s20, v6
	v_cndmask_b32_e32 v7, v7, v9, vcc
	v_cmp_ne_u32_e32 vcc, 0, v6
	v_cndmask_b32_e32 v6, v8, v7, vcc
	s_mov_b64 s[20:21], -1
	s_branch .LBB86_1173
.LBB86_1172:
	s_mov_b64 s[4:5], -1
                                        ; implicit-def: $vgpr6
.LBB86_1173:
	s_mov_b64 s[22:23], 0
.LBB86_1174:
	s_and_b64 vcc, exec, s[22:23]
	s_cbranch_vccz .LBB86_1178
; %bb.1175:
	v_cmp_eq_u16_e32 vcc, 29, v5
	s_cbranch_vccz .LBB86_1177
; %bb.1176:
	global_load_dwordx2 v[6:7], v[0:1], off
	s_mov_b64 s[4:5], 0
	s_mov_b64 s[20:21], -1
	s_mov_b64 s[22:23], 0
	s_waitcnt vmcnt(0)
	v_ffbh_u32_e32 v8, v7
	v_min_u32_e32 v8, 32, v8
	v_lshlrev_b64 v[6:7], v8, v[6:7]
	v_min_u32_e32 v6, 1, v6
	v_or_b32_e32 v6, v7, v6
	v_cvt_f32_u32_e32 v6, v6
	v_sub_u32_e32 v7, 32, v8
	v_ldexp_f32 v6, v6, v7
	s_branch .LBB86_1179
.LBB86_1177:
	s_mov_b64 s[4:5], -1
                                        ; implicit-def: $vgpr6
.LBB86_1178:
	s_mov_b64 s[22:23], 0
.LBB86_1179:
	s_and_b64 vcc, exec, s[22:23]
	s_cbranch_vccz .LBB86_1197
; %bb.1180:
	v_cmp_gt_i16_e32 vcc, 27, v5
	s_cbranch_vccnz .LBB86_1183
; %bb.1181:
	v_cmp_lt_i16_e32 vcc, 27, v5
	s_cbranch_vccz .LBB86_1184
; %bb.1182:
	global_load_dword v6, v[0:1], off
	s_mov_b64 s[20:21], 0
	s_waitcnt vmcnt(0)
	v_cvt_f32_u32_e32 v6, v6
	s_branch .LBB86_1185
.LBB86_1183:
	s_mov_b64 s[20:21], -1
                                        ; implicit-def: $vgpr6
	s_branch .LBB86_1188
.LBB86_1184:
	s_mov_b64 s[20:21], -1
                                        ; implicit-def: $vgpr6
.LBB86_1185:
	s_andn2_b64 vcc, exec, s[20:21]
	s_cbranch_vccnz .LBB86_1187
; %bb.1186:
	global_load_ushort v6, v[0:1], off
	s_waitcnt vmcnt(0)
	v_cvt_f32_u32_e32 v6, v6
.LBB86_1187:
	s_mov_b64 s[20:21], 0
.LBB86_1188:
	s_andn2_b64 vcc, exec, s[20:21]
	s_cbranch_vccnz .LBB86_1196
; %bb.1189:
	global_load_ubyte v7, v[0:1], off
	s_movk_i32 s20, 0x7f
                                        ; implicit-def: $sgpr26
	s_waitcnt vmcnt(0)
	v_cmp_lt_i16_e32 vcc, s20, v7
	s_mov_b64 s[20:21], 0
	s_and_saveexec_b64 s[22:23], vcc
	s_xor_b64 s[22:23], exec, s[22:23]
	s_cbranch_execz .LBB86_1209
; %bb.1190:
	s_movk_i32 s20, 0x80
	v_cmp_eq_u16_e32 vcc, s20, v7
	s_mov_b64 s[20:21], -1
                                        ; implicit-def: $sgpr26
	s_and_saveexec_b64 s[24:25], vcc
; %bb.1191:
	s_mov_b32 s26, 0x7f800001
	s_xor_b64 s[20:21], exec, -1
; %bb.1192:
	s_or_b64 exec, exec, s[24:25]
	s_and_b64 s[20:21], s[20:21], exec
	s_or_saveexec_b64 s[22:23], s[22:23]
	v_mov_b32_e32 v6, s26
	s_xor_b64 exec, exec, s[22:23]
	s_cbranch_execnz .LBB86_1210
.LBB86_1193:
	s_or_b64 exec, exec, s[22:23]
	s_and_saveexec_b64 s[22:23], s[20:21]
	s_cbranch_execz .LBB86_1195
.LBB86_1194:
	v_lshlrev_b32_e32 v6, 24, v7
	v_and_b32_e32 v7, 0xffff, v7
	v_and_b32_e32 v8, 7, v7
	v_ffbh_u32_e32 v10, v8
	v_min_u32_e32 v10, 32, v10
	v_subrev_u32_e32 v11, 28, v10
	v_bfe_u32 v9, v7, 3, 4
	v_lshlrev_b32_e32 v7, v11, v7
	v_sub_u32_e32 v10, 29, v10
	v_and_b32_e32 v7, 7, v7
	v_cmp_eq_u32_e32 vcc, 0, v9
	v_cndmask_b32_e32 v9, v9, v10, vcc
	v_cndmask_b32_e32 v7, v8, v7, vcc
	v_mov_b32_e32 v8, 0x3b800000
	v_lshlrev_b32_e32 v7, 20, v7
	v_and_b32_e32 v6, 0x80000000, v6
	v_lshl_add_u32 v8, v9, 23, v8
	v_or3_b32 v6, v6, v8, v7
.LBB86_1195:
	s_or_b64 exec, exec, s[22:23]
.LBB86_1196:
	s_mov_b64 s[20:21], -1
.LBB86_1197:
	s_branch .LBB86_1230
.LBB86_1198:
	v_cmp_lt_i16_e32 vcc, 22, v5
	s_cbranch_vccz .LBB86_1208
; %bb.1199:
	v_cmp_gt_i16_e32 vcc, 24, v5
	s_cbranch_vccnz .LBB86_1211
; %bb.1200:
	v_cmp_lt_i16_e32 vcc, 24, v5
	s_cbranch_vccz .LBB86_1212
; %bb.1201:
	global_load_ubyte v7, v[0:1], off
	s_movk_i32 s18, 0x7f
                                        ; implicit-def: $sgpr24
	s_waitcnt vmcnt(0)
	v_cmp_lt_i16_e32 vcc, s18, v7
	s_mov_b64 s[18:19], 0
	s_and_saveexec_b64 s[20:21], vcc
	s_xor_b64 s[20:21], exec, s[20:21]
	s_cbranch_execz .LBB86_1224
; %bb.1202:
	s_movk_i32 s18, 0x80
	v_cmp_eq_u16_e32 vcc, s18, v7
	s_mov_b64 s[18:19], -1
                                        ; implicit-def: $sgpr24
	s_and_saveexec_b64 s[22:23], vcc
; %bb.1203:
	s_mov_b32 s24, 0x7f800001
	s_xor_b64 s[18:19], exec, -1
; %bb.1204:
	s_or_b64 exec, exec, s[22:23]
	s_and_b64 s[18:19], s[18:19], exec
	s_or_saveexec_b64 s[20:21], s[20:21]
	v_mov_b32_e32 v6, s24
	s_xor_b64 exec, exec, s[20:21]
	s_cbranch_execnz .LBB86_1225
.LBB86_1205:
	s_or_b64 exec, exec, s[20:21]
	s_and_saveexec_b64 s[20:21], s[18:19]
	s_cbranch_execz .LBB86_1207
.LBB86_1206:
	v_lshlrev_b32_e32 v6, 24, v7
	v_and_b32_e32 v7, 0xffff, v7
	v_and_b32_e32 v8, 3, v7
	v_ffbh_u32_e32 v10, v8
	v_min_u32_e32 v10, 32, v10
	v_subrev_u32_e32 v11, 29, v10
	v_bfe_u32 v9, v7, 2, 5
	v_lshlrev_b32_e32 v7, v11, v7
	v_sub_u32_e32 v10, 30, v10
	v_and_b32_e32 v7, 3, v7
	v_cmp_eq_u32_e32 vcc, 0, v9
	v_cndmask_b32_e32 v9, v9, v10, vcc
	v_cndmask_b32_e32 v7, v8, v7, vcc
	v_mov_b32_e32 v8, 0x37800000
	v_lshlrev_b32_e32 v7, 21, v7
	v_and_b32_e32 v6, 0x80000000, v6
	v_lshl_add_u32 v8, v9, 23, v8
	v_or3_b32 v6, v6, v8, v7
.LBB86_1207:
	s_or_b64 exec, exec, s[20:21]
	s_mov_b64 s[18:19], 0
	s_branch .LBB86_1213
.LBB86_1208:
	s_mov_b64 s[18:19], -1
                                        ; implicit-def: $vgpr6
	s_branch .LBB86_1219
.LBB86_1209:
	s_or_saveexec_b64 s[22:23], s[22:23]
	v_mov_b32_e32 v6, s26
	s_xor_b64 exec, exec, s[22:23]
	s_cbranch_execz .LBB86_1193
.LBB86_1210:
	v_cmp_ne_u16_e32 vcc, 0, v7
	s_andn2_b64 s[20:21], s[20:21], exec
	s_and_b64 s[24:25], vcc, exec
	v_mov_b32_e32 v6, 0
	s_or_b64 s[20:21], s[20:21], s[24:25]
	s_or_b64 exec, exec, s[22:23]
	s_and_saveexec_b64 s[22:23], s[20:21]
	s_cbranch_execnz .LBB86_1194
	s_branch .LBB86_1195
.LBB86_1211:
	s_mov_b64 s[18:19], -1
                                        ; implicit-def: $vgpr6
	s_branch .LBB86_1216
.LBB86_1212:
	s_mov_b64 s[18:19], -1
                                        ; implicit-def: $vgpr6
.LBB86_1213:
	s_and_b64 vcc, exec, s[18:19]
	s_cbranch_vccz .LBB86_1215
; %bb.1214:
	global_load_ubyte v6, v[0:1], off
	s_mov_b32 s18, 0x7f800000
	s_waitcnt vmcnt(0)
	v_lshlrev_b32_e32 v6, 24, v6
	v_and_b32_e32 v7, 0x7f000000, v6
	v_ffbh_u32_e32 v8, v7
	v_min_u32_e32 v8, 32, v8
	v_sub_u32_e64 v8, v8, 4 clamp
	v_lshlrev_b32_e32 v10, v8, v7
	v_lshlrev_b32_e32 v8, 23, v8
	v_lshrrev_b32_e32 v10, 4, v10
	v_add_u32_e32 v9, 0x1000000, v7
	v_sub_u32_e32 v8, v10, v8
	v_ashrrev_i32_e32 v9, 8, v9
	v_add_u32_e32 v8, 0x3c000000, v8
	v_and_or_b32 v8, v9, s18, v8
	v_cmp_ne_u32_e32 vcc, 0, v7
	v_cndmask_b32_e32 v7, 0, v8, vcc
	s_brev_b32 s18, 1
	v_and_or_b32 v6, v6, s18, v7
.LBB86_1215:
	s_mov_b64 s[18:19], 0
.LBB86_1216:
	s_andn2_b64 vcc, exec, s[18:19]
	s_cbranch_vccnz .LBB86_1218
; %bb.1217:
	global_load_ubyte v6, v[0:1], off
	s_movk_i32 s18, 0x7f00
	s_brev_b32 s19, 16
	s_waitcnt vmcnt(0)
	v_lshlrev_b16_e32 v7, 8, v6
	v_lshlrev_b32_e32 v6, 25, v6
	v_lshrrev_b32_e32 v8, 4, v6
	v_and_or_b32 v9, v7, s18, 0.5
	v_or_b32_e32 v8, 0x70000000, v8
	v_add_f32_e32 v9, -0.5, v9
	v_mul_f32_e32 v8, 0x7800000, v8
	v_cmp_gt_u32_e32 vcc, s19, v6
	v_bfe_i32 v7, v7, 0, 16
	v_cndmask_b32_e32 v6, v8, v9, vcc
	s_brev_b32 s18, 1
	v_and_or_b32 v6, v7, s18, v6
.LBB86_1218:
	s_mov_b64 s[18:19], 0
	s_mov_b64 s[20:21], -1
.LBB86_1219:
	s_andn2_b64 vcc, exec, s[18:19]
	s_mov_b64 s[18:19], 0
	s_cbranch_vccnz .LBB86_1230
; %bb.1220:
	v_cmp_lt_i16_e32 vcc, 14, v5
	s_cbranch_vccz .LBB86_1223
; %bb.1221:
	v_cmp_eq_u16_e32 vcc, 15, v5
	s_cbranch_vccz .LBB86_1226
; %bb.1222:
	global_load_ushort v6, v[0:1], off
	s_mov_b64 s[4:5], 0
	s_mov_b64 s[20:21], -1
	s_waitcnt vmcnt(0)
	v_lshlrev_b32_e32 v6, 16, v6
	s_branch .LBB86_1227
.LBB86_1223:
	s_mov_b64 s[22:23], -1
                                        ; implicit-def: $vgpr6
	s_branch .LBB86_1228
.LBB86_1224:
	s_or_saveexec_b64 s[20:21], s[20:21]
	v_mov_b32_e32 v6, s24
	s_xor_b64 exec, exec, s[20:21]
	s_cbranch_execz .LBB86_1205
.LBB86_1225:
	v_cmp_ne_u16_e32 vcc, 0, v7
	s_andn2_b64 s[18:19], s[18:19], exec
	s_and_b64 s[22:23], vcc, exec
	v_mov_b32_e32 v6, 0
	s_or_b64 s[18:19], s[18:19], s[22:23]
	s_or_b64 exec, exec, s[20:21]
	s_and_saveexec_b64 s[20:21], s[18:19]
	s_cbranch_execnz .LBB86_1206
	s_branch .LBB86_1207
.LBB86_1226:
	s_mov_b64 s[4:5], -1
                                        ; implicit-def: $vgpr6
.LBB86_1227:
	s_mov_b64 s[22:23], 0
.LBB86_1228:
	s_and_b64 vcc, exec, s[22:23]
	s_cbranch_vccz .LBB86_1230
; %bb.1229:
	v_cmp_ne_u16_e64 s[4:5], 11, v5
	s_mov_b64 s[18:19], -1
                                        ; implicit-def: $vgpr6
.LBB86_1230:
	s_and_b64 vcc, exec, s[4:5]
	s_cbranch_vccnz .LBB86_1293
; %bb.1231:
	s_andn2_b64 vcc, exec, s[18:19]
	s_cbranch_vccnz .LBB86_1233
.LBB86_1232:
	global_load_ubyte v6, v[0:1], off
	s_mov_b64 s[20:21], -1
	s_waitcnt vmcnt(0)
	v_cmp_ne_u16_e32 vcc, 0, v6
	v_cndmask_b32_e64 v6, 0, 1.0, vcc
.LBB86_1233:
	s_branch .LBB86_1160
.LBB86_1234:
	v_cmp_gt_i16_e32 vcc, 5, v5
	s_cbranch_vccnz .LBB86_1239
; %bb.1235:
	v_cmp_gt_i16_e32 vcc, 8, v5
	s_cbranch_vccnz .LBB86_1240
; %bb.1236:
	;; [unrolled: 3-line block ×3, first 2 shown]
	v_cmp_lt_i16_e32 vcc, 9, v5
	s_cbranch_vccz .LBB86_1242
; %bb.1238:
	global_load_dwordx2 v[6:7], v[0:1], off
	s_mov_b64 s[4:5], 0
	s_waitcnt vmcnt(0)
	v_cvt_f32_f64_e32 v6, v[6:7]
	s_branch .LBB86_1243
.LBB86_1239:
                                        ; implicit-def: $vgpr6
	s_branch .LBB86_1261
.LBB86_1240:
	s_mov_b64 s[4:5], -1
                                        ; implicit-def: $vgpr6
	s_branch .LBB86_1249
.LBB86_1241:
	s_mov_b64 s[4:5], -1
                                        ; implicit-def: $vgpr6
	s_branch .LBB86_1246
.LBB86_1242:
	s_mov_b64 s[4:5], -1
                                        ; implicit-def: $vgpr6
.LBB86_1243:
	s_andn2_b64 vcc, exec, s[4:5]
	s_cbranch_vccnz .LBB86_1245
; %bb.1244:
	global_load_dword v6, v[0:1], off
.LBB86_1245:
	s_mov_b64 s[4:5], 0
.LBB86_1246:
	s_andn2_b64 vcc, exec, s[4:5]
	s_cbranch_vccnz .LBB86_1248
; %bb.1247:
	global_load_dword v6, v[0:1], off
	s_waitcnt vmcnt(0)
	v_cvt_f32_f16_e32 v6, v6
.LBB86_1248:
	s_mov_b64 s[4:5], 0
.LBB86_1249:
	s_andn2_b64 vcc, exec, s[4:5]
	s_cbranch_vccnz .LBB86_1260
; %bb.1250:
	v_cmp_gt_i16_e32 vcc, 6, v5
	s_cbranch_vccnz .LBB86_1253
; %bb.1251:
	v_cmp_lt_i16_e32 vcc, 6, v5
	s_cbranch_vccz .LBB86_1254
; %bb.1252:
	global_load_dwordx2 v[6:7], v[0:1], off
	s_mov_b64 s[4:5], 0
	s_waitcnt vmcnt(0)
	v_cvt_f32_f64_e32 v6, v[6:7]
	s_branch .LBB86_1255
.LBB86_1253:
	s_mov_b64 s[4:5], -1
                                        ; implicit-def: $vgpr6
	s_branch .LBB86_1258
.LBB86_1254:
	s_mov_b64 s[4:5], -1
                                        ; implicit-def: $vgpr6
.LBB86_1255:
	s_andn2_b64 vcc, exec, s[4:5]
	s_cbranch_vccnz .LBB86_1257
; %bb.1256:
	global_load_dword v6, v[0:1], off
.LBB86_1257:
	s_mov_b64 s[4:5], 0
.LBB86_1258:
	s_andn2_b64 vcc, exec, s[4:5]
	s_cbranch_vccnz .LBB86_1260
; %bb.1259:
	global_load_ushort v6, v[0:1], off
	s_waitcnt vmcnt(0)
	v_cvt_f32_f16_e32 v6, v6
.LBB86_1260:
	s_cbranch_execnz .LBB86_1280
.LBB86_1261:
	v_cmp_gt_i16_e32 vcc, 2, v5
	s_cbranch_vccnz .LBB86_1265
; %bb.1262:
	v_cmp_gt_i16_e32 vcc, 3, v5
	s_cbranch_vccnz .LBB86_1266
; %bb.1263:
	v_cmp_lt_i16_e32 vcc, 3, v5
	s_cbranch_vccz .LBB86_1267
; %bb.1264:
	global_load_dwordx2 v[6:7], v[0:1], off
	s_mov_b64 s[4:5], 0
	s_waitcnt vmcnt(0)
	v_xor_b32_e32 v9, v6, v7
	v_ffbh_i32_e32 v8, v7
	v_ashrrev_i32_e32 v9, 31, v9
	v_add_u32_e32 v8, -1, v8
	v_add_u32_e32 v9, 32, v9
	v_min_u32_e32 v8, v8, v9
	v_lshlrev_b64 v[6:7], v8, v[6:7]
	v_min_u32_e32 v6, 1, v6
	v_or_b32_e32 v6, v7, v6
	v_cvt_f32_i32_e32 v6, v6
	v_sub_u32_e32 v7, 32, v8
	v_ldexp_f32 v6, v6, v7
	s_branch .LBB86_1268
.LBB86_1265:
	s_mov_b64 s[4:5], -1
                                        ; implicit-def: $vgpr6
	s_branch .LBB86_1274
.LBB86_1266:
	s_mov_b64 s[4:5], -1
                                        ; implicit-def: $vgpr6
	s_branch .LBB86_1271
.LBB86_1267:
	s_mov_b64 s[4:5], -1
                                        ; implicit-def: $vgpr6
.LBB86_1268:
	s_andn2_b64 vcc, exec, s[4:5]
	s_cbranch_vccnz .LBB86_1270
; %bb.1269:
	global_load_dword v6, v[0:1], off
	s_waitcnt vmcnt(0)
	v_cvt_f32_i32_e32 v6, v6
.LBB86_1270:
	s_mov_b64 s[4:5], 0
.LBB86_1271:
	s_andn2_b64 vcc, exec, s[4:5]
	s_cbranch_vccnz .LBB86_1273
; %bb.1272:
	global_load_sshort v6, v[0:1], off
	s_waitcnt vmcnt(0)
	v_cvt_f32_i32_e32 v6, v6
.LBB86_1273:
	s_mov_b64 s[4:5], 0
.LBB86_1274:
	s_andn2_b64 vcc, exec, s[4:5]
	s_cbranch_vccnz .LBB86_1280
; %bb.1275:
	v_cmp_lt_i16_e32 vcc, 0, v5
	s_cbranch_vccz .LBB86_1277
; %bb.1276:
	global_load_sbyte v6, v[0:1], off
	s_mov_b64 s[4:5], 0
	s_waitcnt vmcnt(0)
	v_cvt_f32_i32_e32 v6, v6
	s_branch .LBB86_1278
.LBB86_1277:
	s_mov_b64 s[4:5], -1
                                        ; implicit-def: $vgpr6
.LBB86_1278:
	s_andn2_b64 vcc, exec, s[4:5]
	s_cbranch_vccnz .LBB86_1280
; %bb.1279:
	global_load_ubyte v0, v[0:1], off
	s_waitcnt vmcnt(0)
	v_cvt_f32_ubyte0_e32 v6, v0
.LBB86_1280:
.LBB86_1281:
	v_add_u32_e32 v2, s13, v2
	v_ashrrev_i32_e32 v1, 31, v2
	v_mov_b32_e32 v7, s11
	v_add_co_u32_e32 v0, vcc, s10, v2
	v_addc_co_u32_e32 v1, vcc, v7, v1, vcc
	s_and_b64 vcc, exec, s[0:1]
	s_cbranch_vccnz .LBB86_1288
; %bb.1282:
	v_cmp_lt_i16_e32 vcc, 25, v5
	s_mov_b64 s[18:19], 0
	s_cbranch_vccz .LBB86_1290
; %bb.1283:
	v_cmp_lt_i16_e32 vcc, 28, v5
	s_cbranch_vccz .LBB86_1291
; %bb.1284:
	v_cmp_lt_i16_e32 vcc, 43, v5
	;; [unrolled: 3-line block ×3, first 2 shown]
	s_cbranch_vccz .LBB86_1294
; %bb.1286:
	v_cmp_eq_u16_e32 vcc, 46, v5
	s_mov_b64 s[22:23], 0
	s_cbranch_vccz .LBB86_1295
; %bb.1287:
	global_load_dword v7, v[0:1], off
	s_mov_b64 s[4:5], 0
	s_mov_b64 s[20:21], -1
	s_waitcnt vmcnt(0)
	v_lshlrev_b32_e32 v7, 16, v7
	s_branch .LBB86_1296
.LBB86_1288:
	s_mov_b64 s[20:21], 0
                                        ; implicit-def: $vgpr7
	s_cbranch_execnz .LBB86_1362
.LBB86_1289:
	s_andn2_b64 vcc, exec, s[20:21]
	s_cbranch_vccnz .LBB86_1993
	s_branch .LBB86_1410
.LBB86_1290:
	s_mov_b64 s[22:23], -1
	s_mov_b64 s[20:21], 0
	s_mov_b64 s[4:5], 0
                                        ; implicit-def: $vgpr7
	s_branch .LBB86_1325
.LBB86_1291:
	s_mov_b64 s[22:23], -1
	s_mov_b64 s[20:21], 0
	s_mov_b64 s[4:5], 0
                                        ; implicit-def: $vgpr7
	s_branch .LBB86_1306
.LBB86_1292:
	s_mov_b64 s[22:23], -1
	s_mov_b64 s[20:21], 0
	s_mov_b64 s[4:5], 0
                                        ; implicit-def: $vgpr7
	s_branch .LBB86_1301
.LBB86_1293:
	s_trap 2
	s_or_b64 s[16:17], s[16:17], exec
                                        ; implicit-def: $vgpr6
	s_cbranch_execz .LBB86_1232
	s_branch .LBB86_1233
.LBB86_1294:
	s_mov_b64 s[22:23], -1
	s_mov_b64 s[20:21], 0
	s_mov_b64 s[4:5], 0
                                        ; implicit-def: $vgpr7
	s_branch .LBB86_1296
.LBB86_1295:
	s_mov_b64 s[4:5], -1
                                        ; implicit-def: $vgpr7
	s_mov_b64 s[20:21], 0
.LBB86_1296:
	s_and_b64 vcc, exec, s[22:23]
	s_cbranch_vccz .LBB86_1300
; %bb.1297:
	v_cmp_eq_u16_e32 vcc, 44, v5
	s_cbranch_vccz .LBB86_1299
; %bb.1298:
	global_load_ubyte v7, v[0:1], off
	s_movk_i32 s20, 0xff
	v_mov_b32_e32 v8, 0x7f800001
	v_mov_b32_e32 v9, 0x400000
	s_mov_b64 s[4:5], 0
	s_waitcnt vmcnt(0)
	v_lshlrev_b32_e32 v10, 23, v7
	v_cmp_ne_u32_e32 vcc, s20, v7
	v_cndmask_b32_e32 v8, v8, v10, vcc
	v_cmp_ne_u32_e32 vcc, 0, v7
	v_cndmask_b32_e32 v7, v9, v8, vcc
	s_mov_b64 s[20:21], -1
	s_branch .LBB86_1300
.LBB86_1299:
	s_mov_b64 s[4:5], -1
                                        ; implicit-def: $vgpr7
.LBB86_1300:
	s_mov_b64 s[22:23], 0
.LBB86_1301:
	s_and_b64 vcc, exec, s[22:23]
	s_cbranch_vccz .LBB86_1305
; %bb.1302:
	v_cmp_eq_u16_e32 vcc, 29, v5
	s_cbranch_vccz .LBB86_1304
; %bb.1303:
	global_load_dwordx2 v[8:9], v[0:1], off
	s_mov_b64 s[4:5], 0
	s_mov_b64 s[20:21], -1
	s_mov_b64 s[22:23], 0
	s_waitcnt vmcnt(0)
	v_ffbh_u32_e32 v7, v9
	v_min_u32_e32 v7, 32, v7
	v_lshlrev_b64 v[8:9], v7, v[8:9]
	v_min_u32_e32 v8, 1, v8
	v_or_b32_e32 v8, v9, v8
	v_cvt_f32_u32_e32 v8, v8
	v_sub_u32_e32 v7, 32, v7
	v_ldexp_f32 v7, v8, v7
	s_branch .LBB86_1306
.LBB86_1304:
	s_mov_b64 s[4:5], -1
                                        ; implicit-def: $vgpr7
.LBB86_1305:
	s_mov_b64 s[22:23], 0
.LBB86_1306:
	s_and_b64 vcc, exec, s[22:23]
	s_cbranch_vccz .LBB86_1324
; %bb.1307:
	v_cmp_gt_i16_e32 vcc, 27, v5
	s_cbranch_vccnz .LBB86_1310
; %bb.1308:
	v_cmp_lt_i16_e32 vcc, 27, v5
	s_cbranch_vccz .LBB86_1311
; %bb.1309:
	global_load_dword v7, v[0:1], off
	s_mov_b64 s[20:21], 0
	s_waitcnt vmcnt(0)
	v_cvt_f32_u32_e32 v7, v7
	s_branch .LBB86_1312
.LBB86_1310:
	s_mov_b64 s[20:21], -1
                                        ; implicit-def: $vgpr7
	s_branch .LBB86_1315
.LBB86_1311:
	s_mov_b64 s[20:21], -1
                                        ; implicit-def: $vgpr7
.LBB86_1312:
	s_andn2_b64 vcc, exec, s[20:21]
	s_cbranch_vccnz .LBB86_1314
; %bb.1313:
	global_load_ushort v7, v[0:1], off
	s_waitcnt vmcnt(0)
	v_cvt_f32_u32_e32 v7, v7
.LBB86_1314:
	s_mov_b64 s[20:21], 0
.LBB86_1315:
	s_andn2_b64 vcc, exec, s[20:21]
	s_cbranch_vccnz .LBB86_1323
; %bb.1316:
	global_load_ubyte v8, v[0:1], off
	s_movk_i32 s20, 0x7f
                                        ; implicit-def: $sgpr26
	s_waitcnt vmcnt(0)
	v_cmp_lt_i16_e32 vcc, s20, v8
	s_mov_b64 s[20:21], 0
	s_and_saveexec_b64 s[22:23], vcc
	s_xor_b64 s[22:23], exec, s[22:23]
	s_cbranch_execz .LBB86_1337
; %bb.1317:
	s_movk_i32 s20, 0x80
	v_cmp_eq_u16_e32 vcc, s20, v8
	s_mov_b64 s[20:21], -1
                                        ; implicit-def: $sgpr26
	s_and_saveexec_b64 s[24:25], vcc
; %bb.1318:
	s_mov_b32 s26, 0x7f800001
	s_xor_b64 s[20:21], exec, -1
; %bb.1319:
	s_or_b64 exec, exec, s[24:25]
	s_and_b64 s[20:21], s[20:21], exec
	s_or_saveexec_b64 s[22:23], s[22:23]
	v_mov_b32_e32 v7, s26
	s_xor_b64 exec, exec, s[22:23]
	s_cbranch_execnz .LBB86_1338
.LBB86_1320:
	s_or_b64 exec, exec, s[22:23]
	s_and_saveexec_b64 s[22:23], s[20:21]
	s_cbranch_execz .LBB86_1322
.LBB86_1321:
	v_lshlrev_b32_e32 v7, 24, v8
	v_and_b32_e32 v8, 0xffff, v8
	v_and_b32_e32 v9, 7, v8
	v_ffbh_u32_e32 v11, v9
	v_min_u32_e32 v11, 32, v11
	v_subrev_u32_e32 v12, 28, v11
	v_bfe_u32 v10, v8, 3, 4
	v_lshlrev_b32_e32 v8, v12, v8
	v_sub_u32_e32 v11, 29, v11
	v_and_b32_e32 v8, 7, v8
	v_cmp_eq_u32_e32 vcc, 0, v10
	v_cndmask_b32_e32 v10, v10, v11, vcc
	v_cndmask_b32_e32 v8, v9, v8, vcc
	v_mov_b32_e32 v9, 0x3b800000
	v_lshlrev_b32_e32 v8, 20, v8
	v_and_b32_e32 v7, 0x80000000, v7
	v_lshl_add_u32 v9, v10, 23, v9
	v_or3_b32 v7, v7, v9, v8
.LBB86_1322:
	s_or_b64 exec, exec, s[22:23]
.LBB86_1323:
	s_mov_b64 s[20:21], -1
.LBB86_1324:
	s_mov_b64 s[22:23], 0
.LBB86_1325:
	s_and_b64 vcc, exec, s[22:23]
	s_cbranch_vccz .LBB86_1358
; %bb.1326:
	v_cmp_lt_i16_e32 vcc, 22, v5
	s_cbranch_vccz .LBB86_1336
; %bb.1327:
	v_cmp_gt_i16_e32 vcc, 24, v5
	s_cbranch_vccnz .LBB86_1339
; %bb.1328:
	v_cmp_lt_i16_e32 vcc, 24, v5
	s_cbranch_vccz .LBB86_1340
; %bb.1329:
	global_load_ubyte v8, v[0:1], off
	s_movk_i32 s18, 0x7f
                                        ; implicit-def: $sgpr24
	s_waitcnt vmcnt(0)
	v_cmp_lt_i16_e32 vcc, s18, v8
	s_mov_b64 s[18:19], 0
	s_and_saveexec_b64 s[20:21], vcc
	s_xor_b64 s[20:21], exec, s[20:21]
	s_cbranch_execz .LBB86_1352
; %bb.1330:
	s_movk_i32 s18, 0x80
	v_cmp_eq_u16_e32 vcc, s18, v8
	s_mov_b64 s[18:19], -1
                                        ; implicit-def: $sgpr24
	s_and_saveexec_b64 s[22:23], vcc
; %bb.1331:
	s_mov_b32 s24, 0x7f800001
	s_xor_b64 s[18:19], exec, -1
; %bb.1332:
	s_or_b64 exec, exec, s[22:23]
	s_and_b64 s[18:19], s[18:19], exec
	s_or_saveexec_b64 s[20:21], s[20:21]
	v_mov_b32_e32 v7, s24
	s_xor_b64 exec, exec, s[20:21]
	s_cbranch_execnz .LBB86_1353
.LBB86_1333:
	s_or_b64 exec, exec, s[20:21]
	s_and_saveexec_b64 s[20:21], s[18:19]
	s_cbranch_execz .LBB86_1335
.LBB86_1334:
	v_lshlrev_b32_e32 v7, 24, v8
	v_and_b32_e32 v8, 0xffff, v8
	v_and_b32_e32 v9, 3, v8
	v_ffbh_u32_e32 v11, v9
	v_min_u32_e32 v11, 32, v11
	v_subrev_u32_e32 v12, 29, v11
	v_bfe_u32 v10, v8, 2, 5
	v_lshlrev_b32_e32 v8, v12, v8
	v_sub_u32_e32 v11, 30, v11
	v_and_b32_e32 v8, 3, v8
	v_cmp_eq_u32_e32 vcc, 0, v10
	v_cndmask_b32_e32 v10, v10, v11, vcc
	v_cndmask_b32_e32 v8, v9, v8, vcc
	v_mov_b32_e32 v9, 0x37800000
	v_lshlrev_b32_e32 v8, 21, v8
	v_and_b32_e32 v7, 0x80000000, v7
	v_lshl_add_u32 v9, v10, 23, v9
	v_or3_b32 v7, v7, v9, v8
.LBB86_1335:
	s_or_b64 exec, exec, s[20:21]
	s_mov_b64 s[18:19], 0
	s_branch .LBB86_1341
.LBB86_1336:
	s_mov_b64 s[18:19], -1
                                        ; implicit-def: $vgpr7
	s_branch .LBB86_1347
.LBB86_1337:
	s_or_saveexec_b64 s[22:23], s[22:23]
	v_mov_b32_e32 v7, s26
	s_xor_b64 exec, exec, s[22:23]
	s_cbranch_execz .LBB86_1320
.LBB86_1338:
	v_cmp_ne_u16_e32 vcc, 0, v8
	s_andn2_b64 s[20:21], s[20:21], exec
	s_and_b64 s[24:25], vcc, exec
	v_mov_b32_e32 v7, 0
	s_or_b64 s[20:21], s[20:21], s[24:25]
	s_or_b64 exec, exec, s[22:23]
	s_and_saveexec_b64 s[22:23], s[20:21]
	s_cbranch_execnz .LBB86_1321
	s_branch .LBB86_1322
.LBB86_1339:
	s_mov_b64 s[18:19], -1
                                        ; implicit-def: $vgpr7
	s_branch .LBB86_1344
.LBB86_1340:
	s_mov_b64 s[18:19], -1
                                        ; implicit-def: $vgpr7
.LBB86_1341:
	s_and_b64 vcc, exec, s[18:19]
	s_cbranch_vccz .LBB86_1343
; %bb.1342:
	global_load_ubyte v7, v[0:1], off
	s_mov_b32 s18, 0x7f800000
	s_waitcnt vmcnt(0)
	v_lshlrev_b32_e32 v7, 24, v7
	v_and_b32_e32 v8, 0x7f000000, v7
	v_ffbh_u32_e32 v9, v8
	v_min_u32_e32 v9, 32, v9
	v_sub_u32_e64 v9, v9, 4 clamp
	v_lshlrev_b32_e32 v11, v9, v8
	v_lshlrev_b32_e32 v9, 23, v9
	v_lshrrev_b32_e32 v11, 4, v11
	v_add_u32_e32 v10, 0x1000000, v8
	v_sub_u32_e32 v9, v11, v9
	v_ashrrev_i32_e32 v10, 8, v10
	v_add_u32_e32 v9, 0x3c000000, v9
	v_and_or_b32 v9, v10, s18, v9
	v_cmp_ne_u32_e32 vcc, 0, v8
	v_cndmask_b32_e32 v8, 0, v9, vcc
	s_brev_b32 s18, 1
	v_and_or_b32 v7, v7, s18, v8
.LBB86_1343:
	s_mov_b64 s[18:19], 0
.LBB86_1344:
	s_andn2_b64 vcc, exec, s[18:19]
	s_cbranch_vccnz .LBB86_1346
; %bb.1345:
	global_load_ubyte v7, v[0:1], off
	s_movk_i32 s18, 0x7f00
	s_brev_b32 s19, 16
	s_waitcnt vmcnt(0)
	v_lshlrev_b16_e32 v8, 8, v7
	v_lshlrev_b32_e32 v7, 25, v7
	v_lshrrev_b32_e32 v9, 4, v7
	v_and_or_b32 v10, v8, s18, 0.5
	v_or_b32_e32 v9, 0x70000000, v9
	v_add_f32_e32 v10, -0.5, v10
	v_mul_f32_e32 v9, 0x7800000, v9
	v_cmp_gt_u32_e32 vcc, s19, v7
	v_bfe_i32 v8, v8, 0, 16
	v_cndmask_b32_e32 v7, v9, v10, vcc
	s_brev_b32 s18, 1
	v_and_or_b32 v7, v8, s18, v7
.LBB86_1346:
	s_mov_b64 s[18:19], 0
	s_mov_b64 s[20:21], -1
.LBB86_1347:
	s_andn2_b64 vcc, exec, s[18:19]
	s_mov_b64 s[18:19], 0
	s_cbranch_vccnz .LBB86_1358
; %bb.1348:
	v_cmp_lt_i16_e32 vcc, 14, v5
	s_cbranch_vccz .LBB86_1351
; %bb.1349:
	v_cmp_eq_u16_e32 vcc, 15, v5
	s_cbranch_vccz .LBB86_1354
; %bb.1350:
	global_load_ushort v7, v[0:1], off
	s_mov_b64 s[4:5], 0
	s_mov_b64 s[20:21], -1
	s_waitcnt vmcnt(0)
	v_lshlrev_b32_e32 v7, 16, v7
	s_branch .LBB86_1355
.LBB86_1351:
	s_mov_b64 s[22:23], -1
                                        ; implicit-def: $vgpr7
	s_branch .LBB86_1356
.LBB86_1352:
	s_or_saveexec_b64 s[20:21], s[20:21]
	v_mov_b32_e32 v7, s24
	s_xor_b64 exec, exec, s[20:21]
	s_cbranch_execz .LBB86_1333
.LBB86_1353:
	v_cmp_ne_u16_e32 vcc, 0, v8
	s_andn2_b64 s[18:19], s[18:19], exec
	s_and_b64 s[22:23], vcc, exec
	v_mov_b32_e32 v7, 0
	s_or_b64 s[18:19], s[18:19], s[22:23]
	s_or_b64 exec, exec, s[20:21]
	s_and_saveexec_b64 s[20:21], s[18:19]
	s_cbranch_execnz .LBB86_1334
	s_branch .LBB86_1335
.LBB86_1354:
	s_mov_b64 s[4:5], -1
                                        ; implicit-def: $vgpr7
.LBB86_1355:
	s_mov_b64 s[22:23], 0
.LBB86_1356:
	s_and_b64 vcc, exec, s[22:23]
	s_cbranch_vccz .LBB86_1358
; %bb.1357:
	v_cmp_ne_u16_e64 s[4:5], 11, v5
	s_mov_b64 s[18:19], -1
                                        ; implicit-def: $vgpr7
.LBB86_1358:
	s_and_b64 vcc, exec, s[4:5]
	s_cbranch_vccnz .LBB86_1421
; %bb.1359:
	s_andn2_b64 vcc, exec, s[18:19]
	s_cbranch_vccnz .LBB86_1361
.LBB86_1360:
	global_load_ubyte v7, v[0:1], off
	s_mov_b64 s[20:21], -1
	s_waitcnt vmcnt(0)
	v_cmp_ne_u16_e32 vcc, 0, v7
	v_cndmask_b32_e64 v7, 0, 1.0, vcc
.LBB86_1361:
	s_branch .LBB86_1289
.LBB86_1362:
	v_cmp_gt_i16_e32 vcc, 5, v5
	s_cbranch_vccnz .LBB86_1367
; %bb.1363:
	v_cmp_gt_i16_e32 vcc, 8, v5
	s_cbranch_vccnz .LBB86_1368
; %bb.1364:
	;; [unrolled: 3-line block ×3, first 2 shown]
	v_cmp_lt_i16_e32 vcc, 9, v5
	s_cbranch_vccz .LBB86_1370
; %bb.1366:
	global_load_dwordx2 v[8:9], v[0:1], off
	s_mov_b64 s[4:5], 0
	s_waitcnt vmcnt(0)
	v_cvt_f32_f64_e32 v7, v[8:9]
	s_branch .LBB86_1371
.LBB86_1367:
	s_mov_b64 s[4:5], -1
                                        ; implicit-def: $vgpr7
	s_branch .LBB86_1389
.LBB86_1368:
	s_mov_b64 s[4:5], -1
                                        ; implicit-def: $vgpr7
	s_branch .LBB86_1377
.LBB86_1369:
	s_mov_b64 s[4:5], -1
                                        ; implicit-def: $vgpr7
	s_branch .LBB86_1374
.LBB86_1370:
	s_mov_b64 s[4:5], -1
                                        ; implicit-def: $vgpr7
.LBB86_1371:
	s_andn2_b64 vcc, exec, s[4:5]
	s_cbranch_vccnz .LBB86_1373
; %bb.1372:
	global_load_dword v7, v[0:1], off
.LBB86_1373:
	s_mov_b64 s[4:5], 0
.LBB86_1374:
	s_andn2_b64 vcc, exec, s[4:5]
	s_cbranch_vccnz .LBB86_1376
; %bb.1375:
	global_load_dword v7, v[0:1], off
	s_waitcnt vmcnt(0)
	v_cvt_f32_f16_e32 v7, v7
.LBB86_1376:
	s_mov_b64 s[4:5], 0
.LBB86_1377:
	s_andn2_b64 vcc, exec, s[4:5]
	s_cbranch_vccnz .LBB86_1388
; %bb.1378:
	v_cmp_gt_i16_e32 vcc, 6, v5
	s_cbranch_vccnz .LBB86_1381
; %bb.1379:
	v_cmp_lt_i16_e32 vcc, 6, v5
	s_cbranch_vccz .LBB86_1382
; %bb.1380:
	global_load_dwordx2 v[8:9], v[0:1], off
	s_mov_b64 s[4:5], 0
	s_waitcnt vmcnt(0)
	v_cvt_f32_f64_e32 v7, v[8:9]
	s_branch .LBB86_1383
.LBB86_1381:
	s_mov_b64 s[4:5], -1
                                        ; implicit-def: $vgpr7
	s_branch .LBB86_1386
.LBB86_1382:
	s_mov_b64 s[4:5], -1
                                        ; implicit-def: $vgpr7
.LBB86_1383:
	s_andn2_b64 vcc, exec, s[4:5]
	s_cbranch_vccnz .LBB86_1385
; %bb.1384:
	global_load_dword v7, v[0:1], off
.LBB86_1385:
	s_mov_b64 s[4:5], 0
.LBB86_1386:
	s_andn2_b64 vcc, exec, s[4:5]
	s_cbranch_vccnz .LBB86_1388
; %bb.1387:
	global_load_ushort v7, v[0:1], off
	s_waitcnt vmcnt(0)
	v_cvt_f32_f16_e32 v7, v7
.LBB86_1388:
	s_mov_b64 s[4:5], 0
.LBB86_1389:
	s_andn2_b64 vcc, exec, s[4:5]
	s_cbranch_vccnz .LBB86_1409
; %bb.1390:
	v_cmp_gt_i16_e32 vcc, 2, v5
	s_cbranch_vccnz .LBB86_1394
; %bb.1391:
	v_cmp_gt_i16_e32 vcc, 3, v5
	s_cbranch_vccnz .LBB86_1395
; %bb.1392:
	v_cmp_lt_i16_e32 vcc, 3, v5
	s_cbranch_vccz .LBB86_1396
; %bb.1393:
	global_load_dwordx2 v[8:9], v[0:1], off
	s_mov_b64 s[4:5], 0
	s_waitcnt vmcnt(0)
	v_xor_b32_e32 v10, v8, v9
	v_ffbh_i32_e32 v7, v9
	v_ashrrev_i32_e32 v10, 31, v10
	v_add_u32_e32 v7, -1, v7
	v_add_u32_e32 v10, 32, v10
	v_min_u32_e32 v7, v7, v10
	v_lshlrev_b64 v[8:9], v7, v[8:9]
	v_min_u32_e32 v8, 1, v8
	v_or_b32_e32 v8, v9, v8
	v_cvt_f32_i32_e32 v8, v8
	v_sub_u32_e32 v7, 32, v7
	v_ldexp_f32 v7, v8, v7
	s_branch .LBB86_1397
.LBB86_1394:
	s_mov_b64 s[4:5], -1
                                        ; implicit-def: $vgpr7
	s_branch .LBB86_1403
.LBB86_1395:
	s_mov_b64 s[4:5], -1
                                        ; implicit-def: $vgpr7
	s_branch .LBB86_1400
.LBB86_1396:
	s_mov_b64 s[4:5], -1
                                        ; implicit-def: $vgpr7
.LBB86_1397:
	s_andn2_b64 vcc, exec, s[4:5]
	s_cbranch_vccnz .LBB86_1399
; %bb.1398:
	global_load_dword v7, v[0:1], off
	s_waitcnt vmcnt(0)
	v_cvt_f32_i32_e32 v7, v7
.LBB86_1399:
	s_mov_b64 s[4:5], 0
.LBB86_1400:
	s_andn2_b64 vcc, exec, s[4:5]
	s_cbranch_vccnz .LBB86_1402
; %bb.1401:
	global_load_sshort v7, v[0:1], off
	s_waitcnt vmcnt(0)
	v_cvt_f32_i32_e32 v7, v7
.LBB86_1402:
	s_mov_b64 s[4:5], 0
.LBB86_1403:
	s_andn2_b64 vcc, exec, s[4:5]
	s_cbranch_vccnz .LBB86_1409
; %bb.1404:
	v_cmp_lt_i16_e32 vcc, 0, v5
	s_cbranch_vccz .LBB86_1406
; %bb.1405:
	global_load_sbyte v7, v[0:1], off
	s_mov_b64 s[4:5], 0
	s_waitcnt vmcnt(0)
	v_cvt_f32_i32_e32 v7, v7
	s_branch .LBB86_1407
.LBB86_1406:
	s_mov_b64 s[4:5], -1
                                        ; implicit-def: $vgpr7
.LBB86_1407:
	s_andn2_b64 vcc, exec, s[4:5]
	s_cbranch_vccnz .LBB86_1409
; %bb.1408:
	global_load_ubyte v0, v[0:1], off
	s_waitcnt vmcnt(0)
	v_cvt_f32_ubyte0_e32 v7, v0
.LBB86_1409:
.LBB86_1410:
	v_add_u32_e32 v0, s13, v2
	v_ashrrev_i32_e32 v1, 31, v0
	v_mov_b32_e32 v2, s11
	v_add_co_u32_e32 v0, vcc, s10, v0
	v_addc_co_u32_e32 v1, vcc, v2, v1, vcc
	s_and_b64 vcc, exec, s[0:1]
	s_cbranch_vccnz .LBB86_1417
; %bb.1411:
	v_cmp_lt_i16_e32 vcc, 25, v5
	s_mov_b64 s[4:5], 0
	s_cbranch_vccz .LBB86_1418
; %bb.1412:
	v_cmp_lt_i16_e32 vcc, 28, v5
	s_cbranch_vccz .LBB86_1419
; %bb.1413:
	v_cmp_lt_i16_e32 vcc, 43, v5
	;; [unrolled: 3-line block ×3, first 2 shown]
	s_cbranch_vccz .LBB86_1422
; %bb.1415:
	v_cmp_eq_u16_e32 vcc, 46, v5
	s_mov_b64 s[18:19], 0
	s_cbranch_vccz .LBB86_1423
; %bb.1416:
	global_load_dword v2, v[0:1], off
	s_mov_b64 s[0:1], 0
	s_mov_b64 s[10:11], -1
	s_waitcnt vmcnt(0)
	v_lshlrev_b32_e32 v8, 16, v2
	s_branch .LBB86_1424
.LBB86_1417:
	s_mov_b64 s[0:1], -1
	s_mov_b64 s[10:11], 0
                                        ; implicit-def: $vgpr8
	s_branch .LBB86_1490
.LBB86_1418:
	s_mov_b64 s[18:19], -1
	s_mov_b64 s[10:11], 0
	s_mov_b64 s[0:1], 0
                                        ; implicit-def: $vgpr8
	s_branch .LBB86_1453
.LBB86_1419:
	s_mov_b64 s[18:19], -1
	s_mov_b64 s[10:11], 0
	s_mov_b64 s[0:1], 0
                                        ; implicit-def: $vgpr8
	s_branch .LBB86_1434
.LBB86_1420:
	s_mov_b64 s[18:19], -1
	s_mov_b64 s[10:11], 0
	s_mov_b64 s[0:1], 0
                                        ; implicit-def: $vgpr8
	s_branch .LBB86_1429
.LBB86_1421:
	s_trap 2
	s_or_b64 s[16:17], s[16:17], exec
                                        ; implicit-def: $vgpr7
	s_cbranch_execz .LBB86_1360
	s_branch .LBB86_1361
.LBB86_1422:
	s_mov_b64 s[18:19], -1
	s_mov_b64 s[10:11], 0
	s_mov_b64 s[0:1], 0
                                        ; implicit-def: $vgpr8
	s_branch .LBB86_1424
.LBB86_1423:
	s_mov_b64 s[0:1], -1
                                        ; implicit-def: $vgpr8
	s_mov_b64 s[10:11], 0
.LBB86_1424:
	s_and_b64 vcc, exec, s[18:19]
	s_cbranch_vccz .LBB86_1428
; %bb.1425:
	v_cmp_eq_u16_e32 vcc, 44, v5
	s_cbranch_vccz .LBB86_1427
; %bb.1426:
	global_load_ubyte v2, v[0:1], off
	s_movk_i32 s10, 0xff
	v_mov_b32_e32 v8, 0x7f800001
	v_mov_b32_e32 v9, 0x400000
	s_mov_b64 s[0:1], 0
	s_waitcnt vmcnt(0)
	v_lshlrev_b32_e32 v10, 23, v2
	v_cmp_ne_u32_e32 vcc, s10, v2
	v_cndmask_b32_e32 v8, v8, v10, vcc
	v_cmp_ne_u32_e32 vcc, 0, v2
	v_cndmask_b32_e32 v8, v9, v8, vcc
	s_mov_b64 s[10:11], -1
	s_branch .LBB86_1428
.LBB86_1427:
	s_mov_b64 s[0:1], -1
                                        ; implicit-def: $vgpr8
.LBB86_1428:
	s_mov_b64 s[18:19], 0
.LBB86_1429:
	s_and_b64 vcc, exec, s[18:19]
	s_cbranch_vccz .LBB86_1433
; %bb.1430:
	v_cmp_eq_u16_e32 vcc, 29, v5
	s_cbranch_vccz .LBB86_1432
; %bb.1431:
	global_load_dwordx2 v[8:9], v[0:1], off
	s_mov_b64 s[0:1], 0
	s_mov_b64 s[10:11], -1
	s_mov_b64 s[18:19], 0
	s_waitcnt vmcnt(0)
	v_ffbh_u32_e32 v2, v9
	v_min_u32_e32 v2, 32, v2
	v_lshlrev_b64 v[8:9], v2, v[8:9]
	v_min_u32_e32 v8, 1, v8
	v_or_b32_e32 v8, v9, v8
	v_cvt_f32_u32_e32 v8, v8
	v_sub_u32_e32 v2, 32, v2
	v_ldexp_f32 v8, v8, v2
	s_branch .LBB86_1434
.LBB86_1432:
	s_mov_b64 s[0:1], -1
                                        ; implicit-def: $vgpr8
.LBB86_1433:
	s_mov_b64 s[18:19], 0
.LBB86_1434:
	s_and_b64 vcc, exec, s[18:19]
	s_cbranch_vccz .LBB86_1452
; %bb.1435:
	v_cmp_gt_i16_e32 vcc, 27, v5
	s_cbranch_vccnz .LBB86_1438
; %bb.1436:
	v_cmp_lt_i16_e32 vcc, 27, v5
	s_cbranch_vccz .LBB86_1439
; %bb.1437:
	global_load_dword v2, v[0:1], off
	s_mov_b64 s[10:11], 0
	s_waitcnt vmcnt(0)
	v_cvt_f32_u32_e32 v8, v2
	s_branch .LBB86_1440
.LBB86_1438:
	s_mov_b64 s[10:11], -1
                                        ; implicit-def: $vgpr8
	s_branch .LBB86_1443
.LBB86_1439:
	s_mov_b64 s[10:11], -1
                                        ; implicit-def: $vgpr8
.LBB86_1440:
	s_andn2_b64 vcc, exec, s[10:11]
	s_cbranch_vccnz .LBB86_1442
; %bb.1441:
	global_load_ushort v2, v[0:1], off
	s_waitcnt vmcnt(0)
	v_cvt_f32_u32_e32 v8, v2
.LBB86_1442:
	s_mov_b64 s[10:11], 0
.LBB86_1443:
	s_andn2_b64 vcc, exec, s[10:11]
	s_cbranch_vccnz .LBB86_1451
; %bb.1444:
	global_load_ubyte v2, v[0:1], off
	s_movk_i32 s10, 0x7f
                                        ; implicit-def: $sgpr13
	s_waitcnt vmcnt(0)
	v_cmp_lt_i16_e32 vcc, s10, v2
	s_mov_b64 s[10:11], 0
	s_and_saveexec_b64 s[18:19], vcc
	s_xor_b64 s[18:19], exec, s[18:19]
	s_cbranch_execz .LBB86_1465
; %bb.1445:
	s_movk_i32 s10, 0x80
	v_cmp_eq_u16_e32 vcc, s10, v2
	s_mov_b64 s[10:11], -1
                                        ; implicit-def: $sgpr13
	s_and_saveexec_b64 s[20:21], vcc
; %bb.1446:
	s_mov_b32 s13, 0x7f800001
	s_xor_b64 s[10:11], exec, -1
; %bb.1447:
	s_or_b64 exec, exec, s[20:21]
	s_and_b64 s[10:11], s[10:11], exec
	s_or_saveexec_b64 s[18:19], s[18:19]
	v_mov_b32_e32 v8, s13
	s_xor_b64 exec, exec, s[18:19]
	s_cbranch_execnz .LBB86_1466
.LBB86_1448:
	s_or_b64 exec, exec, s[18:19]
	s_and_saveexec_b64 s[18:19], s[10:11]
	s_cbranch_execz .LBB86_1450
.LBB86_1449:
	v_lshlrev_b32_e32 v8, 24, v2
	v_and_b32_e32 v2, 0xffff, v2
	v_and_b32_e32 v9, 7, v2
	v_ffbh_u32_e32 v11, v9
	v_min_u32_e32 v11, 32, v11
	v_subrev_u32_e32 v12, 28, v11
	v_bfe_u32 v10, v2, 3, 4
	v_lshlrev_b32_e32 v2, v12, v2
	v_sub_u32_e32 v11, 29, v11
	v_and_b32_e32 v2, 7, v2
	v_cmp_eq_u32_e32 vcc, 0, v10
	v_cndmask_b32_e32 v10, v10, v11, vcc
	v_cndmask_b32_e32 v2, v9, v2, vcc
	v_mov_b32_e32 v9, 0x3b800000
	v_lshlrev_b32_e32 v2, 20, v2
	v_and_b32_e32 v8, 0x80000000, v8
	v_lshl_add_u32 v9, v10, 23, v9
	v_or3_b32 v8, v8, v9, v2
.LBB86_1450:
	s_or_b64 exec, exec, s[18:19]
.LBB86_1451:
	s_mov_b64 s[10:11], -1
.LBB86_1452:
	s_mov_b64 s[18:19], 0
.LBB86_1453:
	s_and_b64 vcc, exec, s[18:19]
	s_cbranch_vccz .LBB86_1486
; %bb.1454:
	v_cmp_lt_i16_e32 vcc, 22, v5
	s_cbranch_vccz .LBB86_1464
; %bb.1455:
	v_cmp_gt_i16_e32 vcc, 24, v5
	s_cbranch_vccnz .LBB86_1467
; %bb.1456:
	v_cmp_lt_i16_e32 vcc, 24, v5
	s_cbranch_vccz .LBB86_1468
; %bb.1457:
	global_load_ubyte v2, v[0:1], off
	s_movk_i32 s4, 0x7f
                                        ; implicit-def: $sgpr13
	s_waitcnt vmcnt(0)
	v_cmp_lt_i16_e32 vcc, s4, v2
	s_mov_b64 s[4:5], 0
	s_and_saveexec_b64 s[10:11], vcc
	s_xor_b64 s[10:11], exec, s[10:11]
	s_cbranch_execz .LBB86_1480
; %bb.1458:
	s_movk_i32 s4, 0x80
	v_cmp_eq_u16_e32 vcc, s4, v2
	s_mov_b64 s[4:5], -1
                                        ; implicit-def: $sgpr13
	s_and_saveexec_b64 s[18:19], vcc
; %bb.1459:
	s_mov_b32 s13, 0x7f800001
	s_xor_b64 s[4:5], exec, -1
; %bb.1460:
	s_or_b64 exec, exec, s[18:19]
	s_and_b64 s[4:5], s[4:5], exec
	s_or_saveexec_b64 s[10:11], s[10:11]
	v_mov_b32_e32 v8, s13
	s_xor_b64 exec, exec, s[10:11]
	s_cbranch_execnz .LBB86_1481
.LBB86_1461:
	s_or_b64 exec, exec, s[10:11]
	s_and_saveexec_b64 s[10:11], s[4:5]
	s_cbranch_execz .LBB86_1463
.LBB86_1462:
	v_lshlrev_b32_e32 v8, 24, v2
	v_and_b32_e32 v2, 0xffff, v2
	v_and_b32_e32 v9, 3, v2
	v_ffbh_u32_e32 v11, v9
	v_min_u32_e32 v11, 32, v11
	v_subrev_u32_e32 v12, 29, v11
	v_bfe_u32 v10, v2, 2, 5
	v_lshlrev_b32_e32 v2, v12, v2
	v_sub_u32_e32 v11, 30, v11
	v_and_b32_e32 v2, 3, v2
	v_cmp_eq_u32_e32 vcc, 0, v10
	v_cndmask_b32_e32 v10, v10, v11, vcc
	v_cndmask_b32_e32 v2, v9, v2, vcc
	v_mov_b32_e32 v9, 0x37800000
	v_lshlrev_b32_e32 v2, 21, v2
	v_and_b32_e32 v8, 0x80000000, v8
	v_lshl_add_u32 v9, v10, 23, v9
	v_or3_b32 v8, v8, v9, v2
.LBB86_1463:
	s_or_b64 exec, exec, s[10:11]
	s_mov_b64 s[4:5], 0
	s_branch .LBB86_1469
.LBB86_1464:
	s_mov_b64 s[4:5], -1
                                        ; implicit-def: $vgpr8
	s_branch .LBB86_1475
.LBB86_1465:
	s_or_saveexec_b64 s[18:19], s[18:19]
	v_mov_b32_e32 v8, s13
	s_xor_b64 exec, exec, s[18:19]
	s_cbranch_execz .LBB86_1448
.LBB86_1466:
	v_cmp_ne_u16_e32 vcc, 0, v2
	s_andn2_b64 s[10:11], s[10:11], exec
	s_and_b64 s[20:21], vcc, exec
	v_mov_b32_e32 v8, 0
	s_or_b64 s[10:11], s[10:11], s[20:21]
	s_or_b64 exec, exec, s[18:19]
	s_and_saveexec_b64 s[18:19], s[10:11]
	s_cbranch_execnz .LBB86_1449
	s_branch .LBB86_1450
.LBB86_1467:
	s_mov_b64 s[4:5], -1
                                        ; implicit-def: $vgpr8
	s_branch .LBB86_1472
.LBB86_1468:
	s_mov_b64 s[4:5], -1
                                        ; implicit-def: $vgpr8
.LBB86_1469:
	s_and_b64 vcc, exec, s[4:5]
	s_cbranch_vccz .LBB86_1471
; %bb.1470:
	global_load_ubyte v2, v[0:1], off
	s_mov_b32 s4, 0x7f800000
	s_waitcnt vmcnt(0)
	v_lshlrev_b32_e32 v2, 24, v2
	v_and_b32_e32 v8, 0x7f000000, v2
	v_ffbh_u32_e32 v9, v8
	v_min_u32_e32 v9, 32, v9
	v_sub_u32_e64 v9, v9, 4 clamp
	v_lshlrev_b32_e32 v11, v9, v8
	v_lshlrev_b32_e32 v9, 23, v9
	v_lshrrev_b32_e32 v11, 4, v11
	v_add_u32_e32 v10, 0x1000000, v8
	v_sub_u32_e32 v9, v11, v9
	v_ashrrev_i32_e32 v10, 8, v10
	v_add_u32_e32 v9, 0x3c000000, v9
	v_and_or_b32 v9, v10, s4, v9
	v_cmp_ne_u32_e32 vcc, 0, v8
	v_cndmask_b32_e32 v8, 0, v9, vcc
	s_brev_b32 s4, 1
	v_and_or_b32 v8, v2, s4, v8
.LBB86_1471:
	s_mov_b64 s[4:5], 0
.LBB86_1472:
	s_andn2_b64 vcc, exec, s[4:5]
	s_cbranch_vccnz .LBB86_1474
; %bb.1473:
	global_load_ubyte v2, v[0:1], off
	s_movk_i32 s4, 0x7f00
	s_brev_b32 s5, 16
	s_waitcnt vmcnt(0)
	v_lshlrev_b16_e32 v8, 8, v2
	v_lshlrev_b32_e32 v2, 25, v2
	v_lshrrev_b32_e32 v9, 4, v2
	v_and_or_b32 v10, v8, s4, 0.5
	v_or_b32_e32 v9, 0x70000000, v9
	v_add_f32_e32 v10, -0.5, v10
	v_mul_f32_e32 v9, 0x7800000, v9
	v_cmp_gt_u32_e32 vcc, s5, v2
	v_bfe_i32 v8, v8, 0, 16
	v_cndmask_b32_e32 v2, v9, v10, vcc
	s_brev_b32 s4, 1
	v_and_or_b32 v8, v8, s4, v2
.LBB86_1474:
	s_mov_b64 s[4:5], 0
	s_mov_b64 s[10:11], -1
.LBB86_1475:
	s_andn2_b64 vcc, exec, s[4:5]
	s_mov_b64 s[4:5], 0
	s_cbranch_vccnz .LBB86_1486
; %bb.1476:
	v_cmp_lt_i16_e32 vcc, 14, v5
	s_cbranch_vccz .LBB86_1479
; %bb.1477:
	v_cmp_eq_u16_e32 vcc, 15, v5
	s_cbranch_vccz .LBB86_1482
; %bb.1478:
	global_load_ushort v2, v[0:1], off
	s_mov_b64 s[0:1], 0
	s_mov_b64 s[10:11], -1
	s_waitcnt vmcnt(0)
	v_lshlrev_b32_e32 v8, 16, v2
	s_branch .LBB86_1483
.LBB86_1479:
	s_mov_b64 s[18:19], -1
                                        ; implicit-def: $vgpr8
	s_branch .LBB86_1484
.LBB86_1480:
	s_or_saveexec_b64 s[10:11], s[10:11]
	v_mov_b32_e32 v8, s13
	s_xor_b64 exec, exec, s[10:11]
	s_cbranch_execz .LBB86_1461
.LBB86_1481:
	v_cmp_ne_u16_e32 vcc, 0, v2
	s_andn2_b64 s[4:5], s[4:5], exec
	s_and_b64 s[18:19], vcc, exec
	v_mov_b32_e32 v8, 0
	s_or_b64 s[4:5], s[4:5], s[18:19]
	s_or_b64 exec, exec, s[10:11]
	s_and_saveexec_b64 s[10:11], s[4:5]
	s_cbranch_execnz .LBB86_1462
	s_branch .LBB86_1463
.LBB86_1482:
	s_mov_b64 s[0:1], -1
                                        ; implicit-def: $vgpr8
.LBB86_1483:
	s_mov_b64 s[18:19], 0
.LBB86_1484:
	s_and_b64 vcc, exec, s[18:19]
	s_cbranch_vccz .LBB86_1486
; %bb.1485:
	v_cmp_ne_u16_e64 s[0:1], 11, v5
	s_mov_b64 s[4:5], -1
                                        ; implicit-def: $vgpr8
.LBB86_1486:
	s_and_b64 vcc, exec, s[0:1]
	s_cbranch_vccnz .LBB86_1550
; %bb.1487:
	s_andn2_b64 vcc, exec, s[4:5]
	s_cbranch_vccnz .LBB86_1489
.LBB86_1488:
	global_load_ubyte v2, v[0:1], off
	s_mov_b64 s[10:11], -1
	s_waitcnt vmcnt(0)
	v_cmp_ne_u16_e32 vcc, 0, v2
	v_cndmask_b32_e64 v8, 0, 1.0, vcc
.LBB86_1489:
	s_mov_b64 s[0:1], 0
.LBB86_1490:
	s_and_b64 vcc, exec, s[0:1]
	s_cbranch_vccz .LBB86_1539
; %bb.1491:
	v_cmp_gt_i16_e32 vcc, 5, v5
	s_cbranch_vccnz .LBB86_1496
; %bb.1492:
	v_cmp_gt_i16_e32 vcc, 8, v5
	s_cbranch_vccnz .LBB86_1497
; %bb.1493:
	v_cmp_gt_i16_e32 vcc, 9, v5
	s_cbranch_vccnz .LBB86_1498
; %bb.1494:
	v_cmp_lt_i16_e32 vcc, 9, v5
	s_cbranch_vccz .LBB86_1499
; %bb.1495:
	global_load_dwordx2 v[8:9], v[0:1], off
	s_mov_b64 s[0:1], 0
	s_waitcnt vmcnt(0)
	v_cvt_f32_f64_e32 v8, v[8:9]
	s_branch .LBB86_1500
.LBB86_1496:
	s_mov_b64 s[0:1], -1
                                        ; implicit-def: $vgpr8
	s_branch .LBB86_1518
.LBB86_1497:
	s_mov_b64 s[0:1], -1
                                        ; implicit-def: $vgpr8
	s_branch .LBB86_1506
.LBB86_1498:
	s_mov_b64 s[0:1], -1
                                        ; implicit-def: $vgpr8
	s_branch .LBB86_1503
.LBB86_1499:
	s_mov_b64 s[0:1], -1
                                        ; implicit-def: $vgpr8
.LBB86_1500:
	s_andn2_b64 vcc, exec, s[0:1]
	s_cbranch_vccnz .LBB86_1502
; %bb.1501:
	global_load_dword v8, v[0:1], off
.LBB86_1502:
	s_mov_b64 s[0:1], 0
.LBB86_1503:
	s_andn2_b64 vcc, exec, s[0:1]
	s_cbranch_vccnz .LBB86_1505
; %bb.1504:
	global_load_dword v2, v[0:1], off
	s_waitcnt vmcnt(0)
	v_cvt_f32_f16_e32 v8, v2
.LBB86_1505:
	s_mov_b64 s[0:1], 0
.LBB86_1506:
	s_andn2_b64 vcc, exec, s[0:1]
	s_cbranch_vccnz .LBB86_1517
; %bb.1507:
	v_cmp_gt_i16_e32 vcc, 6, v5
	s_cbranch_vccnz .LBB86_1510
; %bb.1508:
	v_cmp_lt_i16_e32 vcc, 6, v5
	s_cbranch_vccz .LBB86_1511
; %bb.1509:
	global_load_dwordx2 v[8:9], v[0:1], off
	s_mov_b64 s[0:1], 0
	s_waitcnt vmcnt(0)
	v_cvt_f32_f64_e32 v8, v[8:9]
	s_branch .LBB86_1512
.LBB86_1510:
	s_mov_b64 s[0:1], -1
                                        ; implicit-def: $vgpr8
	s_branch .LBB86_1515
.LBB86_1511:
	s_mov_b64 s[0:1], -1
                                        ; implicit-def: $vgpr8
.LBB86_1512:
	s_andn2_b64 vcc, exec, s[0:1]
	s_cbranch_vccnz .LBB86_1514
; %bb.1513:
	global_load_dword v8, v[0:1], off
.LBB86_1514:
	s_mov_b64 s[0:1], 0
.LBB86_1515:
	s_andn2_b64 vcc, exec, s[0:1]
	s_cbranch_vccnz .LBB86_1517
; %bb.1516:
	global_load_ushort v2, v[0:1], off
	s_waitcnt vmcnt(0)
	v_cvt_f32_f16_e32 v8, v2
.LBB86_1517:
	s_mov_b64 s[0:1], 0
.LBB86_1518:
	s_andn2_b64 vcc, exec, s[0:1]
	s_cbranch_vccnz .LBB86_1538
; %bb.1519:
	v_cmp_gt_i16_e32 vcc, 2, v5
	s_cbranch_vccnz .LBB86_1523
; %bb.1520:
	v_cmp_gt_i16_e32 vcc, 3, v5
	s_cbranch_vccnz .LBB86_1524
; %bb.1521:
	v_cmp_lt_i16_e32 vcc, 3, v5
	s_cbranch_vccz .LBB86_1525
; %bb.1522:
	global_load_dwordx2 v[8:9], v[0:1], off
	s_mov_b64 s[0:1], 0
	s_waitcnt vmcnt(0)
	v_xor_b32_e32 v10, v8, v9
	v_ffbh_i32_e32 v2, v9
	v_ashrrev_i32_e32 v10, 31, v10
	v_add_u32_e32 v2, -1, v2
	v_add_u32_e32 v10, 32, v10
	v_min_u32_e32 v2, v2, v10
	v_lshlrev_b64 v[8:9], v2, v[8:9]
	v_min_u32_e32 v8, 1, v8
	v_or_b32_e32 v8, v9, v8
	v_cvt_f32_i32_e32 v8, v8
	v_sub_u32_e32 v2, 32, v2
	v_ldexp_f32 v8, v8, v2
	s_branch .LBB86_1526
.LBB86_1523:
	s_mov_b64 s[0:1], -1
                                        ; implicit-def: $vgpr8
	s_branch .LBB86_1532
.LBB86_1524:
	s_mov_b64 s[0:1], -1
                                        ; implicit-def: $vgpr8
	s_branch .LBB86_1529
.LBB86_1525:
	s_mov_b64 s[0:1], -1
                                        ; implicit-def: $vgpr8
.LBB86_1526:
	s_andn2_b64 vcc, exec, s[0:1]
	s_cbranch_vccnz .LBB86_1528
; %bb.1527:
	global_load_dword v2, v[0:1], off
	s_waitcnt vmcnt(0)
	v_cvt_f32_i32_e32 v8, v2
.LBB86_1528:
	s_mov_b64 s[0:1], 0
.LBB86_1529:
	s_andn2_b64 vcc, exec, s[0:1]
	s_cbranch_vccnz .LBB86_1531
; %bb.1530:
	global_load_sshort v2, v[0:1], off
	s_waitcnt vmcnt(0)
	v_cvt_f32_i32_e32 v8, v2
.LBB86_1531:
	s_mov_b64 s[0:1], 0
.LBB86_1532:
	s_andn2_b64 vcc, exec, s[0:1]
	s_cbranch_vccnz .LBB86_1538
; %bb.1533:
	v_cmp_lt_i16_e32 vcc, 0, v5
	s_cbranch_vccz .LBB86_1535
; %bb.1534:
	global_load_sbyte v2, v[0:1], off
	s_mov_b64 s[0:1], 0
	s_waitcnt vmcnt(0)
	v_cvt_f32_i32_e32 v8, v2
	s_branch .LBB86_1536
.LBB86_1535:
	s_mov_b64 s[0:1], -1
                                        ; implicit-def: $vgpr8
.LBB86_1536:
	s_andn2_b64 vcc, exec, s[0:1]
	s_cbranch_vccnz .LBB86_1538
; %bb.1537:
	global_load_ubyte v0, v[0:1], off
	s_waitcnt vmcnt(0)
	v_cvt_f32_ubyte0_e32 v8, v0
.LBB86_1538:
	s_mov_b64 s[10:11], -1
.LBB86_1539:
	s_andn2_b64 vcc, exec, s[10:11]
	s_cbranch_vccnz .LBB86_1993
; %bb.1540:
	s_brev_b32 s0, -2
	v_mov_b32_e32 v0, s2
	v_mul_lo_u32 v4, s12, v4
	s_waitcnt vmcnt(0)
	v_bfi_b32 v2, s0, v3, v0
	v_ashrrev_i32_e32 v1, 31, v4
	v_mov_b32_e32 v5, s9
	v_add_co_u32_e32 v0, vcc, s8, v4
	v_addc_co_u32_e32 v1, vcc, v5, v1, vcc
	v_mov_b32_e32 v5, 11
	v_cmp_lt_i16_sdwa s[0:1], s3, v5 src0_sel:BYTE_0 src1_sel:DWORD
	s_and_b64 vcc, exec, s[0:1]
	s_cbranch_vccnz .LBB86_1547
; %bb.1541:
	v_mov_b32_e32 v5, 25
	v_cmp_gt_i16_sdwa s[0:1], s3, v5 src0_sel:BYTE_0 src1_sel:DWORD
	s_mov_b64 s[18:19], -1
	s_mov_b64 s[4:5], 0
	s_and_b64 vcc, exec, s[0:1]
	s_mov_b64 s[10:11], 0
	s_mov_b64 s[0:1], 0
	s_cbranch_vccz .LBB86_1579
; %bb.1542:
	v_mov_b32_e32 v5, 28
	v_cmp_gt_i16_sdwa s[0:1], s3, v5 src0_sel:BYTE_0 src1_sel:DWORD
	s_and_b64 vcc, exec, s[0:1]
	s_cbranch_vccz .LBB86_1548
; %bb.1543:
	v_mov_b32_e32 v5, 43
	v_cmp_gt_i16_sdwa s[0:1], s3, v5 src0_sel:BYTE_0 src1_sel:DWORD
	s_and_b64 vcc, exec, s[0:1]
	;; [unrolled: 5-line block ×3, first 2 shown]
	s_cbranch_vccz .LBB86_1551
; %bb.1545:
	v_mov_b32_e32 v5, 46
	v_cmp_eq_u16_sdwa s[10:11], s3, v5 src0_sel:BYTE_0 src1_sel:DWORD
	s_mov_b64 s[0:1], -1
	s_mov_b64 s[18:19], 0
	s_and_b64 vcc, exec, s[10:11]
	s_mov_b64 s[10:11], 0
	s_cbranch_vccz .LBB86_1552
; %bb.1546:
	v_bfe_u32 v5, v2, 16, 1
	s_movk_i32 s0, 0x7fff
	v_add3_u32 v5, v2, v5, s0
	v_lshrrev_b32_e32 v5, 16, v5
	v_mov_b32_e32 v9, 0x7fc0
	v_cmp_o_f32_e32 vcc, v2, v2
	v_cndmask_b32_e32 v5, v9, v5, vcc
	global_store_dword v[0:1], v5, off
	s_mov_b64 s[0:1], 0
	s_mov_b64 s[10:11], -1
	s_branch .LBB86_1552
.LBB86_1547:
	s_mov_b64 s[0:1], -1
	s_mov_b64 s[10:11], 0
	s_branch .LBB86_1623
.LBB86_1548:
	s_mov_b64 s[0:1], 0
	s_branch .LBB86_1562
.LBB86_1549:
	s_mov_b64 s[0:1], 0
	s_branch .LBB86_1558
.LBB86_1550:
	s_trap 2
	s_or_b64 s[16:17], s[16:17], exec
                                        ; implicit-def: $vgpr8
	s_cbranch_execz .LBB86_1488
	s_branch .LBB86_1489
.LBB86_1551:
	s_mov_b64 s[0:1], 0
.LBB86_1552:
	s_and_b64 vcc, exec, s[18:19]
	s_cbranch_vccz .LBB86_1557
; %bb.1553:
	v_mov_b32_e32 v5, 44
	v_cmp_eq_u16_sdwa s[18:19], s3, v5 src0_sel:BYTE_0 src1_sel:DWORD
	s_mov_b64 s[0:1], -1
	s_and_b64 vcc, exec, s[18:19]
	s_cbranch_vccz .LBB86_1557
; %bb.1554:
	v_bfe_u32 v5, v2, 23, 8
	s_movk_i32 s0, 0xff
	v_cmp_ne_u32_e32 vcc, s0, v5
	v_mov_b32_e32 v9, 0xff
	s_and_saveexec_b64 s[10:11], vcc
; %bb.1555:
	s_mov_b32 s0, 0x3fffff
	v_and_b32_e32 v10, 0x400000, v2
	v_and_or_b32 v5, v2, s0, v5
	v_cmp_ne_u32_e32 vcc, 0, v10
	v_cmp_ne_u32_e64 s[0:1], 0, v5
	s_and_b64 s[0:1], vcc, s[0:1]
	v_lshrrev_b32_e32 v9, 23, v2
	v_cndmask_b32_e64 v5, 0, 1, s[0:1]
	v_add_u32_e32 v9, v9, v5
; %bb.1556:
	s_or_b64 exec, exec, s[10:11]
	s_mov_b64 s[0:1], 0
	s_mov_b64 s[10:11], -1
	global_store_byte v[0:1], v9, off
.LBB86_1557:
	s_mov_b64 s[18:19], 0
.LBB86_1558:
	s_and_b64 vcc, exec, s[18:19]
	s_cbranch_vccz .LBB86_1561
; %bb.1559:
	v_mov_b32_e32 v5, 29
	v_cmp_eq_u16_sdwa s[18:19], s3, v5 src0_sel:BYTE_0 src1_sel:DWORD
	s_mov_b64 s[0:1], -1
	s_and_b64 vcc, exec, s[18:19]
	s_cbranch_vccz .LBB86_1561
; %bb.1560:
	v_trunc_f32_e32 v5, v2
	v_mul_f32_e32 v9, 0x2f800000, v5
	v_floor_f32_e32 v9, v9
	v_fmac_f32_e32 v5, 0xcf800000, v9
	v_cvt_u32_f32_e32 v11, v9
	v_cvt_u32_f32_e32 v10, v5
	s_mov_b64 s[0:1], 0
	s_mov_b64 s[10:11], -1
	s_mov_b64 s[18:19], 0
	global_store_dwordx2 v[0:1], v[10:11], off
	s_branch .LBB86_1562
.LBB86_1561:
	s_mov_b64 s[18:19], 0
.LBB86_1562:
	s_and_b64 vcc, exec, s[18:19]
	s_cbranch_vccz .LBB86_1578
; %bb.1563:
	v_mov_b32_e32 v5, 27
	v_cmp_lt_i16_sdwa s[18:19], s3, v5 src0_sel:BYTE_0 src1_sel:DWORD
	s_mov_b64 s[10:11], -1
	s_and_b64 vcc, exec, s[18:19]
	s_cbranch_vccnz .LBB86_1569
; %bb.1564:
	v_cmp_gt_i16_sdwa s[18:19], s3, v5 src0_sel:BYTE_0 src1_sel:DWORD
	v_cvt_u32_f32_e32 v5, v2
	s_and_b64 vcc, exec, s[18:19]
	s_cbranch_vccz .LBB86_1566
; %bb.1565:
	s_mov_b64 s[10:11], 0
	global_store_dword v[0:1], v5, off
.LBB86_1566:
	s_andn2_b64 vcc, exec, s[10:11]
	s_cbranch_vccnz .LBB86_1568
; %bb.1567:
	global_store_short v[0:1], v5, off
.LBB86_1568:
	s_mov_b64 s[10:11], 0
.LBB86_1569:
	s_andn2_b64 vcc, exec, s[10:11]
	s_cbranch_vccnz .LBB86_1577
; %bb.1570:
	v_and_b32_e32 v5, 0x7fffffff, v3
	s_mov_b32 s10, 0x43800000
	v_cmp_gt_u32_e32 vcc, s10, v5
	v_mov_b32_e32 v9, 0x80
	s_and_saveexec_b64 s[10:11], vcc
	s_cbranch_execz .LBB86_1576
; %bb.1571:
	s_mov_b32 s13, 0x3bffffff
	v_cmp_lt_u32_e32 vcc, s13, v5
	s_mov_b64 s[18:19], 0
                                        ; implicit-def: $vgpr5
	s_and_saveexec_b64 s[20:21], vcc
	s_xor_b64 s[20:21], exec, s[20:21]
	s_cbranch_execz .LBB86_1672
; %bb.1572:
	v_bfe_u32 v5, v2, 20, 1
	s_mov_b32 s13, 0x487ffff
	v_add3_u32 v5, v2, v5, s13
	s_mov_b64 s[18:19], exec
	v_lshrrev_b32_e32 v5, 20, v5
	s_or_saveexec_b64 s[20:21], s[20:21]
                                        ; implicit-def: $sgpr13
	s_xor_b64 exec, exec, s[20:21]
	s_cbranch_execnz .LBB86_1673
.LBB86_1573:
	s_or_b64 exec, exec, s[20:21]
	v_mov_b32_e32 v9, s13
	s_and_saveexec_b64 s[20:21], s[18:19]
.LBB86_1574:
	v_lshrrev_b32_e32 v9, 24, v2
	s_movk_i32 s13, 0x80
	v_and_or_b32 v9, v9, s13, v5
.LBB86_1575:
	s_or_b64 exec, exec, s[20:21]
.LBB86_1576:
	s_or_b64 exec, exec, s[10:11]
	global_store_byte v[0:1], v9, off
.LBB86_1577:
	s_mov_b64 s[10:11], -1
.LBB86_1578:
	s_mov_b64 s[18:19], 0
.LBB86_1579:
	s_and_b64 vcc, exec, s[18:19]
	s_cbranch_vccz .LBB86_1619
; %bb.1580:
	v_mov_b32_e32 v5, 22
	v_cmp_gt_i16_sdwa s[18:19], s3, v5 src0_sel:BYTE_0 src1_sel:DWORD
	s_mov_b64 s[4:5], -1
	s_and_b64 vcc, exec, s[18:19]
	s_cbranch_vccz .LBB86_1612
; %bb.1581:
	v_mov_b32_e32 v5, 24
	v_cmp_lt_i16_sdwa s[10:11], s3, v5 src0_sel:BYTE_0 src1_sel:DWORD
	s_and_b64 vcc, exec, s[10:11]
	s_cbranch_vccnz .LBB86_1601
; %bb.1582:
	v_cmp_gt_i16_sdwa s[10:11], s3, v5 src0_sel:BYTE_0 src1_sel:DWORD
	s_and_b64 vcc, exec, s[10:11]
	s_cbranch_vccz .LBB86_1590
; %bb.1583:
	v_and_b32_e32 v5, 0x7fffffff, v3
	s_mov_b32 s4, 0x47800000
	v_cmp_gt_u32_e32 vcc, s4, v5
	v_mov_b32_e32 v9, 0x80
	s_and_saveexec_b64 s[4:5], vcc
	s_cbranch_execz .LBB86_1589
; %bb.1584:
	s_mov_b32 s10, 0x37ffffff
	v_cmp_lt_u32_e32 vcc, s10, v5
	s_mov_b64 s[10:11], 0
                                        ; implicit-def: $vgpr5
	s_and_saveexec_b64 s[18:19], vcc
	s_xor_b64 s[18:19], exec, s[18:19]
	s_cbranch_execz .LBB86_1676
; %bb.1585:
	v_bfe_u32 v5, v2, 21, 1
	s_mov_b32 s13, 0x88fffff
	v_add3_u32 v5, v2, v5, s13
	s_mov_b64 s[10:11], exec
	v_lshrrev_b32_e32 v5, 21, v5
	s_or_saveexec_b64 s[18:19], s[18:19]
                                        ; implicit-def: $sgpr13
	s_xor_b64 exec, exec, s[18:19]
	s_cbranch_execnz .LBB86_1677
.LBB86_1586:
	s_or_b64 exec, exec, s[18:19]
	v_mov_b32_e32 v9, s13
	s_and_saveexec_b64 s[18:19], s[10:11]
.LBB86_1587:
	v_lshrrev_b32_e32 v9, 24, v2
	s_movk_i32 s10, 0x80
	v_and_or_b32 v9, v9, s10, v5
.LBB86_1588:
	s_or_b64 exec, exec, s[18:19]
.LBB86_1589:
	s_or_b64 exec, exec, s[4:5]
	s_mov_b64 s[4:5], 0
	global_store_byte v[0:1], v9, off
.LBB86_1590:
	s_and_b64 vcc, exec, s[4:5]
	s_cbranch_vccz .LBB86_1600
; %bb.1591:
	v_and_b32_e32 v9, 0x7fffffff, v3
	s_mov_b32 s4, 0x43f00000
	v_cmp_gt_u32_e32 vcc, s4, v9
                                        ; implicit-def: $vgpr5
	s_and_saveexec_b64 s[4:5], vcc
	s_xor_b64 s[4:5], exec, s[4:5]
	s_cbranch_execz .LBB86_1597
; %bb.1592:
	s_mov_b32 s10, 0x3c7fffff
	v_cmp_lt_u32_e32 vcc, s10, v9
                                        ; implicit-def: $vgpr5
	s_and_saveexec_b64 s[10:11], vcc
	s_xor_b64 s[10:11], exec, s[10:11]
; %bb.1593:
	v_bfe_u32 v5, v2, 20, 1
	s_mov_b32 s13, 0x407ffff
	v_add3_u32 v5, v2, v5, s13
	v_lshrrev_b32_e32 v9, 20, v5
	v_and_b32_e32 v5, 0xff00000, v5
	s_mov_b32 s13, 0x7f00000
	v_mov_b32_e32 v10, 0x7e
	v_cmp_ne_u32_e32 vcc, s13, v5
	v_cndmask_b32_e32 v5, v10, v9, vcc
; %bb.1594:
	s_andn2_saveexec_b64 s[10:11], s[10:11]
; %bb.1595:
	s_mov_b32 s13, 0x46800000
	v_add_f32_e64 v5, |v3|, s13
; %bb.1596:
	s_or_b64 exec, exec, s[10:11]
                                        ; implicit-def: $vgpr9
.LBB86_1597:
	s_andn2_saveexec_b64 s[4:5], s[4:5]
; %bb.1598:
	s_mov_b32 s10, 0x7f800000
	v_mov_b32_e32 v5, 0x7e
	v_mov_b32_e32 v10, 0x7f
	v_cmp_lt_u32_e32 vcc, s10, v9
	v_cndmask_b32_e32 v5, v5, v10, vcc
; %bb.1599:
	s_or_b64 exec, exec, s[4:5]
	v_lshrrev_b32_e32 v9, 24, v2
	s_movk_i32 s4, 0x80
	v_and_or_b32 v5, v9, s4, v5
	global_store_byte v[0:1], v5, off
.LBB86_1600:
	s_mov_b64 s[4:5], 0
.LBB86_1601:
	s_andn2_b64 vcc, exec, s[4:5]
	s_cbranch_vccnz .LBB86_1611
; %bb.1602:
	v_and_b32_e32 v9, 0x7fffffff, v3
	s_mov_b32 s4, 0x47800000
	v_cmp_gt_u32_e32 vcc, s4, v9
                                        ; implicit-def: $vgpr5
	s_and_saveexec_b64 s[4:5], vcc
	s_xor_b64 s[4:5], exec, s[4:5]
	s_cbranch_execz .LBB86_1608
; %bb.1603:
	s_mov_b32 s10, 0x387fffff
	v_cmp_lt_u32_e32 vcc, s10, v9
                                        ; implicit-def: $vgpr5
	s_and_saveexec_b64 s[10:11], vcc
	s_xor_b64 s[10:11], exec, s[10:11]
; %bb.1604:
	v_bfe_u32 v3, v2, 21, 1
	s_mov_b32 s13, 0x80fffff
	v_add3_u32 v3, v2, v3, s13
	v_lshrrev_b32_e32 v5, 21, v3
                                        ; implicit-def: $vgpr3
; %bb.1605:
	s_andn2_saveexec_b64 s[10:11], s[10:11]
; %bb.1606:
	s_mov_b32 s13, 0x43000000
	v_add_f32_e64 v5, |v3|, s13
; %bb.1607:
	s_or_b64 exec, exec, s[10:11]
                                        ; implicit-def: $vgpr9
.LBB86_1608:
	s_andn2_saveexec_b64 s[4:5], s[4:5]
; %bb.1609:
	s_mov_b32 s10, 0x7f800000
	v_mov_b32_e32 v3, 0x7c
	v_mov_b32_e32 v5, 0x7f
	v_cmp_lt_u32_e32 vcc, s10, v9
	v_cndmask_b32_e32 v5, v3, v5, vcc
; %bb.1610:
	s_or_b64 exec, exec, s[4:5]
	v_lshrrev_b32_e32 v3, 24, v2
	s_movk_i32 s4, 0x80
	v_and_or_b32 v3, v3, s4, v5
	global_store_byte v[0:1], v3, off
.LBB86_1611:
	s_mov_b64 s[4:5], 0
	s_mov_b64 s[10:11], -1
.LBB86_1612:
	s_andn2_b64 vcc, exec, s[4:5]
	s_mov_b64 s[4:5], 0
	s_cbranch_vccnz .LBB86_1619
; %bb.1613:
	v_mov_b32_e32 v3, 14
	v_cmp_gt_i16_sdwa s[4:5], s3, v3 src0_sel:BYTE_0 src1_sel:DWORD
	s_mov_b64 s[18:19], -1
	s_and_b64 vcc, exec, s[4:5]
	s_cbranch_vccz .LBB86_1617
; %bb.1614:
	v_mov_b32_e32 v3, 15
	v_cmp_eq_u16_sdwa s[4:5], s3, v3 src0_sel:BYTE_0 src1_sel:DWORD
	s_mov_b64 s[0:1], -1
	s_and_b64 vcc, exec, s[4:5]
	s_cbranch_vccz .LBB86_1616
; %bb.1615:
	v_bfe_u32 v3, v2, 16, 1
	s_movk_i32 s0, 0x7fff
	v_add3_u32 v3, v2, v3, s0
	v_lshrrev_b32_e32 v3, 16, v3
	v_mov_b32_e32 v5, 0x7fc0
	v_cmp_o_f32_e32 vcc, v2, v2
	v_cndmask_b32_e32 v3, v5, v3, vcc
	global_store_short v[0:1], v3, off
	s_mov_b64 s[0:1], 0
	s_mov_b64 s[10:11], -1
.LBB86_1616:
	s_mov_b64 s[18:19], 0
.LBB86_1617:
	s_mov_b64 s[4:5], 0
	s_and_b64 vcc, exec, s[18:19]
	s_cbranch_vccz .LBB86_1619
; %bb.1618:
	v_mov_b32_e32 v3, 11
	v_cmp_ne_u16_sdwa s[0:1], s3, v3 src0_sel:BYTE_0 src1_sel:DWORD
	s_mov_b64 s[4:5], -1
.LBB86_1619:
	s_and_b64 vcc, exec, s[0:1]
	s_cbranch_vccnz .LBB86_1675
; %bb.1620:
	s_andn2_b64 vcc, exec, s[4:5]
	s_cbranch_vccnz .LBB86_1622
.LBB86_1621:
	v_cmp_neq_f32_e32 vcc, 0, v2
	v_cndmask_b32_e64 v3, 0, 1, vcc
	s_mov_b64 s[10:11], -1
	global_store_byte v[0:1], v3, off
.LBB86_1622:
	s_mov_b64 s[0:1], 0
.LBB86_1623:
	s_and_b64 vcc, exec, s[0:1]
	s_cbranch_vccz .LBB86_1662
; %bb.1624:
	v_mov_b32_e32 v3, 5
	v_cmp_lt_i16_sdwa s[4:5], s3, v3 src0_sel:BYTE_0 src1_sel:DWORD
	s_mov_b64 s[0:1], -1
	s_and_b64 vcc, exec, s[4:5]
	s_cbranch_vccnz .LBB86_1645
; %bb.1625:
	v_mov_b32_e32 v3, 8
	v_cmp_lt_i16_sdwa s[4:5], s3, v3 src0_sel:BYTE_0 src1_sel:DWORD
	s_and_b64 vcc, exec, s[4:5]
	s_cbranch_vccnz .LBB86_1635
; %bb.1626:
	v_mov_b32_e32 v3, 9
	v_cmp_lt_i16_sdwa s[4:5], s3, v3 src0_sel:BYTE_0 src1_sel:DWORD
	s_and_b64 vcc, exec, s[4:5]
	s_cbranch_vccnz .LBB86_1632
; %bb.1627:
	v_cmp_gt_i16_sdwa s[4:5], s3, v3 src0_sel:BYTE_0 src1_sel:DWORD
	s_and_b64 vcc, exec, s[4:5]
	s_cbranch_vccz .LBB86_1629
; %bb.1628:
	v_mov_b32_e32 v12, 0
	v_cvt_f64_f32_e32 v[10:11], v2
	v_mov_b32_e32 v13, v12
	global_store_dwordx4 v[0:1], v[10:13], off
	s_mov_b64 s[0:1], 0
.LBB86_1629:
	s_andn2_b64 vcc, exec, s[0:1]
	s_cbranch_vccnz .LBB86_1631
; %bb.1630:
	v_mov_b32_e32 v3, 0
	global_store_dwordx2 v[0:1], v[2:3], off
.LBB86_1631:
	s_mov_b64 s[0:1], 0
.LBB86_1632:
	s_andn2_b64 vcc, exec, s[0:1]
	s_cbranch_vccnz .LBB86_1634
; %bb.1633:
	v_cvt_f16_f32_e32 v3, v2
	global_store_dword v[0:1], v3, off
.LBB86_1634:
	s_mov_b64 s[0:1], 0
.LBB86_1635:
	s_andn2_b64 vcc, exec, s[0:1]
	s_cbranch_vccnz .LBB86_1644
; %bb.1636:
	v_mov_b32_e32 v3, 6
	v_cmp_lt_i16_sdwa s[4:5], s3, v3 src0_sel:BYTE_0 src1_sel:DWORD
	s_mov_b64 s[0:1], -1
	s_and_b64 vcc, exec, s[4:5]
	s_cbranch_vccnz .LBB86_1642
; %bb.1637:
	v_cmp_gt_i16_sdwa s[4:5], s3, v3 src0_sel:BYTE_0 src1_sel:DWORD
	s_and_b64 vcc, exec, s[4:5]
	s_cbranch_vccz .LBB86_1639
; %bb.1638:
	v_cvt_f64_f32_e32 v[10:11], v2
	global_store_dwordx2 v[0:1], v[10:11], off
	s_mov_b64 s[0:1], 0
.LBB86_1639:
	s_andn2_b64 vcc, exec, s[0:1]
	s_cbranch_vccnz .LBB86_1641
; %bb.1640:
	global_store_dword v[0:1], v2, off
.LBB86_1641:
	s_mov_b64 s[0:1], 0
.LBB86_1642:
	s_andn2_b64 vcc, exec, s[0:1]
	s_cbranch_vccnz .LBB86_1644
; %bb.1643:
	v_cvt_f16_f32_e32 v3, v2
	global_store_short v[0:1], v3, off
.LBB86_1644:
	s_mov_b64 s[0:1], 0
.LBB86_1645:
	s_andn2_b64 vcc, exec, s[0:1]
	s_cbranch_vccnz .LBB86_1661
; %bb.1646:
	v_mov_b32_e32 v3, 2
	v_cmp_lt_i16_sdwa s[4:5], s3, v3 src0_sel:BYTE_0 src1_sel:DWORD
	s_mov_b64 s[0:1], -1
	s_and_b64 vcc, exec, s[4:5]
	s_cbranch_vccnz .LBB86_1656
; %bb.1647:
	v_mov_b32_e32 v3, 3
	v_cmp_lt_i16_sdwa s[4:5], s3, v3 src0_sel:BYTE_0 src1_sel:DWORD
	s_and_b64 vcc, exec, s[4:5]
	s_cbranch_vccnz .LBB86_1653
; %bb.1648:
	v_cmp_gt_i16_sdwa s[4:5], s3, v3 src0_sel:BYTE_0 src1_sel:DWORD
	s_and_b64 vcc, exec, s[4:5]
	s_cbranch_vccz .LBB86_1650
; %bb.1649:
	v_trunc_f32_e32 v3, v2
	s_mov_b32 s0, 0x2f800000
	v_mul_f32_e64 v5, |v3|, s0
	v_floor_f32_e32 v5, v5
	s_mov_b32 s0, 0xcf800000
	v_cvt_u32_f32_e32 v9, v5
	v_fma_f32 v5, v5, s0, |v3|
	v_cvt_u32_f32_e32 v5, v5
	v_ashrrev_i32_e32 v3, 31, v3
	v_xor_b32_e32 v9, v9, v3
	s_mov_b64 s[0:1], 0
	v_xor_b32_e32 v5, v5, v3
	v_sub_co_u32_e32 v10, vcc, v5, v3
	v_subb_co_u32_e32 v11, vcc, v9, v3, vcc
	global_store_dwordx2 v[0:1], v[10:11], off
.LBB86_1650:
	s_andn2_b64 vcc, exec, s[0:1]
	s_cbranch_vccnz .LBB86_1652
; %bb.1651:
	v_cvt_i32_f32_e32 v3, v2
	global_store_dword v[0:1], v3, off
.LBB86_1652:
	s_mov_b64 s[0:1], 0
.LBB86_1653:
	s_andn2_b64 vcc, exec, s[0:1]
	s_cbranch_vccnz .LBB86_1655
; %bb.1654:
	v_cvt_i32_f32_e32 v3, v2
	global_store_short v[0:1], v3, off
.LBB86_1655:
	s_mov_b64 s[0:1], 0
.LBB86_1656:
	s_andn2_b64 vcc, exec, s[0:1]
	s_cbranch_vccnz .LBB86_1661
; %bb.1657:
	v_mov_b32_e32 v3, 0
	v_cmp_gt_i16_sdwa s[4:5], s3, v3 src0_sel:BYTE_0 src1_sel:DWORD
	s_mov_b64 s[0:1], -1
	s_and_b64 vcc, exec, s[4:5]
	s_cbranch_vccz .LBB86_1659
; %bb.1658:
	v_cvt_i32_f32_e32 v3, v2
	s_mov_b64 s[0:1], 0
	global_store_byte v[0:1], v3, off
.LBB86_1659:
	s_andn2_b64 vcc, exec, s[0:1]
	s_cbranch_vccnz .LBB86_1661
; %bb.1660:
	v_trunc_f32_e32 v2, v2
	s_mov_b32 s0, 0x2f800000
	v_mul_f32_e64 v3, |v2|, s0
	v_floor_f32_e32 v3, v3
	s_mov_b32 s0, 0xcf800000
	v_fma_f32 v3, v3, s0, |v2|
	v_cvt_u32_f32_e32 v3, v3
	v_ashrrev_i32_e32 v2, 31, v2
	v_xor_b32_e32 v3, v3, v2
	v_sub_u32_e32 v2, v3, v2
	global_store_byte v[0:1], v2, off
.LBB86_1661:
	s_mov_b64 s[10:11], -1
.LBB86_1662:
	s_andn2_b64 vcc, exec, s[10:11]
	s_cbranch_vccnz .LBB86_1993
; %bb.1663:
	s_lshl_b32 s20, s12, 7
	s_brev_b32 s0, -2
	v_mov_b32_e32 v0, s2
	v_add_u32_e32 v4, s20, v4
	v_bfi_b32 v2, s0, v6, v0
	v_ashrrev_i32_e32 v1, 31, v4
	v_mov_b32_e32 v3, s9
	v_add_co_u32_e32 v0, vcc, s8, v4
	v_addc_co_u32_e32 v1, vcc, v3, v1, vcc
	v_mov_b32_e32 v3, 11
	v_cmp_lt_i16_sdwa s[0:1], s3, v3 src0_sel:BYTE_0 src1_sel:DWORD
	s_and_b64 vcc, exec, s[0:1]
	s_cbranch_vccnz .LBB86_1670
; %bb.1664:
	v_mov_b32_e32 v3, 25
	v_cmp_gt_i16_sdwa s[0:1], s3, v3 src0_sel:BYTE_0 src1_sel:DWORD
	s_mov_b64 s[12:13], -1
	s_mov_b64 s[4:5], 0
	s_and_b64 vcc, exec, s[0:1]
	s_mov_b64 s[10:11], 0
	s_mov_b64 s[0:1], 0
	s_cbranch_vccz .LBB86_1706
; %bb.1665:
	v_mov_b32_e32 v3, 28
	v_cmp_gt_i16_sdwa s[0:1], s3, v3 src0_sel:BYTE_0 src1_sel:DWORD
	s_and_b64 vcc, exec, s[0:1]
	s_cbranch_vccz .LBB86_1671
; %bb.1666:
	v_mov_b32_e32 v3, 43
	v_cmp_gt_i16_sdwa s[0:1], s3, v3 src0_sel:BYTE_0 src1_sel:DWORD
	s_and_b64 vcc, exec, s[0:1]
	s_cbranch_vccz .LBB86_1674
; %bb.1667:
	v_mov_b32_e32 v3, 45
	v_cmp_gt_i16_sdwa s[0:1], s3, v3 src0_sel:BYTE_0 src1_sel:DWORD
	s_and_b64 vcc, exec, s[0:1]
	s_cbranch_vccz .LBB86_1678
; %bb.1668:
	v_mov_b32_e32 v3, 46
	v_cmp_eq_u16_sdwa s[10:11], s3, v3 src0_sel:BYTE_0 src1_sel:DWORD
	s_mov_b64 s[0:1], -1
	s_mov_b64 s[12:13], 0
	s_and_b64 vcc, exec, s[10:11]
	s_mov_b64 s[10:11], 0
	s_cbranch_vccz .LBB86_1679
; %bb.1669:
	v_bfe_u32 v3, v2, 16, 1
	s_movk_i32 s0, 0x7fff
	v_add3_u32 v3, v2, v3, s0
	v_lshrrev_b32_e32 v3, 16, v3
	v_mov_b32_e32 v5, 0x7fc0
	v_cmp_o_f32_e32 vcc, v2, v2
	v_cndmask_b32_e32 v3, v5, v3, vcc
	global_store_dword v[0:1], v3, off
	s_mov_b64 s[0:1], 0
	s_mov_b64 s[10:11], -1
	s_branch .LBB86_1679
.LBB86_1670:
	s_mov_b64 s[0:1], -1
	s_mov_b64 s[10:11], 0
	s_branch .LBB86_1750
.LBB86_1671:
	s_mov_b64 s[0:1], 0
	s_branch .LBB86_1689
.LBB86_1672:
	s_or_saveexec_b64 s[20:21], s[20:21]
                                        ; implicit-def: $sgpr13
	s_xor_b64 exec, exec, s[20:21]
	s_cbranch_execz .LBB86_1573
.LBB86_1673:
	s_mov_b32 s13, 0x46000000
	v_add_f32_e64 v5, |v3|, s13
	v_and_b32_e32 v5, 0xff, v5
	v_cmp_ne_u32_e32 vcc, 0, v5
	s_andn2_b64 s[18:19], s[18:19], exec
	s_and_b64 s[22:23], vcc, exec
	s_mov_b32 s13, 0
	s_or_b64 s[18:19], s[18:19], s[22:23]
	s_or_b64 exec, exec, s[20:21]
	v_mov_b32_e32 v9, s13
	s_and_saveexec_b64 s[20:21], s[18:19]
	s_cbranch_execnz .LBB86_1574
	s_branch .LBB86_1575
.LBB86_1674:
	s_mov_b64 s[0:1], 0
	s_branch .LBB86_1685
.LBB86_1675:
	s_trap 2
	s_or_b64 s[16:17], s[16:17], exec
	s_cbranch_execz .LBB86_1621
	s_branch .LBB86_1622
.LBB86_1676:
	s_or_saveexec_b64 s[18:19], s[18:19]
                                        ; implicit-def: $sgpr13
	s_xor_b64 exec, exec, s[18:19]
	s_cbranch_execz .LBB86_1586
.LBB86_1677:
	s_mov_b32 s13, 0x42800000
	v_add_f32_e64 v5, |v3|, s13
	v_and_b32_e32 v5, 0xff, v5
	v_cmp_ne_u32_e32 vcc, 0, v5
	s_andn2_b64 s[10:11], s[10:11], exec
	s_and_b64 s[20:21], vcc, exec
	s_mov_b32 s13, 0
	s_or_b64 s[10:11], s[10:11], s[20:21]
	s_or_b64 exec, exec, s[18:19]
	v_mov_b32_e32 v9, s13
	s_and_saveexec_b64 s[18:19], s[10:11]
	s_cbranch_execnz .LBB86_1587
	s_branch .LBB86_1588
.LBB86_1678:
	s_mov_b64 s[0:1], 0
.LBB86_1679:
	s_and_b64 vcc, exec, s[12:13]
	s_cbranch_vccz .LBB86_1684
; %bb.1680:
	v_mov_b32_e32 v3, 44
	v_cmp_eq_u16_sdwa s[12:13], s3, v3 src0_sel:BYTE_0 src1_sel:DWORD
	s_mov_b64 s[0:1], -1
	s_and_b64 vcc, exec, s[12:13]
	s_cbranch_vccz .LBB86_1684
; %bb.1681:
	v_bfe_u32 v3, v2, 23, 8
	s_movk_i32 s0, 0xff
	v_cmp_ne_u32_e32 vcc, s0, v3
	v_mov_b32_e32 v5, 0xff
	s_and_saveexec_b64 s[10:11], vcc
; %bb.1682:
	s_mov_b32 s0, 0x3fffff
	v_and_b32_e32 v9, 0x400000, v2
	v_and_or_b32 v3, v2, s0, v3
	v_cmp_ne_u32_e32 vcc, 0, v9
	v_cmp_ne_u32_e64 s[0:1], 0, v3
	s_and_b64 s[0:1], vcc, s[0:1]
	v_lshrrev_b32_e32 v5, 23, v2
	v_cndmask_b32_e64 v3, 0, 1, s[0:1]
	v_add_u32_e32 v5, v5, v3
; %bb.1683:
	s_or_b64 exec, exec, s[10:11]
	s_mov_b64 s[0:1], 0
	s_mov_b64 s[10:11], -1
	global_store_byte v[0:1], v5, off
.LBB86_1684:
	s_mov_b64 s[12:13], 0
.LBB86_1685:
	s_and_b64 vcc, exec, s[12:13]
	s_cbranch_vccz .LBB86_1688
; %bb.1686:
	v_mov_b32_e32 v3, 29
	v_cmp_eq_u16_sdwa s[12:13], s3, v3 src0_sel:BYTE_0 src1_sel:DWORD
	s_mov_b64 s[0:1], -1
	s_and_b64 vcc, exec, s[12:13]
	s_cbranch_vccz .LBB86_1688
; %bb.1687:
	v_trunc_f32_e32 v3, v2
	v_mul_f32_e32 v5, 0x2f800000, v3
	v_floor_f32_e32 v5, v5
	v_fmac_f32_e32 v3, 0xcf800000, v5
	v_cvt_u32_f32_e32 v11, v5
	v_cvt_u32_f32_e32 v10, v3
	s_mov_b64 s[0:1], 0
	s_mov_b64 s[10:11], -1
	s_mov_b64 s[12:13], 0
	global_store_dwordx2 v[0:1], v[10:11], off
	s_branch .LBB86_1689
.LBB86_1688:
	s_mov_b64 s[12:13], 0
.LBB86_1689:
	s_and_b64 vcc, exec, s[12:13]
	s_cbranch_vccz .LBB86_1705
; %bb.1690:
	v_mov_b32_e32 v3, 27
	v_cmp_lt_i16_sdwa s[12:13], s3, v3 src0_sel:BYTE_0 src1_sel:DWORD
	s_mov_b64 s[10:11], -1
	s_and_b64 vcc, exec, s[12:13]
	s_cbranch_vccnz .LBB86_1696
; %bb.1691:
	v_cmp_gt_i16_sdwa s[12:13], s3, v3 src0_sel:BYTE_0 src1_sel:DWORD
	v_cvt_u32_f32_e32 v3, v2
	s_and_b64 vcc, exec, s[12:13]
	s_cbranch_vccz .LBB86_1693
; %bb.1692:
	s_mov_b64 s[10:11], 0
	global_store_dword v[0:1], v3, off
.LBB86_1693:
	s_andn2_b64 vcc, exec, s[10:11]
	s_cbranch_vccnz .LBB86_1695
; %bb.1694:
	global_store_short v[0:1], v3, off
.LBB86_1695:
	s_mov_b64 s[10:11], 0
.LBB86_1696:
	s_andn2_b64 vcc, exec, s[10:11]
	s_cbranch_vccnz .LBB86_1704
; %bb.1697:
	v_and_b32_e32 v3, 0x7fffffff, v6
	s_mov_b32 s10, 0x43800000
	v_cmp_gt_u32_e32 vcc, s10, v3
	v_mov_b32_e32 v5, 0x80
	s_and_saveexec_b64 s[10:11], vcc
	s_cbranch_execz .LBB86_1703
; %bb.1698:
	s_mov_b32 s12, 0x3bffffff
	v_cmp_lt_u32_e32 vcc, s12, v3
	s_mov_b64 s[12:13], 0
                                        ; implicit-def: $vgpr3
	s_and_saveexec_b64 s[18:19], vcc
	s_xor_b64 s[18:19], exec, s[18:19]
	s_cbranch_execz .LBB86_1799
; %bb.1699:
	v_bfe_u32 v3, v2, 20, 1
	s_mov_b32 s21, 0x487ffff
	v_add3_u32 v3, v2, v3, s21
	s_mov_b64 s[12:13], exec
	v_lshrrev_b32_e32 v3, 20, v3
	s_or_saveexec_b64 s[18:19], s[18:19]
                                        ; implicit-def: $sgpr21
	s_xor_b64 exec, exec, s[18:19]
	s_cbranch_execnz .LBB86_1800
.LBB86_1700:
	s_or_b64 exec, exec, s[18:19]
	v_mov_b32_e32 v5, s21
	s_and_saveexec_b64 s[18:19], s[12:13]
.LBB86_1701:
	v_lshrrev_b32_e32 v5, 24, v2
	s_movk_i32 s12, 0x80
	v_and_or_b32 v5, v5, s12, v3
.LBB86_1702:
	s_or_b64 exec, exec, s[18:19]
.LBB86_1703:
	s_or_b64 exec, exec, s[10:11]
	global_store_byte v[0:1], v5, off
.LBB86_1704:
	s_mov_b64 s[10:11], -1
.LBB86_1705:
	s_mov_b64 s[12:13], 0
.LBB86_1706:
	s_and_b64 vcc, exec, s[12:13]
	s_cbranch_vccz .LBB86_1746
; %bb.1707:
	v_mov_b32_e32 v3, 22
	v_cmp_gt_i16_sdwa s[12:13], s3, v3 src0_sel:BYTE_0 src1_sel:DWORD
	s_mov_b64 s[4:5], -1
	s_and_b64 vcc, exec, s[12:13]
	s_cbranch_vccz .LBB86_1739
; %bb.1708:
	v_mov_b32_e32 v3, 24
	v_cmp_lt_i16_sdwa s[10:11], s3, v3 src0_sel:BYTE_0 src1_sel:DWORD
	s_and_b64 vcc, exec, s[10:11]
	s_cbranch_vccnz .LBB86_1728
; %bb.1709:
	v_cmp_gt_i16_sdwa s[10:11], s3, v3 src0_sel:BYTE_0 src1_sel:DWORD
	s_and_b64 vcc, exec, s[10:11]
	s_cbranch_vccz .LBB86_1717
; %bb.1710:
	v_and_b32_e32 v3, 0x7fffffff, v6
	s_mov_b32 s4, 0x47800000
	v_cmp_gt_u32_e32 vcc, s4, v3
	v_mov_b32_e32 v5, 0x80
	s_and_saveexec_b64 s[4:5], vcc
	s_cbranch_execz .LBB86_1716
; %bb.1711:
	s_mov_b32 s10, 0x37ffffff
	v_cmp_lt_u32_e32 vcc, s10, v3
	s_mov_b64 s[10:11], 0
                                        ; implicit-def: $vgpr3
	s_and_saveexec_b64 s[12:13], vcc
	s_xor_b64 s[12:13], exec, s[12:13]
	s_cbranch_execz .LBB86_1803
; %bb.1712:
	v_bfe_u32 v3, v2, 21, 1
	s_mov_b32 s18, 0x88fffff
	v_add3_u32 v3, v2, v3, s18
	s_mov_b64 s[10:11], exec
	v_lshrrev_b32_e32 v3, 21, v3
	s_or_saveexec_b64 s[12:13], s[12:13]
                                        ; implicit-def: $sgpr18
	s_xor_b64 exec, exec, s[12:13]
	s_cbranch_execnz .LBB86_1804
.LBB86_1713:
	s_or_b64 exec, exec, s[12:13]
	v_mov_b32_e32 v5, s18
	s_and_saveexec_b64 s[12:13], s[10:11]
.LBB86_1714:
	v_lshrrev_b32_e32 v5, 24, v2
	s_movk_i32 s10, 0x80
	v_and_or_b32 v5, v5, s10, v3
.LBB86_1715:
	s_or_b64 exec, exec, s[12:13]
.LBB86_1716:
	s_or_b64 exec, exec, s[4:5]
	s_mov_b64 s[4:5], 0
	global_store_byte v[0:1], v5, off
.LBB86_1717:
	s_and_b64 vcc, exec, s[4:5]
	s_cbranch_vccz .LBB86_1727
; %bb.1718:
	v_and_b32_e32 v5, 0x7fffffff, v6
	s_mov_b32 s4, 0x43f00000
	v_cmp_gt_u32_e32 vcc, s4, v5
                                        ; implicit-def: $vgpr3
	s_and_saveexec_b64 s[4:5], vcc
	s_xor_b64 s[4:5], exec, s[4:5]
	s_cbranch_execz .LBB86_1724
; %bb.1719:
	s_mov_b32 s10, 0x3c7fffff
	v_cmp_lt_u32_e32 vcc, s10, v5
                                        ; implicit-def: $vgpr3
	s_and_saveexec_b64 s[10:11], vcc
	s_xor_b64 s[10:11], exec, s[10:11]
; %bb.1720:
	v_bfe_u32 v3, v2, 20, 1
	s_mov_b32 s12, 0x407ffff
	v_add3_u32 v3, v2, v3, s12
	v_lshrrev_b32_e32 v5, 20, v3
	v_and_b32_e32 v3, 0xff00000, v3
	s_mov_b32 s12, 0x7f00000
	v_mov_b32_e32 v9, 0x7e
	v_cmp_ne_u32_e32 vcc, s12, v3
	v_cndmask_b32_e32 v3, v9, v5, vcc
; %bb.1721:
	s_andn2_saveexec_b64 s[10:11], s[10:11]
; %bb.1722:
	s_mov_b32 s12, 0x46800000
	v_add_f32_e64 v3, |v6|, s12
; %bb.1723:
	s_or_b64 exec, exec, s[10:11]
                                        ; implicit-def: $vgpr5
.LBB86_1724:
	s_andn2_saveexec_b64 s[4:5], s[4:5]
; %bb.1725:
	s_mov_b32 s10, 0x7f800000
	v_mov_b32_e32 v3, 0x7e
	v_mov_b32_e32 v9, 0x7f
	v_cmp_lt_u32_e32 vcc, s10, v5
	v_cndmask_b32_e32 v3, v3, v9, vcc
; %bb.1726:
	s_or_b64 exec, exec, s[4:5]
	v_lshrrev_b32_e32 v5, 24, v2
	s_movk_i32 s4, 0x80
	v_and_or_b32 v3, v5, s4, v3
	global_store_byte v[0:1], v3, off
.LBB86_1727:
	s_mov_b64 s[4:5], 0
.LBB86_1728:
	s_andn2_b64 vcc, exec, s[4:5]
	s_cbranch_vccnz .LBB86_1738
; %bb.1729:
	v_and_b32_e32 v5, 0x7fffffff, v6
	s_mov_b32 s4, 0x47800000
	v_cmp_gt_u32_e32 vcc, s4, v5
                                        ; implicit-def: $vgpr3
	s_and_saveexec_b64 s[4:5], vcc
	s_xor_b64 s[4:5], exec, s[4:5]
	s_cbranch_execz .LBB86_1735
; %bb.1730:
	s_mov_b32 s10, 0x387fffff
	v_cmp_lt_u32_e32 vcc, s10, v5
                                        ; implicit-def: $vgpr3
	s_and_saveexec_b64 s[10:11], vcc
	s_xor_b64 s[10:11], exec, s[10:11]
; %bb.1731:
	v_bfe_u32 v3, v2, 21, 1
	s_mov_b32 s12, 0x80fffff
	v_add3_u32 v3, v2, v3, s12
	v_lshrrev_b32_e32 v3, 21, v3
                                        ; implicit-def: $vgpr6
; %bb.1732:
	s_andn2_saveexec_b64 s[10:11], s[10:11]
; %bb.1733:
	s_mov_b32 s12, 0x43000000
	v_add_f32_e64 v3, |v6|, s12
; %bb.1734:
	s_or_b64 exec, exec, s[10:11]
                                        ; implicit-def: $vgpr5
.LBB86_1735:
	s_andn2_saveexec_b64 s[4:5], s[4:5]
; %bb.1736:
	s_mov_b32 s10, 0x7f800000
	v_mov_b32_e32 v3, 0x7c
	v_mov_b32_e32 v6, 0x7f
	v_cmp_lt_u32_e32 vcc, s10, v5
	v_cndmask_b32_e32 v3, v3, v6, vcc
; %bb.1737:
	s_or_b64 exec, exec, s[4:5]
	v_lshrrev_b32_e32 v5, 24, v2
	s_movk_i32 s4, 0x80
	v_and_or_b32 v3, v5, s4, v3
	global_store_byte v[0:1], v3, off
.LBB86_1738:
	s_mov_b64 s[4:5], 0
	s_mov_b64 s[10:11], -1
.LBB86_1739:
	s_andn2_b64 vcc, exec, s[4:5]
	s_mov_b64 s[4:5], 0
	s_cbranch_vccnz .LBB86_1746
; %bb.1740:
	v_mov_b32_e32 v3, 14
	v_cmp_gt_i16_sdwa s[4:5], s3, v3 src0_sel:BYTE_0 src1_sel:DWORD
	s_mov_b64 s[12:13], -1
	s_and_b64 vcc, exec, s[4:5]
	s_cbranch_vccz .LBB86_1744
; %bb.1741:
	v_mov_b32_e32 v3, 15
	v_cmp_eq_u16_sdwa s[4:5], s3, v3 src0_sel:BYTE_0 src1_sel:DWORD
	s_mov_b64 s[0:1], -1
	s_and_b64 vcc, exec, s[4:5]
	s_cbranch_vccz .LBB86_1743
; %bb.1742:
	v_bfe_u32 v3, v2, 16, 1
	s_movk_i32 s0, 0x7fff
	v_add3_u32 v3, v2, v3, s0
	v_lshrrev_b32_e32 v3, 16, v3
	v_mov_b32_e32 v5, 0x7fc0
	v_cmp_o_f32_e32 vcc, v2, v2
	v_cndmask_b32_e32 v3, v5, v3, vcc
	global_store_short v[0:1], v3, off
	s_mov_b64 s[0:1], 0
	s_mov_b64 s[10:11], -1
.LBB86_1743:
	s_mov_b64 s[12:13], 0
.LBB86_1744:
	s_mov_b64 s[4:5], 0
	s_and_b64 vcc, exec, s[12:13]
	s_cbranch_vccz .LBB86_1746
; %bb.1745:
	v_mov_b32_e32 v3, 11
	v_cmp_ne_u16_sdwa s[0:1], s3, v3 src0_sel:BYTE_0 src1_sel:DWORD
	s_mov_b64 s[4:5], -1
.LBB86_1746:
	s_and_b64 vcc, exec, s[0:1]
	s_cbranch_vccnz .LBB86_1802
; %bb.1747:
	s_andn2_b64 vcc, exec, s[4:5]
	s_cbranch_vccnz .LBB86_1749
.LBB86_1748:
	v_cmp_neq_f32_e32 vcc, 0, v2
	v_cndmask_b32_e64 v3, 0, 1, vcc
	s_mov_b64 s[10:11], -1
	global_store_byte v[0:1], v3, off
.LBB86_1749:
	s_mov_b64 s[0:1], 0
.LBB86_1750:
	s_and_b64 vcc, exec, s[0:1]
	s_cbranch_vccz .LBB86_1789
; %bb.1751:
	v_mov_b32_e32 v3, 5
	v_cmp_lt_i16_sdwa s[4:5], s3, v3 src0_sel:BYTE_0 src1_sel:DWORD
	s_mov_b64 s[0:1], -1
	s_and_b64 vcc, exec, s[4:5]
	s_cbranch_vccnz .LBB86_1772
; %bb.1752:
	v_mov_b32_e32 v3, 8
	v_cmp_lt_i16_sdwa s[4:5], s3, v3 src0_sel:BYTE_0 src1_sel:DWORD
	s_and_b64 vcc, exec, s[4:5]
	s_cbranch_vccnz .LBB86_1762
; %bb.1753:
	v_mov_b32_e32 v3, 9
	v_cmp_lt_i16_sdwa s[4:5], s3, v3 src0_sel:BYTE_0 src1_sel:DWORD
	s_and_b64 vcc, exec, s[4:5]
	s_cbranch_vccnz .LBB86_1759
; %bb.1754:
	v_cmp_gt_i16_sdwa s[4:5], s3, v3 src0_sel:BYTE_0 src1_sel:DWORD
	s_and_b64 vcc, exec, s[4:5]
	s_cbranch_vccz .LBB86_1756
; %bb.1755:
	v_mov_b32_e32 v12, 0
	v_cvt_f64_f32_e32 v[10:11], v2
	v_mov_b32_e32 v13, v12
	global_store_dwordx4 v[0:1], v[10:13], off
	s_mov_b64 s[0:1], 0
.LBB86_1756:
	s_andn2_b64 vcc, exec, s[0:1]
	s_cbranch_vccnz .LBB86_1758
; %bb.1757:
	v_mov_b32_e32 v3, 0
	global_store_dwordx2 v[0:1], v[2:3], off
.LBB86_1758:
	s_mov_b64 s[0:1], 0
.LBB86_1759:
	s_andn2_b64 vcc, exec, s[0:1]
	s_cbranch_vccnz .LBB86_1761
; %bb.1760:
	v_cvt_f16_f32_e32 v3, v2
	global_store_dword v[0:1], v3, off
.LBB86_1761:
	s_mov_b64 s[0:1], 0
.LBB86_1762:
	s_andn2_b64 vcc, exec, s[0:1]
	s_cbranch_vccnz .LBB86_1771
; %bb.1763:
	v_mov_b32_e32 v3, 6
	v_cmp_lt_i16_sdwa s[4:5], s3, v3 src0_sel:BYTE_0 src1_sel:DWORD
	s_mov_b64 s[0:1], -1
	s_and_b64 vcc, exec, s[4:5]
	s_cbranch_vccnz .LBB86_1769
; %bb.1764:
	v_cmp_gt_i16_sdwa s[4:5], s3, v3 src0_sel:BYTE_0 src1_sel:DWORD
	s_and_b64 vcc, exec, s[4:5]
	s_cbranch_vccz .LBB86_1766
; %bb.1765:
	v_cvt_f64_f32_e32 v[10:11], v2
	global_store_dwordx2 v[0:1], v[10:11], off
	s_mov_b64 s[0:1], 0
.LBB86_1766:
	s_andn2_b64 vcc, exec, s[0:1]
	s_cbranch_vccnz .LBB86_1768
; %bb.1767:
	global_store_dword v[0:1], v2, off
.LBB86_1768:
	s_mov_b64 s[0:1], 0
.LBB86_1769:
	s_andn2_b64 vcc, exec, s[0:1]
	s_cbranch_vccnz .LBB86_1771
; %bb.1770:
	v_cvt_f16_f32_e32 v3, v2
	global_store_short v[0:1], v3, off
.LBB86_1771:
	s_mov_b64 s[0:1], 0
.LBB86_1772:
	s_andn2_b64 vcc, exec, s[0:1]
	s_cbranch_vccnz .LBB86_1788
; %bb.1773:
	v_mov_b32_e32 v3, 2
	v_cmp_lt_i16_sdwa s[4:5], s3, v3 src0_sel:BYTE_0 src1_sel:DWORD
	s_mov_b64 s[0:1], -1
	s_and_b64 vcc, exec, s[4:5]
	s_cbranch_vccnz .LBB86_1783
; %bb.1774:
	v_mov_b32_e32 v3, 3
	v_cmp_lt_i16_sdwa s[4:5], s3, v3 src0_sel:BYTE_0 src1_sel:DWORD
	s_and_b64 vcc, exec, s[4:5]
	s_cbranch_vccnz .LBB86_1780
; %bb.1775:
	v_cmp_gt_i16_sdwa s[4:5], s3, v3 src0_sel:BYTE_0 src1_sel:DWORD
	s_and_b64 vcc, exec, s[4:5]
	s_cbranch_vccz .LBB86_1777
; %bb.1776:
	v_trunc_f32_e32 v3, v2
	s_mov_b32 s0, 0x2f800000
	v_mul_f32_e64 v5, |v3|, s0
	v_floor_f32_e32 v5, v5
	s_mov_b32 s0, 0xcf800000
	v_cvt_u32_f32_e32 v6, v5
	v_fma_f32 v5, v5, s0, |v3|
	v_cvt_u32_f32_e32 v5, v5
	v_ashrrev_i32_e32 v3, 31, v3
	v_xor_b32_e32 v6, v6, v3
	s_mov_b64 s[0:1], 0
	v_xor_b32_e32 v5, v5, v3
	v_sub_co_u32_e32 v10, vcc, v5, v3
	v_subb_co_u32_e32 v11, vcc, v6, v3, vcc
	global_store_dwordx2 v[0:1], v[10:11], off
.LBB86_1777:
	s_andn2_b64 vcc, exec, s[0:1]
	s_cbranch_vccnz .LBB86_1779
; %bb.1778:
	v_cvt_i32_f32_e32 v3, v2
	global_store_dword v[0:1], v3, off
.LBB86_1779:
	s_mov_b64 s[0:1], 0
.LBB86_1780:
	s_andn2_b64 vcc, exec, s[0:1]
	s_cbranch_vccnz .LBB86_1782
; %bb.1781:
	v_cvt_i32_f32_e32 v3, v2
	global_store_short v[0:1], v3, off
.LBB86_1782:
	s_mov_b64 s[0:1], 0
.LBB86_1783:
	s_andn2_b64 vcc, exec, s[0:1]
	s_cbranch_vccnz .LBB86_1788
; %bb.1784:
	v_mov_b32_e32 v3, 0
	v_cmp_gt_i16_sdwa s[4:5], s3, v3 src0_sel:BYTE_0 src1_sel:DWORD
	s_mov_b64 s[0:1], -1
	s_and_b64 vcc, exec, s[4:5]
	s_cbranch_vccz .LBB86_1786
; %bb.1785:
	v_cvt_i32_f32_e32 v3, v2
	s_mov_b64 s[0:1], 0
	global_store_byte v[0:1], v3, off
.LBB86_1786:
	s_andn2_b64 vcc, exec, s[0:1]
	s_cbranch_vccnz .LBB86_1788
; %bb.1787:
	v_trunc_f32_e32 v2, v2
	s_mov_b32 s0, 0x2f800000
	v_mul_f32_e64 v3, |v2|, s0
	v_floor_f32_e32 v3, v3
	s_mov_b32 s0, 0xcf800000
	v_fma_f32 v3, v3, s0, |v2|
	v_cvt_u32_f32_e32 v3, v3
	v_ashrrev_i32_e32 v2, 31, v2
	v_xor_b32_e32 v3, v3, v2
	v_sub_u32_e32 v2, v3, v2
	global_store_byte v[0:1], v2, off
.LBB86_1788:
	s_mov_b64 s[10:11], -1
.LBB86_1789:
	s_andn2_b64 vcc, exec, s[10:11]
	s_cbranch_vccnz .LBB86_1993
; %bb.1790:
	s_brev_b32 s0, -2
	v_mov_b32_e32 v0, s2
	v_add_u32_e32 v4, s20, v4
	v_bfi_b32 v2, s0, v7, v0
	v_ashrrev_i32_e32 v1, 31, v4
	v_mov_b32_e32 v3, s9
	v_add_co_u32_e32 v0, vcc, s8, v4
	v_addc_co_u32_e32 v1, vcc, v3, v1, vcc
	v_mov_b32_e32 v3, 11
	v_cmp_lt_i16_sdwa s[0:1], s3, v3 src0_sel:BYTE_0 src1_sel:DWORD
	s_and_b64 vcc, exec, s[0:1]
	s_cbranch_vccnz .LBB86_1797
; %bb.1791:
	v_mov_b32_e32 v3, 25
	v_cmp_gt_i16_sdwa s[0:1], s3, v3 src0_sel:BYTE_0 src1_sel:DWORD
	s_mov_b64 s[12:13], -1
	s_mov_b64 s[4:5], 0
	s_and_b64 vcc, exec, s[0:1]
	s_mov_b64 s[10:11], 0
	s_mov_b64 s[0:1], 0
	s_cbranch_vccz .LBB86_1833
; %bb.1792:
	v_mov_b32_e32 v3, 28
	v_cmp_gt_i16_sdwa s[0:1], s3, v3 src0_sel:BYTE_0 src1_sel:DWORD
	s_and_b64 vcc, exec, s[0:1]
	s_cbranch_vccz .LBB86_1798
; %bb.1793:
	v_mov_b32_e32 v3, 43
	v_cmp_gt_i16_sdwa s[0:1], s3, v3 src0_sel:BYTE_0 src1_sel:DWORD
	s_and_b64 vcc, exec, s[0:1]
	;; [unrolled: 5-line block ×3, first 2 shown]
	s_cbranch_vccz .LBB86_1805
; %bb.1795:
	v_mov_b32_e32 v3, 46
	v_cmp_eq_u16_sdwa s[10:11], s3, v3 src0_sel:BYTE_0 src1_sel:DWORD
	s_mov_b64 s[0:1], -1
	s_mov_b64 s[12:13], 0
	s_and_b64 vcc, exec, s[10:11]
	s_mov_b64 s[10:11], 0
	s_cbranch_vccz .LBB86_1806
; %bb.1796:
	v_bfe_u32 v3, v2, 16, 1
	s_movk_i32 s0, 0x7fff
	v_add3_u32 v3, v2, v3, s0
	v_lshrrev_b32_e32 v3, 16, v3
	v_mov_b32_e32 v5, 0x7fc0
	v_cmp_o_f32_e32 vcc, v2, v2
	v_cndmask_b32_e32 v3, v5, v3, vcc
	global_store_dword v[0:1], v3, off
	s_mov_b64 s[0:1], 0
	s_mov_b64 s[10:11], -1
	s_branch .LBB86_1806
.LBB86_1797:
	s_mov_b64 s[0:1], -1
	s_mov_b64 s[10:11], 0
	s_branch .LBB86_1877
.LBB86_1798:
	s_mov_b64 s[0:1], 0
	s_branch .LBB86_1816
.LBB86_1799:
	s_or_saveexec_b64 s[18:19], s[18:19]
                                        ; implicit-def: $sgpr21
	s_xor_b64 exec, exec, s[18:19]
	s_cbranch_execz .LBB86_1700
.LBB86_1800:
	s_mov_b32 s21, 0x46000000
	v_add_f32_e64 v3, |v6|, s21
	v_and_b32_e32 v3, 0xff, v3
	v_cmp_ne_u32_e32 vcc, 0, v3
	s_andn2_b64 s[12:13], s[12:13], exec
	s_and_b64 s[22:23], vcc, exec
	s_mov_b32 s21, 0
	s_or_b64 s[12:13], s[12:13], s[22:23]
	s_or_b64 exec, exec, s[18:19]
	v_mov_b32_e32 v5, s21
	s_and_saveexec_b64 s[18:19], s[12:13]
	s_cbranch_execnz .LBB86_1701
	s_branch .LBB86_1702
.LBB86_1801:
	s_mov_b64 s[0:1], 0
	s_branch .LBB86_1812
.LBB86_1802:
	s_trap 2
	s_or_b64 s[16:17], s[16:17], exec
	s_cbranch_execz .LBB86_1748
	s_branch .LBB86_1749
.LBB86_1803:
	s_or_saveexec_b64 s[12:13], s[12:13]
                                        ; implicit-def: $sgpr18
	s_xor_b64 exec, exec, s[12:13]
	s_cbranch_execz .LBB86_1713
.LBB86_1804:
	s_mov_b32 s18, 0x42800000
	v_add_f32_e64 v3, |v6|, s18
	v_and_b32_e32 v3, 0xff, v3
	v_cmp_ne_u32_e32 vcc, 0, v3
	s_andn2_b64 s[10:11], s[10:11], exec
	s_and_b64 s[22:23], vcc, exec
	s_mov_b32 s18, 0
	s_or_b64 s[10:11], s[10:11], s[22:23]
	s_or_b64 exec, exec, s[12:13]
	v_mov_b32_e32 v5, s18
	s_and_saveexec_b64 s[12:13], s[10:11]
	s_cbranch_execnz .LBB86_1714
	s_branch .LBB86_1715
.LBB86_1805:
	s_mov_b64 s[0:1], 0
.LBB86_1806:
	s_and_b64 vcc, exec, s[12:13]
	s_cbranch_vccz .LBB86_1811
; %bb.1807:
	v_mov_b32_e32 v3, 44
	v_cmp_eq_u16_sdwa s[12:13], s3, v3 src0_sel:BYTE_0 src1_sel:DWORD
	s_mov_b64 s[0:1], -1
	s_and_b64 vcc, exec, s[12:13]
	s_cbranch_vccz .LBB86_1811
; %bb.1808:
	v_bfe_u32 v3, v2, 23, 8
	s_movk_i32 s0, 0xff
	v_cmp_ne_u32_e32 vcc, s0, v3
	v_mov_b32_e32 v5, 0xff
	s_and_saveexec_b64 s[10:11], vcc
; %bb.1809:
	s_mov_b32 s0, 0x3fffff
	v_and_b32_e32 v6, 0x400000, v2
	v_and_or_b32 v3, v2, s0, v3
	v_cmp_ne_u32_e32 vcc, 0, v6
	v_cmp_ne_u32_e64 s[0:1], 0, v3
	s_and_b64 s[0:1], vcc, s[0:1]
	v_lshrrev_b32_e32 v5, 23, v2
	v_cndmask_b32_e64 v3, 0, 1, s[0:1]
	v_add_u32_e32 v5, v5, v3
; %bb.1810:
	s_or_b64 exec, exec, s[10:11]
	s_mov_b64 s[0:1], 0
	s_mov_b64 s[10:11], -1
	global_store_byte v[0:1], v5, off
.LBB86_1811:
	s_mov_b64 s[12:13], 0
.LBB86_1812:
	s_and_b64 vcc, exec, s[12:13]
	s_cbranch_vccz .LBB86_1815
; %bb.1813:
	v_mov_b32_e32 v3, 29
	v_cmp_eq_u16_sdwa s[12:13], s3, v3 src0_sel:BYTE_0 src1_sel:DWORD
	s_mov_b64 s[0:1], -1
	s_and_b64 vcc, exec, s[12:13]
	s_cbranch_vccz .LBB86_1815
; %bb.1814:
	v_trunc_f32_e32 v3, v2
	v_mul_f32_e32 v5, 0x2f800000, v3
	v_floor_f32_e32 v5, v5
	v_fmac_f32_e32 v3, 0xcf800000, v5
	v_cvt_u32_f32_e32 v11, v5
	v_cvt_u32_f32_e32 v10, v3
	s_mov_b64 s[0:1], 0
	s_mov_b64 s[10:11], -1
	s_mov_b64 s[12:13], 0
	global_store_dwordx2 v[0:1], v[10:11], off
	s_branch .LBB86_1816
.LBB86_1815:
	s_mov_b64 s[12:13], 0
.LBB86_1816:
	s_and_b64 vcc, exec, s[12:13]
	s_cbranch_vccz .LBB86_1832
; %bb.1817:
	v_mov_b32_e32 v3, 27
	v_cmp_lt_i16_sdwa s[12:13], s3, v3 src0_sel:BYTE_0 src1_sel:DWORD
	s_mov_b64 s[10:11], -1
	s_and_b64 vcc, exec, s[12:13]
	s_cbranch_vccnz .LBB86_1823
; %bb.1818:
	v_cmp_gt_i16_sdwa s[12:13], s3, v3 src0_sel:BYTE_0 src1_sel:DWORD
	v_cvt_u32_f32_e32 v3, v2
	s_and_b64 vcc, exec, s[12:13]
	s_cbranch_vccz .LBB86_1820
; %bb.1819:
	s_mov_b64 s[10:11], 0
	global_store_dword v[0:1], v3, off
.LBB86_1820:
	s_andn2_b64 vcc, exec, s[10:11]
	s_cbranch_vccnz .LBB86_1822
; %bb.1821:
	global_store_short v[0:1], v3, off
.LBB86_1822:
	s_mov_b64 s[10:11], 0
.LBB86_1823:
	s_andn2_b64 vcc, exec, s[10:11]
	s_cbranch_vccnz .LBB86_1831
; %bb.1824:
	v_and_b32_e32 v3, 0x7fffffff, v7
	s_mov_b32 s10, 0x43800000
	v_cmp_gt_u32_e32 vcc, s10, v3
	v_mov_b32_e32 v5, 0x80
	s_and_saveexec_b64 s[10:11], vcc
	s_cbranch_execz .LBB86_1830
; %bb.1825:
	s_mov_b32 s12, 0x3bffffff
	v_cmp_lt_u32_e32 vcc, s12, v3
	s_mov_b64 s[12:13], 0
                                        ; implicit-def: $vgpr3
	s_and_saveexec_b64 s[18:19], vcc
	s_xor_b64 s[18:19], exec, s[18:19]
	s_cbranch_execz .LBB86_2039
; %bb.1826:
	v_bfe_u32 v3, v2, 20, 1
	s_mov_b32 s21, 0x487ffff
	v_add3_u32 v3, v2, v3, s21
	s_mov_b64 s[12:13], exec
	v_lshrrev_b32_e32 v3, 20, v3
	s_or_saveexec_b64 s[18:19], s[18:19]
                                        ; implicit-def: $sgpr21
	s_xor_b64 exec, exec, s[18:19]
	s_cbranch_execnz .LBB86_2040
.LBB86_1827:
	s_or_b64 exec, exec, s[18:19]
	v_mov_b32_e32 v5, s21
	s_and_saveexec_b64 s[18:19], s[12:13]
.LBB86_1828:
	v_lshrrev_b32_e32 v5, 24, v2
	s_movk_i32 s12, 0x80
	v_and_or_b32 v5, v5, s12, v3
.LBB86_1829:
	s_or_b64 exec, exec, s[18:19]
.LBB86_1830:
	s_or_b64 exec, exec, s[10:11]
	global_store_byte v[0:1], v5, off
.LBB86_1831:
	s_mov_b64 s[10:11], -1
.LBB86_1832:
	s_mov_b64 s[12:13], 0
.LBB86_1833:
	s_and_b64 vcc, exec, s[12:13]
	s_cbranch_vccz .LBB86_1873
; %bb.1834:
	v_mov_b32_e32 v3, 22
	v_cmp_gt_i16_sdwa s[12:13], s3, v3 src0_sel:BYTE_0 src1_sel:DWORD
	s_mov_b64 s[4:5], -1
	s_and_b64 vcc, exec, s[12:13]
	s_cbranch_vccz .LBB86_1866
; %bb.1835:
	v_mov_b32_e32 v3, 24
	v_cmp_lt_i16_sdwa s[10:11], s3, v3 src0_sel:BYTE_0 src1_sel:DWORD
	s_and_b64 vcc, exec, s[10:11]
	s_cbranch_vccnz .LBB86_1855
; %bb.1836:
	v_cmp_gt_i16_sdwa s[10:11], s3, v3 src0_sel:BYTE_0 src1_sel:DWORD
	s_and_b64 vcc, exec, s[10:11]
	s_cbranch_vccz .LBB86_1844
; %bb.1837:
	v_and_b32_e32 v3, 0x7fffffff, v7
	s_mov_b32 s4, 0x47800000
	v_cmp_gt_u32_e32 vcc, s4, v3
	v_mov_b32_e32 v5, 0x80
	s_and_saveexec_b64 s[4:5], vcc
	s_cbranch_execz .LBB86_1843
; %bb.1838:
	s_mov_b32 s10, 0x37ffffff
	v_cmp_lt_u32_e32 vcc, s10, v3
	s_mov_b64 s[10:11], 0
                                        ; implicit-def: $vgpr3
	s_and_saveexec_b64 s[12:13], vcc
	s_xor_b64 s[12:13], exec, s[12:13]
	s_cbranch_execz .LBB86_2042
; %bb.1839:
	v_bfe_u32 v3, v2, 21, 1
	s_mov_b32 s18, 0x88fffff
	v_add3_u32 v3, v2, v3, s18
	s_mov_b64 s[10:11], exec
	v_lshrrev_b32_e32 v3, 21, v3
	s_or_saveexec_b64 s[12:13], s[12:13]
                                        ; implicit-def: $sgpr18
	s_xor_b64 exec, exec, s[12:13]
	s_cbranch_execnz .LBB86_2043
.LBB86_1840:
	s_or_b64 exec, exec, s[12:13]
	v_mov_b32_e32 v5, s18
	s_and_saveexec_b64 s[12:13], s[10:11]
.LBB86_1841:
	v_lshrrev_b32_e32 v5, 24, v2
	s_movk_i32 s10, 0x80
	v_and_or_b32 v5, v5, s10, v3
.LBB86_1842:
	s_or_b64 exec, exec, s[12:13]
.LBB86_1843:
	s_or_b64 exec, exec, s[4:5]
	s_mov_b64 s[4:5], 0
	global_store_byte v[0:1], v5, off
.LBB86_1844:
	s_and_b64 vcc, exec, s[4:5]
	s_cbranch_vccz .LBB86_1854
; %bb.1845:
	v_and_b32_e32 v5, 0x7fffffff, v7
	s_mov_b32 s4, 0x43f00000
	v_cmp_gt_u32_e32 vcc, s4, v5
                                        ; implicit-def: $vgpr3
	s_and_saveexec_b64 s[4:5], vcc
	s_xor_b64 s[4:5], exec, s[4:5]
	s_cbranch_execz .LBB86_1851
; %bb.1846:
	s_mov_b32 s10, 0x3c7fffff
	v_cmp_lt_u32_e32 vcc, s10, v5
                                        ; implicit-def: $vgpr3
	s_and_saveexec_b64 s[10:11], vcc
	s_xor_b64 s[10:11], exec, s[10:11]
; %bb.1847:
	v_bfe_u32 v3, v2, 20, 1
	s_mov_b32 s12, 0x407ffff
	v_add3_u32 v3, v2, v3, s12
	v_lshrrev_b32_e32 v5, 20, v3
	v_and_b32_e32 v3, 0xff00000, v3
	s_mov_b32 s12, 0x7f00000
	v_mov_b32_e32 v6, 0x7e
	v_cmp_ne_u32_e32 vcc, s12, v3
	v_cndmask_b32_e32 v3, v6, v5, vcc
; %bb.1848:
	s_andn2_saveexec_b64 s[10:11], s[10:11]
; %bb.1849:
	s_mov_b32 s12, 0x46800000
	v_add_f32_e64 v3, |v7|, s12
; %bb.1850:
	s_or_b64 exec, exec, s[10:11]
                                        ; implicit-def: $vgpr5
.LBB86_1851:
	s_andn2_saveexec_b64 s[4:5], s[4:5]
; %bb.1852:
	s_mov_b32 s10, 0x7f800000
	v_mov_b32_e32 v3, 0x7e
	v_mov_b32_e32 v6, 0x7f
	v_cmp_lt_u32_e32 vcc, s10, v5
	v_cndmask_b32_e32 v3, v3, v6, vcc
; %bb.1853:
	s_or_b64 exec, exec, s[4:5]
	v_lshrrev_b32_e32 v5, 24, v2
	s_movk_i32 s4, 0x80
	v_and_or_b32 v3, v5, s4, v3
	global_store_byte v[0:1], v3, off
.LBB86_1854:
	s_mov_b64 s[4:5], 0
.LBB86_1855:
	s_andn2_b64 vcc, exec, s[4:5]
	s_cbranch_vccnz .LBB86_1865
; %bb.1856:
	v_and_b32_e32 v5, 0x7fffffff, v7
	s_mov_b32 s4, 0x47800000
	v_cmp_gt_u32_e32 vcc, s4, v5
                                        ; implicit-def: $vgpr3
	s_and_saveexec_b64 s[4:5], vcc
	s_xor_b64 s[4:5], exec, s[4:5]
	s_cbranch_execz .LBB86_1862
; %bb.1857:
	s_mov_b32 s10, 0x387fffff
	v_cmp_lt_u32_e32 vcc, s10, v5
                                        ; implicit-def: $vgpr3
	s_and_saveexec_b64 s[10:11], vcc
	s_xor_b64 s[10:11], exec, s[10:11]
; %bb.1858:
	v_bfe_u32 v3, v2, 21, 1
	s_mov_b32 s12, 0x80fffff
	v_add3_u32 v3, v2, v3, s12
	v_lshrrev_b32_e32 v3, 21, v3
                                        ; implicit-def: $vgpr7
; %bb.1859:
	s_andn2_saveexec_b64 s[10:11], s[10:11]
; %bb.1860:
	s_mov_b32 s12, 0x43000000
	v_add_f32_e64 v3, |v7|, s12
; %bb.1861:
	s_or_b64 exec, exec, s[10:11]
                                        ; implicit-def: $vgpr5
.LBB86_1862:
	s_andn2_saveexec_b64 s[4:5], s[4:5]
; %bb.1863:
	s_mov_b32 s10, 0x7f800000
	v_mov_b32_e32 v3, 0x7c
	v_mov_b32_e32 v6, 0x7f
	v_cmp_lt_u32_e32 vcc, s10, v5
	v_cndmask_b32_e32 v3, v3, v6, vcc
; %bb.1864:
	s_or_b64 exec, exec, s[4:5]
	v_lshrrev_b32_e32 v5, 24, v2
	s_movk_i32 s4, 0x80
	v_and_or_b32 v3, v5, s4, v3
	global_store_byte v[0:1], v3, off
.LBB86_1865:
	s_mov_b64 s[4:5], 0
	s_mov_b64 s[10:11], -1
.LBB86_1866:
	s_andn2_b64 vcc, exec, s[4:5]
	s_mov_b64 s[4:5], 0
	s_cbranch_vccnz .LBB86_1873
; %bb.1867:
	v_mov_b32_e32 v3, 14
	v_cmp_gt_i16_sdwa s[4:5], s3, v3 src0_sel:BYTE_0 src1_sel:DWORD
	s_mov_b64 s[12:13], -1
	s_and_b64 vcc, exec, s[4:5]
	s_cbranch_vccz .LBB86_1871
; %bb.1868:
	v_mov_b32_e32 v3, 15
	v_cmp_eq_u16_sdwa s[4:5], s3, v3 src0_sel:BYTE_0 src1_sel:DWORD
	s_mov_b64 s[0:1], -1
	s_and_b64 vcc, exec, s[4:5]
	s_cbranch_vccz .LBB86_1870
; %bb.1869:
	v_bfe_u32 v3, v2, 16, 1
	s_movk_i32 s0, 0x7fff
	v_add3_u32 v3, v2, v3, s0
	v_lshrrev_b32_e32 v3, 16, v3
	v_mov_b32_e32 v5, 0x7fc0
	v_cmp_o_f32_e32 vcc, v2, v2
	v_cndmask_b32_e32 v3, v5, v3, vcc
	global_store_short v[0:1], v3, off
	s_mov_b64 s[0:1], 0
	s_mov_b64 s[10:11], -1
.LBB86_1870:
	s_mov_b64 s[12:13], 0
.LBB86_1871:
	s_mov_b64 s[4:5], 0
	s_and_b64 vcc, exec, s[12:13]
	s_cbranch_vccz .LBB86_1873
; %bb.1872:
	v_mov_b32_e32 v3, 11
	v_cmp_ne_u16_sdwa s[0:1], s3, v3 src0_sel:BYTE_0 src1_sel:DWORD
	s_mov_b64 s[4:5], -1
.LBB86_1873:
	s_and_b64 vcc, exec, s[0:1]
	s_cbranch_vccnz .LBB86_2041
; %bb.1874:
	s_andn2_b64 vcc, exec, s[4:5]
	s_cbranch_vccnz .LBB86_1876
.LBB86_1875:
	v_cmp_neq_f32_e32 vcc, 0, v2
	v_cndmask_b32_e64 v3, 0, 1, vcc
	s_mov_b64 s[10:11], -1
	global_store_byte v[0:1], v3, off
.LBB86_1876:
	s_mov_b64 s[0:1], 0
.LBB86_1877:
	s_and_b64 vcc, exec, s[0:1]
	s_cbranch_vccz .LBB86_1916
; %bb.1878:
	v_mov_b32_e32 v3, 5
	v_cmp_lt_i16_sdwa s[4:5], s3, v3 src0_sel:BYTE_0 src1_sel:DWORD
	s_mov_b64 s[0:1], -1
	s_and_b64 vcc, exec, s[4:5]
	s_cbranch_vccnz .LBB86_1899
; %bb.1879:
	v_mov_b32_e32 v3, 8
	v_cmp_lt_i16_sdwa s[4:5], s3, v3 src0_sel:BYTE_0 src1_sel:DWORD
	s_and_b64 vcc, exec, s[4:5]
	s_cbranch_vccnz .LBB86_1889
; %bb.1880:
	v_mov_b32_e32 v3, 9
	v_cmp_lt_i16_sdwa s[4:5], s3, v3 src0_sel:BYTE_0 src1_sel:DWORD
	s_and_b64 vcc, exec, s[4:5]
	s_cbranch_vccnz .LBB86_1886
; %bb.1881:
	v_cmp_gt_i16_sdwa s[4:5], s3, v3 src0_sel:BYTE_0 src1_sel:DWORD
	s_and_b64 vcc, exec, s[4:5]
	s_cbranch_vccz .LBB86_1883
; %bb.1882:
	v_mov_b32_e32 v12, 0
	v_cvt_f64_f32_e32 v[10:11], v2
	v_mov_b32_e32 v13, v12
	global_store_dwordx4 v[0:1], v[10:13], off
	s_mov_b64 s[0:1], 0
.LBB86_1883:
	s_andn2_b64 vcc, exec, s[0:1]
	s_cbranch_vccnz .LBB86_1885
; %bb.1884:
	v_mov_b32_e32 v3, 0
	global_store_dwordx2 v[0:1], v[2:3], off
.LBB86_1885:
	s_mov_b64 s[0:1], 0
.LBB86_1886:
	s_andn2_b64 vcc, exec, s[0:1]
	s_cbranch_vccnz .LBB86_1888
; %bb.1887:
	v_cvt_f16_f32_e32 v3, v2
	global_store_dword v[0:1], v3, off
.LBB86_1888:
	s_mov_b64 s[0:1], 0
.LBB86_1889:
	s_andn2_b64 vcc, exec, s[0:1]
	s_cbranch_vccnz .LBB86_1898
; %bb.1890:
	v_mov_b32_e32 v3, 6
	v_cmp_lt_i16_sdwa s[4:5], s3, v3 src0_sel:BYTE_0 src1_sel:DWORD
	s_mov_b64 s[0:1], -1
	s_and_b64 vcc, exec, s[4:5]
	s_cbranch_vccnz .LBB86_1896
; %bb.1891:
	v_cmp_gt_i16_sdwa s[4:5], s3, v3 src0_sel:BYTE_0 src1_sel:DWORD
	s_and_b64 vcc, exec, s[4:5]
	s_cbranch_vccz .LBB86_1893
; %bb.1892:
	v_cvt_f64_f32_e32 v[6:7], v2
	global_store_dwordx2 v[0:1], v[6:7], off
	s_mov_b64 s[0:1], 0
.LBB86_1893:
	s_andn2_b64 vcc, exec, s[0:1]
	s_cbranch_vccnz .LBB86_1895
; %bb.1894:
	global_store_dword v[0:1], v2, off
.LBB86_1895:
	s_mov_b64 s[0:1], 0
.LBB86_1896:
	s_andn2_b64 vcc, exec, s[0:1]
	s_cbranch_vccnz .LBB86_1898
; %bb.1897:
	v_cvt_f16_f32_e32 v3, v2
	global_store_short v[0:1], v3, off
.LBB86_1898:
	s_mov_b64 s[0:1], 0
.LBB86_1899:
	s_andn2_b64 vcc, exec, s[0:1]
	s_cbranch_vccnz .LBB86_1915
; %bb.1900:
	v_mov_b32_e32 v3, 2
	v_cmp_lt_i16_sdwa s[4:5], s3, v3 src0_sel:BYTE_0 src1_sel:DWORD
	s_mov_b64 s[0:1], -1
	s_and_b64 vcc, exec, s[4:5]
	s_cbranch_vccnz .LBB86_1910
; %bb.1901:
	v_mov_b32_e32 v3, 3
	v_cmp_lt_i16_sdwa s[4:5], s3, v3 src0_sel:BYTE_0 src1_sel:DWORD
	s_and_b64 vcc, exec, s[4:5]
	s_cbranch_vccnz .LBB86_1907
; %bb.1902:
	v_cmp_gt_i16_sdwa s[4:5], s3, v3 src0_sel:BYTE_0 src1_sel:DWORD
	s_and_b64 vcc, exec, s[4:5]
	s_cbranch_vccz .LBB86_1904
; %bb.1903:
	v_trunc_f32_e32 v3, v2
	s_mov_b32 s0, 0x2f800000
	v_mul_f32_e64 v5, |v3|, s0
	v_floor_f32_e32 v5, v5
	s_mov_b32 s0, 0xcf800000
	v_cvt_u32_f32_e32 v6, v5
	v_fma_f32 v5, v5, s0, |v3|
	v_cvt_u32_f32_e32 v5, v5
	v_ashrrev_i32_e32 v3, 31, v3
	v_xor_b32_e32 v7, v6, v3
	s_mov_b64 s[0:1], 0
	v_xor_b32_e32 v5, v5, v3
	v_sub_co_u32_e32 v6, vcc, v5, v3
	v_subb_co_u32_e32 v7, vcc, v7, v3, vcc
	global_store_dwordx2 v[0:1], v[6:7], off
.LBB86_1904:
	s_andn2_b64 vcc, exec, s[0:1]
	s_cbranch_vccnz .LBB86_1906
; %bb.1905:
	v_cvt_i32_f32_e32 v3, v2
	global_store_dword v[0:1], v3, off
.LBB86_1906:
	s_mov_b64 s[0:1], 0
.LBB86_1907:
	s_andn2_b64 vcc, exec, s[0:1]
	s_cbranch_vccnz .LBB86_1909
; %bb.1908:
	v_cvt_i32_f32_e32 v3, v2
	global_store_short v[0:1], v3, off
.LBB86_1909:
	s_mov_b64 s[0:1], 0
.LBB86_1910:
	s_andn2_b64 vcc, exec, s[0:1]
	s_cbranch_vccnz .LBB86_1915
; %bb.1911:
	v_mov_b32_e32 v3, 0
	v_cmp_gt_i16_sdwa s[4:5], s3, v3 src0_sel:BYTE_0 src1_sel:DWORD
	s_mov_b64 s[0:1], -1
	s_and_b64 vcc, exec, s[4:5]
	s_cbranch_vccz .LBB86_1913
; %bb.1912:
	v_cvt_i32_f32_e32 v3, v2
	s_mov_b64 s[0:1], 0
	global_store_byte v[0:1], v3, off
.LBB86_1913:
	s_andn2_b64 vcc, exec, s[0:1]
	s_cbranch_vccnz .LBB86_1915
; %bb.1914:
	v_trunc_f32_e32 v2, v2
	s_mov_b32 s0, 0x2f800000
	v_mul_f32_e64 v3, |v2|, s0
	v_floor_f32_e32 v3, v3
	s_mov_b32 s0, 0xcf800000
	v_fma_f32 v3, v3, s0, |v2|
	v_cvt_u32_f32_e32 v3, v3
	v_ashrrev_i32_e32 v2, 31, v2
	v_xor_b32_e32 v3, v3, v2
	v_sub_u32_e32 v2, v3, v2
	global_store_byte v[0:1], v2, off
.LBB86_1915:
	s_mov_b64 s[10:11], -1
.LBB86_1916:
	s_andn2_b64 vcc, exec, s[10:11]
	s_cbranch_vccnz .LBB86_1993
; %bb.1917:
	s_brev_b32 s0, -2
	v_mov_b32_e32 v0, s2
	v_bfi_b32 v2, s0, v8, v0
	v_add_u32_e32 v0, s20, v4
	v_ashrrev_i32_e32 v1, 31, v0
	v_mov_b32_e32 v3, s9
	v_add_co_u32_e32 v0, vcc, s8, v0
	v_addc_co_u32_e32 v1, vcc, v3, v1, vcc
	v_mov_b32_e32 v3, 0xff
	v_and_b32_e32 v6, s3, v3
	v_cmp_gt_i16_e32 vcc, 11, v6
	s_cbranch_vccnz .LBB86_2038
; %bb.1918:
	v_cmp_lt_i16_e32 vcc, 25, v6
	s_mov_b64 s[4:5], -1
	s_mov_b64 s[2:3], 0
	s_mov_b64 s[0:1], 0
	s_cbranch_vccz .LBB86_1951
; %bb.1919:
	v_cmp_lt_i16_e32 vcc, 28, v6
	s_cbranch_vccz .LBB86_1935
; %bb.1920:
	v_cmp_lt_i16_e32 vcc, 43, v6
	;; [unrolled: 3-line block ×3, first 2 shown]
	s_cbranch_vccz .LBB86_1925
; %bb.1922:
	v_cmp_eq_u16_e32 vcc, 46, v6
	s_mov_b64 s[0:1], -1
	s_cbranch_vccz .LBB86_1924
; %bb.1923:
	v_bfe_u32 v3, v2, 16, 1
	s_movk_i32 s0, 0x7fff
	v_add3_u32 v3, v2, v3, s0
	v_lshrrev_b32_e32 v3, 16, v3
	v_mov_b32_e32 v4, 0x7fc0
	v_cmp_o_f32_e32 vcc, v2, v2
	v_cndmask_b32_e32 v3, v4, v3, vcc
	global_store_dword v[0:1], v3, off
	s_mov_b64 s[0:1], 0
.LBB86_1924:
	s_mov_b64 s[4:5], 0
.LBB86_1925:
	s_and_b64 vcc, exec, s[4:5]
	s_cbranch_vccz .LBB86_1930
; %bb.1926:
	v_cmp_eq_u16_e32 vcc, 44, v6
	s_mov_b64 s[0:1], -1
	s_cbranch_vccz .LBB86_1930
; %bb.1927:
	v_bfe_u32 v3, v2, 23, 8
	s_movk_i32 s0, 0xff
	v_cmp_ne_u32_e32 vcc, s0, v3
	v_mov_b32_e32 v4, 0xff
	s_and_saveexec_b64 s[4:5], vcc
; %bb.1928:
	s_mov_b32 s0, 0x3fffff
	v_and_b32_e32 v5, 0x400000, v2
	v_and_or_b32 v3, v2, s0, v3
	v_cmp_ne_u32_e32 vcc, 0, v5
	v_cmp_ne_u32_e64 s[0:1], 0, v3
	s_and_b64 s[0:1], vcc, s[0:1]
	v_lshrrev_b32_e32 v4, 23, v2
	v_cndmask_b32_e64 v3, 0, 1, s[0:1]
	v_add_u32_e32 v4, v4, v3
; %bb.1929:
	s_or_b64 exec, exec, s[4:5]
	s_mov_b64 s[0:1], 0
	global_store_byte v[0:1], v4, off
.LBB86_1930:
	s_mov_b64 s[4:5], 0
.LBB86_1931:
	s_and_b64 vcc, exec, s[4:5]
	s_cbranch_vccz .LBB86_1934
; %bb.1932:
	v_cmp_eq_u16_e32 vcc, 29, v6
	s_mov_b64 s[0:1], -1
	s_cbranch_vccz .LBB86_1934
; %bb.1933:
	v_trunc_f32_e32 v3, v2
	v_mul_f32_e32 v4, 0x2f800000, v3
	v_floor_f32_e32 v4, v4
	v_fmac_f32_e32 v3, 0xcf800000, v4
	v_cvt_u32_f32_e32 v5, v4
	v_cvt_u32_f32_e32 v4, v3
	s_mov_b64 s[0:1], 0
	global_store_dwordx2 v[0:1], v[4:5], off
.LBB86_1934:
	s_mov_b64 s[4:5], 0
.LBB86_1935:
	s_and_b64 vcc, exec, s[4:5]
	s_cbranch_vccz .LBB86_1950
; %bb.1936:
	v_cmp_gt_i16_e32 vcc, 27, v6
	s_mov_b64 s[4:5], -1
	s_cbranch_vccnz .LBB86_1942
; %bb.1937:
	v_cvt_u32_f32_e32 v3, v2
	v_cmp_lt_i16_e32 vcc, 27, v6
	s_cbranch_vccz .LBB86_1939
; %bb.1938:
	global_store_dword v[0:1], v3, off
	s_mov_b64 s[4:5], 0
.LBB86_1939:
	s_andn2_b64 vcc, exec, s[4:5]
	s_cbranch_vccnz .LBB86_1941
; %bb.1940:
	global_store_short v[0:1], v3, off
.LBB86_1941:
	s_mov_b64 s[4:5], 0
.LBB86_1942:
	s_andn2_b64 vcc, exec, s[4:5]
	s_cbranch_vccnz .LBB86_1950
; %bb.1943:
	v_and_b32_e32 v3, 0x7fffffff, v8
	s_mov_b32 s4, 0x43800000
	v_cmp_gt_u32_e32 vcc, s4, v3
	v_mov_b32_e32 v4, 0x80
	s_and_saveexec_b64 s[4:5], vcc
	s_cbranch_execz .LBB86_1949
; %bb.1944:
	s_mov_b32 s8, 0x3bffffff
	v_cmp_lt_u32_e32 vcc, s8, v3
	s_mov_b64 s[8:9], 0
                                        ; implicit-def: $vgpr3
	s_and_saveexec_b64 s[10:11], vcc
	s_xor_b64 s[10:11], exec, s[10:11]
	s_cbranch_execz .LBB86_2044
; %bb.1945:
	v_bfe_u32 v3, v2, 20, 1
	s_mov_b32 s12, 0x487ffff
	v_add3_u32 v3, v2, v3, s12
	s_mov_b64 s[8:9], exec
	v_lshrrev_b32_e32 v3, 20, v3
	s_or_saveexec_b64 s[10:11], s[10:11]
                                        ; implicit-def: $sgpr12
	s_xor_b64 exec, exec, s[10:11]
	s_cbranch_execnz .LBB86_2045
.LBB86_1946:
	s_or_b64 exec, exec, s[10:11]
	v_mov_b32_e32 v4, s12
	s_and_saveexec_b64 s[10:11], s[8:9]
.LBB86_1947:
	v_lshrrev_b32_e32 v4, 24, v2
	s_movk_i32 s8, 0x80
	v_and_or_b32 v4, v4, s8, v3
.LBB86_1948:
	s_or_b64 exec, exec, s[10:11]
.LBB86_1949:
	s_or_b64 exec, exec, s[4:5]
	global_store_byte v[0:1], v4, off
.LBB86_1950:
	s_mov_b64 s[4:5], 0
.LBB86_1951:
	s_and_b64 vcc, exec, s[4:5]
	s_cbranch_vccz .LBB86_1991
; %bb.1952:
	v_cmp_lt_i16_e32 vcc, 22, v6
	s_mov_b64 s[2:3], -1
	s_cbranch_vccz .LBB86_1984
; %bb.1953:
	v_cmp_gt_i16_e32 vcc, 24, v6
	s_cbranch_vccnz .LBB86_1973
; %bb.1954:
	v_cmp_lt_i16_e32 vcc, 24, v6
	s_cbranch_vccz .LBB86_1962
; %bb.1955:
	v_and_b32_e32 v3, 0x7fffffff, v8
	s_mov_b32 s2, 0x47800000
	v_cmp_gt_u32_e32 vcc, s2, v3
	v_mov_b32_e32 v4, 0x80
	s_and_saveexec_b64 s[2:3], vcc
	s_cbranch_execz .LBB86_1961
; %bb.1956:
	s_mov_b32 s4, 0x37ffffff
	v_cmp_lt_u32_e32 vcc, s4, v3
	s_mov_b64 s[4:5], 0
                                        ; implicit-def: $vgpr3
	s_and_saveexec_b64 s[8:9], vcc
	s_xor_b64 s[8:9], exec, s[8:9]
	s_cbranch_execz .LBB86_2047
; %bb.1957:
	v_bfe_u32 v3, v2, 21, 1
	s_mov_b32 s10, 0x88fffff
	v_add3_u32 v3, v2, v3, s10
	s_mov_b64 s[4:5], exec
	v_lshrrev_b32_e32 v3, 21, v3
	s_or_saveexec_b64 s[8:9], s[8:9]
                                        ; implicit-def: $sgpr10
	s_xor_b64 exec, exec, s[8:9]
	s_cbranch_execnz .LBB86_2048
.LBB86_1958:
	s_or_b64 exec, exec, s[8:9]
	v_mov_b32_e32 v4, s10
	s_and_saveexec_b64 s[8:9], s[4:5]
.LBB86_1959:
	v_lshrrev_b32_e32 v4, 24, v2
	s_movk_i32 s4, 0x80
	v_and_or_b32 v4, v4, s4, v3
.LBB86_1960:
	s_or_b64 exec, exec, s[8:9]
.LBB86_1961:
	s_or_b64 exec, exec, s[2:3]
	s_mov_b64 s[2:3], 0
	global_store_byte v[0:1], v4, off
.LBB86_1962:
	s_and_b64 vcc, exec, s[2:3]
	s_cbranch_vccz .LBB86_1972
; %bb.1963:
	v_and_b32_e32 v4, 0x7fffffff, v8
	s_mov_b32 s2, 0x43f00000
	v_cmp_gt_u32_e32 vcc, s2, v4
                                        ; implicit-def: $vgpr3
	s_and_saveexec_b64 s[2:3], vcc
	s_xor_b64 s[2:3], exec, s[2:3]
	s_cbranch_execz .LBB86_1969
; %bb.1964:
	s_mov_b32 s4, 0x3c7fffff
	v_cmp_lt_u32_e32 vcc, s4, v4
                                        ; implicit-def: $vgpr3
	s_and_saveexec_b64 s[4:5], vcc
	s_xor_b64 s[4:5], exec, s[4:5]
; %bb.1965:
	v_bfe_u32 v3, v2, 20, 1
	s_mov_b32 s8, 0x407ffff
	v_add3_u32 v3, v2, v3, s8
	v_lshrrev_b32_e32 v4, 20, v3
	v_and_b32_e32 v3, 0xff00000, v3
	s_mov_b32 s8, 0x7f00000
	v_mov_b32_e32 v5, 0x7e
	v_cmp_ne_u32_e32 vcc, s8, v3
	v_cndmask_b32_e32 v3, v5, v4, vcc
; %bb.1966:
	s_andn2_saveexec_b64 s[4:5], s[4:5]
; %bb.1967:
	s_mov_b32 s8, 0x46800000
	v_add_f32_e64 v3, |v8|, s8
; %bb.1968:
	s_or_b64 exec, exec, s[4:5]
                                        ; implicit-def: $vgpr4
.LBB86_1969:
	s_andn2_saveexec_b64 s[2:3], s[2:3]
; %bb.1970:
	s_mov_b32 s4, 0x7f800000
	v_mov_b32_e32 v3, 0x7e
	v_mov_b32_e32 v5, 0x7f
	v_cmp_lt_u32_e32 vcc, s4, v4
	v_cndmask_b32_e32 v3, v3, v5, vcc
; %bb.1971:
	s_or_b64 exec, exec, s[2:3]
	v_lshrrev_b32_e32 v4, 24, v2
	s_movk_i32 s2, 0x80
	v_and_or_b32 v3, v4, s2, v3
	global_store_byte v[0:1], v3, off
.LBB86_1972:
	s_mov_b64 s[2:3], 0
.LBB86_1973:
	s_andn2_b64 vcc, exec, s[2:3]
	s_cbranch_vccnz .LBB86_1983
; %bb.1974:
	v_and_b32_e32 v4, 0x7fffffff, v8
	s_mov_b32 s2, 0x47800000
	v_cmp_gt_u32_e32 vcc, s2, v4
                                        ; implicit-def: $vgpr3
	s_and_saveexec_b64 s[2:3], vcc
	s_xor_b64 s[2:3], exec, s[2:3]
	s_cbranch_execz .LBB86_1980
; %bb.1975:
	s_mov_b32 s4, 0x387fffff
	v_cmp_lt_u32_e32 vcc, s4, v4
                                        ; implicit-def: $vgpr3
	s_and_saveexec_b64 s[4:5], vcc
	s_xor_b64 s[4:5], exec, s[4:5]
; %bb.1976:
	v_bfe_u32 v3, v2, 21, 1
	s_mov_b32 s8, 0x80fffff
	v_add3_u32 v3, v2, v3, s8
	v_lshrrev_b32_e32 v3, 21, v3
                                        ; implicit-def: $vgpr8
; %bb.1977:
	s_andn2_saveexec_b64 s[4:5], s[4:5]
; %bb.1978:
	s_mov_b32 s8, 0x43000000
	v_add_f32_e64 v3, |v8|, s8
; %bb.1979:
	s_or_b64 exec, exec, s[4:5]
                                        ; implicit-def: $vgpr4
.LBB86_1980:
	s_andn2_saveexec_b64 s[2:3], s[2:3]
; %bb.1981:
	s_mov_b32 s4, 0x7f800000
	v_mov_b32_e32 v3, 0x7c
	v_mov_b32_e32 v5, 0x7f
	v_cmp_lt_u32_e32 vcc, s4, v4
	v_cndmask_b32_e32 v3, v3, v5, vcc
; %bb.1982:
	s_or_b64 exec, exec, s[2:3]
	v_lshrrev_b32_e32 v4, 24, v2
	s_movk_i32 s2, 0x80
	v_and_or_b32 v3, v4, s2, v3
	global_store_byte v[0:1], v3, off
.LBB86_1983:
	s_mov_b64 s[2:3], 0
.LBB86_1984:
	s_andn2_b64 vcc, exec, s[2:3]
	s_mov_b64 s[2:3], 0
	s_cbranch_vccnz .LBB86_1991
; %bb.1985:
	v_cmp_lt_i16_e32 vcc, 14, v6
	s_mov_b64 s[4:5], -1
	s_cbranch_vccz .LBB86_1989
; %bb.1986:
	v_cmp_eq_u16_e32 vcc, 15, v6
	s_mov_b64 s[0:1], -1
	s_cbranch_vccz .LBB86_1988
; %bb.1987:
	v_bfe_u32 v3, v2, 16, 1
	s_movk_i32 s0, 0x7fff
	v_add3_u32 v3, v2, v3, s0
	v_lshrrev_b32_e32 v3, 16, v3
	v_mov_b32_e32 v4, 0x7fc0
	v_cmp_o_f32_e32 vcc, v2, v2
	v_cndmask_b32_e32 v3, v4, v3, vcc
	global_store_short v[0:1], v3, off
	s_mov_b64 s[0:1], 0
.LBB86_1988:
	s_mov_b64 s[4:5], 0
.LBB86_1989:
	s_and_b64 vcc, exec, s[4:5]
	s_cbranch_vccz .LBB86_1991
; %bb.1990:
	v_cmp_ne_u16_e64 s[0:1], 11, v6
	s_mov_b64 s[2:3], -1
.LBB86_1991:
	s_and_b64 vcc, exec, s[0:1]
	s_cbranch_vccnz .LBB86_2046
.LBB86_1992:
	s_mov_b64 s[0:1], 0
	s_branch .LBB86_1994
.LBB86_1993:
	s_mov_b64 s[0:1], 0
	s_mov_b64 s[2:3], 0
                                        ; implicit-def: $vgpr6
                                        ; implicit-def: $vgpr0_vgpr1
                                        ; implicit-def: $vgpr2
.LBB86_1994:
	s_and_b64 s[4:5], s[2:3], exec
	s_andn2_b64 s[2:3], s[14:15], exec
	s_and_b64 s[8:9], s[16:17], exec
	s_and_b64 s[0:1], s[0:1], exec
	s_or_b64 s[14:15], s[2:3], s[8:9]
.LBB86_1995:
	s_or_b64 exec, exec, s[6:7]
	s_and_saveexec_b64 s[2:3], s[14:15]
	s_cbranch_execz .LBB86_1998
; %bb.1996:
	; divergent unreachable
	s_or_b64 exec, exec, s[2:3]
	s_and_saveexec_b64 s[2:3], s[4:5]
	s_xor_b64 s[2:3], exec, s[2:3]
	s_cbranch_execnz .LBB86_1999
.LBB86_1997:
	s_or_b64 exec, exec, s[2:3]
	s_and_saveexec_b64 s[2:3], s[0:1]
	s_cbranch_execnz .LBB86_2000
	s_branch .LBB86_2037
.LBB86_1998:
	s_or_b64 exec, exec, s[2:3]
	s_and_saveexec_b64 s[2:3], s[4:5]
	s_xor_b64 s[2:3], exec, s[2:3]
	s_cbranch_execz .LBB86_1997
.LBB86_1999:
	v_cmp_neq_f32_e32 vcc, 0, v2
	s_waitcnt vmcnt(0)
	v_cndmask_b32_e64 v3, 0, 1, vcc
	global_store_byte v[0:1], v3, off
	s_or_b64 exec, exec, s[2:3]
	s_and_saveexec_b64 s[2:3], s[0:1]
	s_cbranch_execz .LBB86_2037
.LBB86_2000:
	s_waitcnt vmcnt(0)
	v_cmp_gt_i16_e32 vcc, 5, v6
	s_mov_b64 s[0:1], -1
	s_cbranch_vccnz .LBB86_2021
; %bb.2001:
	v_cmp_gt_i16_e32 vcc, 8, v6
	s_cbranch_vccnz .LBB86_2011
; %bb.2002:
	v_cmp_gt_i16_e32 vcc, 9, v6
	s_cbranch_vccnz .LBB86_2008
; %bb.2003:
	v_cmp_lt_i16_e32 vcc, 9, v6
	s_cbranch_vccz .LBB86_2005
; %bb.2004:
	v_mov_b32_e32 v10, 0
	v_cvt_f64_f32_e32 v[8:9], v2
	v_mov_b32_e32 v11, v10
	global_store_dwordx4 v[0:1], v[8:11], off
	s_mov_b64 s[0:1], 0
.LBB86_2005:
	s_andn2_b64 vcc, exec, s[0:1]
	s_cbranch_vccnz .LBB86_2007
; %bb.2006:
	v_mov_b32_e32 v3, 0
	global_store_dwordx2 v[0:1], v[2:3], off
.LBB86_2007:
	s_mov_b64 s[0:1], 0
.LBB86_2008:
	s_andn2_b64 vcc, exec, s[0:1]
	s_cbranch_vccnz .LBB86_2010
; %bb.2009:
	v_cvt_f16_f32_e32 v3, v2
	global_store_dword v[0:1], v3, off
.LBB86_2010:
	s_mov_b64 s[0:1], 0
.LBB86_2011:
	s_andn2_b64 vcc, exec, s[0:1]
	s_cbranch_vccnz .LBB86_2020
; %bb.2012:
	v_cmp_gt_i16_e32 vcc, 6, v6
	s_mov_b64 s[0:1], -1
	s_cbranch_vccnz .LBB86_2018
; %bb.2013:
	v_cmp_lt_i16_e32 vcc, 6, v6
	s_cbranch_vccz .LBB86_2015
; %bb.2014:
	v_cvt_f64_f32_e32 v[4:5], v2
	global_store_dwordx2 v[0:1], v[4:5], off
	s_mov_b64 s[0:1], 0
.LBB86_2015:
	s_andn2_b64 vcc, exec, s[0:1]
	s_cbranch_vccnz .LBB86_2017
; %bb.2016:
	global_store_dword v[0:1], v2, off
.LBB86_2017:
	s_mov_b64 s[0:1], 0
.LBB86_2018:
	s_andn2_b64 vcc, exec, s[0:1]
	s_cbranch_vccnz .LBB86_2020
; %bb.2019:
	v_cvt_f16_f32_e32 v3, v2
	global_store_short v[0:1], v3, off
.LBB86_2020:
	s_mov_b64 s[0:1], 0
.LBB86_2021:
	s_andn2_b64 vcc, exec, s[0:1]
	s_cbranch_vccnz .LBB86_2037
; %bb.2022:
	v_cmp_gt_i16_e32 vcc, 2, v6
	s_mov_b64 s[0:1], -1
	s_cbranch_vccnz .LBB86_2032
; %bb.2023:
	v_cmp_gt_i16_e32 vcc, 3, v6
	s_cbranch_vccnz .LBB86_2029
; %bb.2024:
	v_cmp_lt_i16_e32 vcc, 3, v6
	s_cbranch_vccz .LBB86_2026
; %bb.2025:
	v_trunc_f32_e32 v3, v2
	s_mov_b32 s0, 0x2f800000
	v_mul_f32_e64 v4, |v3|, s0
	v_floor_f32_e32 v4, v4
	s_mov_b32 s0, 0xcf800000
	v_cvt_u32_f32_e32 v5, v4
	v_fma_f32 v4, v4, s0, |v3|
	v_cvt_u32_f32_e32 v4, v4
	v_ashrrev_i32_e32 v3, 31, v3
	v_xor_b32_e32 v5, v5, v3
	s_mov_b64 s[0:1], 0
	v_xor_b32_e32 v4, v4, v3
	v_sub_co_u32_e32 v4, vcc, v4, v3
	v_subb_co_u32_e32 v5, vcc, v5, v3, vcc
	global_store_dwordx2 v[0:1], v[4:5], off
.LBB86_2026:
	s_andn2_b64 vcc, exec, s[0:1]
	s_cbranch_vccnz .LBB86_2028
; %bb.2027:
	v_cvt_i32_f32_e32 v3, v2
	global_store_dword v[0:1], v3, off
.LBB86_2028:
	s_mov_b64 s[0:1], 0
.LBB86_2029:
	s_andn2_b64 vcc, exec, s[0:1]
	s_cbranch_vccnz .LBB86_2031
; %bb.2030:
	v_cvt_i32_f32_e32 v3, v2
	global_store_short v[0:1], v3, off
.LBB86_2031:
	s_mov_b64 s[0:1], 0
.LBB86_2032:
	s_andn2_b64 vcc, exec, s[0:1]
	s_cbranch_vccnz .LBB86_2037
; %bb.2033:
	v_cmp_lt_i16_e32 vcc, 0, v6
	s_mov_b64 s[0:1], -1
	s_cbranch_vccz .LBB86_2035
; %bb.2034:
	v_cvt_i32_f32_e32 v3, v2
	s_mov_b64 s[0:1], 0
	global_store_byte v[0:1], v3, off
.LBB86_2035:
	s_andn2_b64 vcc, exec, s[0:1]
	s_cbranch_vccnz .LBB86_2037
; %bb.2036:
	v_trunc_f32_e32 v2, v2
	s_mov_b32 s0, 0x2f800000
	v_mul_f32_e64 v3, |v2|, s0
	v_floor_f32_e32 v3, v3
	s_mov_b32 s0, 0xcf800000
	v_fma_f32 v3, v3, s0, |v2|
	v_cvt_u32_f32_e32 v3, v3
	v_ashrrev_i32_e32 v2, 31, v2
	v_xor_b32_e32 v3, v3, v2
	v_sub_u32_e32 v2, v3, v2
	global_store_byte v[0:1], v2, off
	s_endpgm
.LBB86_2037:
	s_endpgm
.LBB86_2038:
	s_mov_b64 s[2:3], 0
	s_mov_b64 s[0:1], -1
	s_branch .LBB86_1994
.LBB86_2039:
	s_or_saveexec_b64 s[18:19], s[18:19]
                                        ; implicit-def: $sgpr21
	s_xor_b64 exec, exec, s[18:19]
	s_cbranch_execz .LBB86_1827
.LBB86_2040:
	s_mov_b32 s21, 0x46000000
	v_add_f32_e64 v3, |v7|, s21
	v_and_b32_e32 v3, 0xff, v3
	v_cmp_ne_u32_e32 vcc, 0, v3
	s_andn2_b64 s[12:13], s[12:13], exec
	s_and_b64 s[22:23], vcc, exec
	s_mov_b32 s21, 0
	s_or_b64 s[12:13], s[12:13], s[22:23]
	s_or_b64 exec, exec, s[18:19]
	v_mov_b32_e32 v5, s21
	s_and_saveexec_b64 s[18:19], s[12:13]
	s_cbranch_execnz .LBB86_1828
	s_branch .LBB86_1829
.LBB86_2041:
	s_trap 2
	s_or_b64 s[16:17], s[16:17], exec
	s_cbranch_execz .LBB86_1875
	s_branch .LBB86_1876
.LBB86_2042:
	s_or_saveexec_b64 s[12:13], s[12:13]
                                        ; implicit-def: $sgpr18
	s_xor_b64 exec, exec, s[12:13]
	s_cbranch_execz .LBB86_1840
.LBB86_2043:
	s_mov_b32 s18, 0x42800000
	v_add_f32_e64 v3, |v7|, s18
	v_and_b32_e32 v3, 0xff, v3
	v_cmp_ne_u32_e32 vcc, 0, v3
	s_andn2_b64 s[10:11], s[10:11], exec
	s_and_b64 s[22:23], vcc, exec
	s_mov_b32 s18, 0
	s_or_b64 s[10:11], s[10:11], s[22:23]
	s_or_b64 exec, exec, s[12:13]
	v_mov_b32_e32 v5, s18
	s_and_saveexec_b64 s[12:13], s[10:11]
	s_cbranch_execnz .LBB86_1841
	s_branch .LBB86_1842
.LBB86_2044:
	s_or_saveexec_b64 s[10:11], s[10:11]
                                        ; implicit-def: $sgpr12
	s_xor_b64 exec, exec, s[10:11]
	s_cbranch_execz .LBB86_1946
.LBB86_2045:
	s_mov_b32 s12, 0x46000000
	v_add_f32_e64 v3, |v8|, s12
	v_and_b32_e32 v3, 0xff, v3
	v_cmp_ne_u32_e32 vcc, 0, v3
	s_andn2_b64 s[8:9], s[8:9], exec
	s_and_b64 s[18:19], vcc, exec
	s_mov_b32 s12, 0
	s_or_b64 s[8:9], s[8:9], s[18:19]
	s_or_b64 exec, exec, s[10:11]
	v_mov_b32_e32 v4, s12
	s_and_saveexec_b64 s[10:11], s[8:9]
	s_cbranch_execnz .LBB86_1947
	s_branch .LBB86_1948
.LBB86_2046:
	s_mov_b64 s[2:3], 0
	s_or_b64 s[16:17], s[16:17], exec
	s_trap 2
	s_branch .LBB86_1992
.LBB86_2047:
	s_or_saveexec_b64 s[8:9], s[8:9]
                                        ; implicit-def: $sgpr10
	s_xor_b64 exec, exec, s[8:9]
	s_cbranch_execz .LBB86_1958
.LBB86_2048:
	s_mov_b32 s10, 0x42800000
	v_add_f32_e64 v3, |v8|, s10
	v_and_b32_e32 v3, 0xff, v3
	v_cmp_ne_u32_e32 vcc, 0, v3
	s_andn2_b64 s[4:5], s[4:5], exec
	s_and_b64 s[12:13], vcc, exec
	s_mov_b32 s10, 0
	s_or_b64 s[4:5], s[4:5], s[12:13]
	s_or_b64 exec, exec, s[8:9]
	v_mov_b32_e32 v4, s10
	s_and_saveexec_b64 s[8:9], s[4:5]
	s_cbranch_execnz .LBB86_1959
	s_branch .LBB86_1960
	.section	.rodata,"a",@progbits
	.p2align	6, 0x0
	.amdhsa_kernel _ZN2at6native32elementwise_kernel_manual_unrollILi128ELi4EZNS0_15gpu_kernel_implINS0_13BUnaryFunctorIfffZZZNS0_20copysign_kernel_cudaERNS_18TensorIteratorBaseEENKUlvE_clEvENKUlvE0_clEvEUlffE_EEEEvS5_RKT_EUlibE_EEviT1_
		.amdhsa_group_segment_fixed_size 0
		.amdhsa_private_segment_fixed_size 0
		.amdhsa_kernarg_size 48
		.amdhsa_user_sgpr_count 6
		.amdhsa_user_sgpr_private_segment_buffer 1
		.amdhsa_user_sgpr_dispatch_ptr 0
		.amdhsa_user_sgpr_queue_ptr 0
		.amdhsa_user_sgpr_kernarg_segment_ptr 1
		.amdhsa_user_sgpr_dispatch_id 0
		.amdhsa_user_sgpr_flat_scratch_init 0
		.amdhsa_user_sgpr_kernarg_preload_length 0
		.amdhsa_user_sgpr_kernarg_preload_offset 0
		.amdhsa_user_sgpr_private_segment_size 0
		.amdhsa_uses_dynamic_stack 0
		.amdhsa_system_sgpr_private_segment_wavefront_offset 0
		.amdhsa_system_sgpr_workgroup_id_x 1
		.amdhsa_system_sgpr_workgroup_id_y 0
		.amdhsa_system_sgpr_workgroup_id_z 0
		.amdhsa_system_sgpr_workgroup_info 0
		.amdhsa_system_vgpr_workitem_id 0
		.amdhsa_next_free_vgpr 14
		.amdhsa_next_free_sgpr 44
		.amdhsa_accum_offset 16
		.amdhsa_reserve_vcc 1
		.amdhsa_reserve_flat_scratch 0
		.amdhsa_float_round_mode_32 0
		.amdhsa_float_round_mode_16_64 0
		.amdhsa_float_denorm_mode_32 3
		.amdhsa_float_denorm_mode_16_64 3
		.amdhsa_dx10_clamp 1
		.amdhsa_ieee_mode 1
		.amdhsa_fp16_overflow 0
		.amdhsa_tg_split 0
		.amdhsa_exception_fp_ieee_invalid_op 0
		.amdhsa_exception_fp_denorm_src 0
		.amdhsa_exception_fp_ieee_div_zero 0
		.amdhsa_exception_fp_ieee_overflow 0
		.amdhsa_exception_fp_ieee_underflow 0
		.amdhsa_exception_fp_ieee_inexact 0
		.amdhsa_exception_int_div_zero 0
	.end_amdhsa_kernel
	.section	.text._ZN2at6native32elementwise_kernel_manual_unrollILi128ELi4EZNS0_15gpu_kernel_implINS0_13BUnaryFunctorIfffZZZNS0_20copysign_kernel_cudaERNS_18TensorIteratorBaseEENKUlvE_clEvENKUlvE0_clEvEUlffE_EEEEvS5_RKT_EUlibE_EEviT1_,"axG",@progbits,_ZN2at6native32elementwise_kernel_manual_unrollILi128ELi4EZNS0_15gpu_kernel_implINS0_13BUnaryFunctorIfffZZZNS0_20copysign_kernel_cudaERNS_18TensorIteratorBaseEENKUlvE_clEvENKUlvE0_clEvEUlffE_EEEEvS5_RKT_EUlibE_EEviT1_,comdat
.Lfunc_end86:
	.size	_ZN2at6native32elementwise_kernel_manual_unrollILi128ELi4EZNS0_15gpu_kernel_implINS0_13BUnaryFunctorIfffZZZNS0_20copysign_kernel_cudaERNS_18TensorIteratorBaseEENKUlvE_clEvENKUlvE0_clEvEUlffE_EEEEvS5_RKT_EUlibE_EEviT1_, .Lfunc_end86-_ZN2at6native32elementwise_kernel_manual_unrollILi128ELi4EZNS0_15gpu_kernel_implINS0_13BUnaryFunctorIfffZZZNS0_20copysign_kernel_cudaERNS_18TensorIteratorBaseEENKUlvE_clEvENKUlvE0_clEvEUlffE_EEEEvS5_RKT_EUlibE_EEviT1_
                                        ; -- End function
	.section	.AMDGPU.csdata,"",@progbits
; Kernel info:
; codeLenInByte = 34072
; NumSgprs: 48
; NumVgprs: 14
; NumAgprs: 0
; TotalNumVgprs: 14
; ScratchSize: 0
; MemoryBound: 1
; FloatMode: 240
; IeeeMode: 1
; LDSByteSize: 0 bytes/workgroup (compile time only)
; SGPRBlocks: 5
; VGPRBlocks: 1
; NumSGPRsForWavesPerEU: 48
; NumVGPRsForWavesPerEU: 14
; AccumOffset: 16
; Occupancy: 8
; WaveLimiterHint : 0
; COMPUTE_PGM_RSRC2:SCRATCH_EN: 0
; COMPUTE_PGM_RSRC2:USER_SGPR: 6
; COMPUTE_PGM_RSRC2:TRAP_HANDLER: 0
; COMPUTE_PGM_RSRC2:TGID_X_EN: 1
; COMPUTE_PGM_RSRC2:TGID_Y_EN: 0
; COMPUTE_PGM_RSRC2:TGID_Z_EN: 0
; COMPUTE_PGM_RSRC2:TIDIG_COMP_CNT: 0
; COMPUTE_PGM_RSRC3_GFX90A:ACCUM_OFFSET: 3
; COMPUTE_PGM_RSRC3_GFX90A:TG_SPLIT: 0
	.section	.text._ZN2at6native32elementwise_kernel_manual_unrollILi128ELi4EZNS0_15gpu_kernel_implINS0_13BUnaryFunctorIfffZZZNS0_20copysign_kernel_cudaERNS_18TensorIteratorBaseEENKUlvE_clEvENKUlvE0_clEvEUlffE_EEEEvS5_RKT_EUlibE0_EEviT1_,"axG",@progbits,_ZN2at6native32elementwise_kernel_manual_unrollILi128ELi4EZNS0_15gpu_kernel_implINS0_13BUnaryFunctorIfffZZZNS0_20copysign_kernel_cudaERNS_18TensorIteratorBaseEENKUlvE_clEvENKUlvE0_clEvEUlffE_EEEEvS5_RKT_EUlibE0_EEviT1_,comdat
	.globl	_ZN2at6native32elementwise_kernel_manual_unrollILi128ELi4EZNS0_15gpu_kernel_implINS0_13BUnaryFunctorIfffZZZNS0_20copysign_kernel_cudaERNS_18TensorIteratorBaseEENKUlvE_clEvENKUlvE0_clEvEUlffE_EEEEvS5_RKT_EUlibE0_EEviT1_ ; -- Begin function _ZN2at6native32elementwise_kernel_manual_unrollILi128ELi4EZNS0_15gpu_kernel_implINS0_13BUnaryFunctorIfffZZZNS0_20copysign_kernel_cudaERNS_18TensorIteratorBaseEENKUlvE_clEvENKUlvE0_clEvEUlffE_EEEEvS5_RKT_EUlibE0_EEviT1_
	.p2align	8
	.type	_ZN2at6native32elementwise_kernel_manual_unrollILi128ELi4EZNS0_15gpu_kernel_implINS0_13BUnaryFunctorIfffZZZNS0_20copysign_kernel_cudaERNS_18TensorIteratorBaseEENKUlvE_clEvENKUlvE0_clEvEUlffE_EEEEvS5_RKT_EUlibE0_EEviT1_,@function
_ZN2at6native32elementwise_kernel_manual_unrollILi128ELi4EZNS0_15gpu_kernel_implINS0_13BUnaryFunctorIfffZZZNS0_20copysign_kernel_cudaERNS_18TensorIteratorBaseEENKUlvE_clEvENKUlvE0_clEvEUlffE_EEEEvS5_RKT_EUlibE0_EEviT1_: ; @_ZN2at6native32elementwise_kernel_manual_unrollILi128ELi4EZNS0_15gpu_kernel_implINS0_13BUnaryFunctorIfffZZZNS0_20copysign_kernel_cudaERNS_18TensorIteratorBaseEENKUlvE_clEvENKUlvE0_clEvEUlffE_EEEEvS5_RKT_EUlibE0_EEviT1_
; %bb.0:
	s_load_dword s74, s[4:5], 0x0
	s_load_dword s33, s[4:5], 0x8
	s_or_b32 s34, s4, 8
	v_lshl_or_b32 v8, s6, 9, v0
	v_or_b32_e32 v9, 0x180, v8
	s_mov_b32 s35, s5
	s_waitcnt lgkmcnt(0)
	s_add_i32 s76, s33, -1
	s_cmp_gt_u32 s76, 1
	v_cmp_le_i32_e32 vcc, s74, v9
	s_cselect_b64 s[40:41], -1, 0
	s_mov_b64 s[6:7], 0
	s_mov_b64 s[28:29], 0
	s_and_saveexec_b64 s[0:1], vcc
	s_xor_b64 s[42:43], exec, s[0:1]
	s_cbranch_execz .LBB87_1090
; %bb.1:
	s_load_dwordx4 s[28:31], s[34:35], 0x4
	s_load_dwordx2 s[46:47], s[34:35], 0x14
	s_load_dwordx2 s[44:45], s[34:35], 0x15c
	s_cmp_lg_u32 s33, 0
	s_load_dwordx4 s[36:39], s[34:35], 0xc4
	s_load_dwordx4 s[24:27], s[34:35], 0x148
	s_cselect_b64 s[52:53], -1, 0
	s_add_u32 s50, s34, 0xc4
	s_addc_u32 s51, s35, 0
	s_min_u32 s75, s76, 15
	s_cmp_gt_u32 s33, 1
	s_cselect_b64 s[48:49], -1, 0
	s_waitcnt lgkmcnt(0)
	v_lshrrev_b16_e64 v4, 8, s45
	v_cmp_gt_i32_e32 vcc, s74, v8
	s_mov_b64 s[2:3], -1
	s_mov_b64 s[62:63], 0
	s_mov_b64 s[56:57], 0
	;; [unrolled: 1-line block ×3, first 2 shown]
	s_and_saveexec_b64 s[58:59], vcc
	s_cbranch_execz .LBB87_267
; %bb.2:
	s_andn2_b64 vcc, exec, s[40:41]
	s_cbranch_vccnz .LBB87_8
; %bb.3:
	s_mov_b32 s54, 0
	s_andn2_b64 vcc, exec, s[52:53]
	v_mov_b32_e32 v2, 0
	v_mov_b32_e32 v0, 0
	s_cbranch_vccnz .LBB87_14
; %bb.4:
	s_add_i32 s64, s75, 1
	s_cmp_eq_u32 s76, 2
	s_cbranch_scc1 .LBB87_9
; %bb.5:
	s_and_b32 s54, s64, 28
	s_mov_b32 s55, 0
	v_mov_b32_e32 v0, 0
	s_mov_b64 s[56:57], s[34:35]
	s_mov_b64 s[60:61], s[50:51]
	v_mov_b32_e32 v3, v8
	v_mov_b32_e32 v2, 0
.LBB87_6:                               ; =>This Inner Loop Header: Depth=1
	s_load_dwordx8 s[16:23], s[56:57], 0x4
	s_load_dwordx4 s[0:3], s[56:57], 0x24
	s_load_dwordx8 s[8:15], s[60:61], 0x0
	s_add_u32 s56, s56, 48
	s_addc_u32 s57, s57, 0
	s_waitcnt lgkmcnt(0)
	v_mul_hi_u32 v1, s17, v3
	v_add_u32_e32 v1, v3, v1
	v_lshrrev_b32_e32 v1, s18, v1
	v_mul_lo_u32 v5, v1, s16
	v_mul_hi_u32 v6, s20, v1
	v_sub_u32_e32 v3, v3, v5
	v_add_u32_e32 v5, v1, v6
	v_lshrrev_b32_e32 v5, s21, v5
	v_mul_lo_u32 v7, v5, s19
	v_mul_hi_u32 v9, s23, v5
	v_sub_u32_e32 v1, v1, v7
	v_add_u32_e32 v7, v5, v9
	v_mul_lo_u32 v6, v3, s9
	v_mul_lo_u32 v3, v3, s8
	v_mul_lo_u32 v9, v1, s11
	v_mul_lo_u32 v1, v1, s10
	v_lshrrev_b32_e32 v7, s0, v7
	v_add3_u32 v0, v3, v0, v1
	v_mul_hi_u32 v3, s2, v7
	v_add_u32_e32 v3, v7, v3
	v_lshrrev_b32_e32 v3, s3, v3
	s_add_i32 s55, s55, 4
	v_add3_u32 v1, v6, v2, v9
	v_mul_lo_u32 v2, v7, s22
	v_mul_lo_u32 v6, v3, s1
	s_add_u32 s60, s60, 32
	v_sub_u32_e32 v2, v5, v2
	v_sub_u32_e32 v6, v7, v6
	s_addc_u32 s61, s61, 0
	v_mul_lo_u32 v5, v2, s12
	v_mul_lo_u32 v2, v2, s13
	;; [unrolled: 1-line block ×4, first 2 shown]
	s_cmp_lg_u32 s54, s55
	v_add3_u32 v2, v2, v1, v6
	v_add3_u32 v0, v5, v0, v7
	s_cbranch_scc1 .LBB87_6
; %bb.7:
	v_mov_b32_e32 v1, v2
	s_branch .LBB87_10
.LBB87_8:
                                        ; implicit-def: $vgpr2
                                        ; implicit-def: $vgpr0
	s_branch .LBB87_15
.LBB87_9:
	s_mov_b32 s55, s54
	v_pk_mov_b32 v[0:1], s[54:55], s[54:55] op_sel:[0,1]
                                        ; implicit-def: $vgpr2
	v_mov_b32_e32 v3, v8
.LBB87_10:
	s_and_b32 s8, s64, 3
	s_cmp_eq_u32 s8, 0
	s_cbranch_scc1 .LBB87_14
; %bb.11:
	s_lshl_b32 s0, s54, 3
	s_add_u32 s0, s0, s34
	s_addc_u32 s1, s35, 0
	s_add_u32 s0, s0, 0xc4
	s_addc_u32 s1, s1, 0
	s_mul_i32 s2, s54, 12
	s_add_u32 s2, s34, s2
	s_addc_u32 s3, s35, 0
.LBB87_12:                              ; =>This Inner Loop Header: Depth=1
	s_load_dwordx2 s[10:11], s[2:3], 0x4
	s_load_dword s9, s[2:3], 0xc
	s_load_dwordx2 s[12:13], s[0:1], 0x0
	v_mov_b32_e32 v2, v1
	s_add_u32 s2, s2, 12
	s_waitcnt lgkmcnt(0)
	v_mul_hi_u32 v1, s11, v3
	v_add_u32_e32 v1, v3, v1
	v_lshrrev_b32_e32 v1, s9, v1
	s_addc_u32 s3, s3, 0
	v_mul_lo_u32 v5, v1, s10
	s_add_u32 s0, s0, 8
	v_sub_u32_e32 v5, v3, v5
	v_mov_b32_e32 v3, v1
	s_addc_u32 s1, s1, 0
	s_add_i32 s8, s8, -1
	v_mad_u64_u32 v[6:7], s[10:11], v5, s13, v[2:3]
	v_mad_u64_u32 v[0:1], s[10:11], v5, s12, v[0:1]
	s_cmp_lg_u32 s8, 0
	v_mov_b32_e32 v1, v6
	s_cbranch_scc1 .LBB87_12
; %bb.13:
	v_mov_b32_e32 v2, v1
.LBB87_14:
	s_cbranch_execnz .LBB87_17
.LBB87_15:
	v_mul_hi_u32 v0, s29, v8
	v_add_u32_e32 v0, v8, v0
	v_lshrrev_b32_e32 v1, s30, v0
	v_mul_lo_u32 v0, v1, s28
	v_sub_u32_e32 v0, v8, v0
	v_mul_lo_u32 v2, v0, s37
	s_andn2_b64 vcc, exec, s[48:49]
	v_mul_lo_u32 v0, v0, s36
	s_cbranch_vccnz .LBB87_17
; %bb.16:
	v_mul_hi_u32 v3, s46, v1
	v_add_u32_e32 v3, v1, v3
	v_lshrrev_b32_e32 v3, s47, v3
	v_mul_lo_u32 v3, v3, s31
	v_sub_u32_e32 v3, v1, v3
	v_mad_u64_u32 v[0:1], s[0:1], v3, s38, v[0:1]
	v_mad_u64_u32 v[2:3], s[0:1], v3, s39, v[2:3]
.LBB87_17:
	v_mov_b32_e32 v1, s27
	v_add_co_u32_e32 v2, vcc, s26, v2
	v_addc_co_u32_e32 v3, vcc, 0, v1, vcc
	v_cmp_gt_i16_e32 vcc, 11, v4
	s_cbranch_vccnz .LBB87_24
; %bb.18:
	v_cmp_lt_i16_e32 vcc, 25, v4
	s_cbranch_vccz .LBB87_33
; %bb.19:
	v_cmp_lt_i16_e32 vcc, 28, v4
	s_cbranch_vccz .LBB87_36
	;; [unrolled: 3-line block ×4, first 2 shown]
; %bb.22:
	v_cmp_eq_u16_e32 vcc, 46, v4
	s_mov_b64 s[8:9], 0
	s_cbranch_vccz .LBB87_42
; %bb.23:
	global_load_dword v1, v[2:3], off
	s_mov_b64 s[0:1], -1
	s_mov_b64 s[2:3], 0
	s_waitcnt vmcnt(0)
	v_lshlrev_b32_e32 v5, 16, v1
	s_branch .LBB87_44
.LBB87_24:
	s_mov_b64 s[2:3], 0
                                        ; implicit-def: $vgpr5
	s_mov_b64 s[0:1], 0
	s_cbranch_execnz .LBB87_217
.LBB87_25:
	s_andn2_b64 vcc, exec, s[0:1]
	s_cbranch_vccnz .LBB87_264
.LBB87_26:
	s_brev_b32 s0, -2
	v_mov_b32_e32 v1, s44
	s_waitcnt vmcnt(0)
	v_bfi_b32 v2, s0, v5, v1
	v_mov_b32_e32 v1, s25
	v_add_co_u32_e32 v0, vcc, s24, v0
	v_mov_b32_e32 v3, 11
	v_addc_co_u32_e32 v1, vcc, 0, v1, vcc
	v_cmp_lt_i16_sdwa s[0:1], s45, v3 src0_sel:BYTE_0 src1_sel:DWORD
	s_and_b64 vcc, exec, s[0:1]
	s_cbranch_vccnz .LBB87_34
; %bb.27:
	v_mov_b32_e32 v3, 25
	v_cmp_gt_i16_sdwa s[0:1], s45, v3 src0_sel:BYTE_0 src1_sel:DWORD
	s_and_b64 vcc, exec, s[0:1]
	s_cbranch_vccz .LBB87_37
; %bb.28:
	v_mov_b32_e32 v3, 28
	v_cmp_gt_i16_sdwa s[0:1], s45, v3 src0_sel:BYTE_0 src1_sel:DWORD
	s_and_b64 vcc, exec, s[0:1]
	s_cbranch_vccz .LBB87_39
	;; [unrolled: 5-line block ×4, first 2 shown]
; %bb.31:
	v_mov_b32_e32 v3, 46
	v_cmp_eq_u16_sdwa s[8:9], s45, v3 src0_sel:BYTE_0 src1_sel:DWORD
	s_mov_b64 s[10:11], 0
	s_mov_b64 s[0:1], -1
	s_and_b64 vcc, exec, s[8:9]
	s_mov_b64 s[8:9], 0
	s_cbranch_vccz .LBB87_48
; %bb.32:
	v_bfe_u32 v3, v2, 16, 1
	s_movk_i32 s0, 0x7fff
	v_add3_u32 v3, v2, v3, s0
	v_lshrrev_b32_e32 v3, 16, v3
	v_mov_b32_e32 v6, 0x7fc0
	v_cmp_o_f32_e32 vcc, v2, v2
	v_cndmask_b32_e32 v3, v6, v3, vcc
	global_store_dword v[0:1], v3, off
	s_mov_b64 s[8:9], -1
	s_mov_b64 s[0:1], 0
	s_branch .LBB87_48
.LBB87_33:
	s_mov_b64 s[2:3], 0
	s_mov_b64 s[0:1], 0
                                        ; implicit-def: $vgpr5
	s_cbranch_execnz .LBB87_182
	s_branch .LBB87_216
.LBB87_34:
	s_mov_b64 s[0:1], 0
	s_mov_b64 s[8:9], 0
	s_cbranch_execnz .LBB87_117
.LBB87_35:
	s_andn2_b64 vcc, exec, s[8:9]
	s_cbranch_vccnz .LBB87_265
	s_branch .LBB87_155
.LBB87_36:
	s_mov_b64 s[8:9], -1
	s_mov_b64 s[2:3], 0
	s_mov_b64 s[0:1], 0
                                        ; implicit-def: $vgpr5
	s_branch .LBB87_163
.LBB87_37:
	s_mov_b64 s[10:11], -1
	s_mov_b64 s[0:1], 0
	s_mov_b64 s[8:9], 0
	s_branch .LBB87_75
.LBB87_38:
	s_mov_b64 s[8:9], -1
	s_mov_b64 s[2:3], 0
	s_mov_b64 s[0:1], 0
                                        ; implicit-def: $vgpr5
	s_branch .LBB87_158
.LBB87_39:
	s_mov_b64 s[10:11], -1
	s_mov_b64 s[0:1], 0
	s_mov_b64 s[8:9], 0
	s_branch .LBB87_58
.LBB87_40:
	s_mov_b64 s[8:9], -1
	s_mov_b64 s[2:3], 0
	s_branch .LBB87_43
.LBB87_41:
	s_mov_b64 s[10:11], -1
	s_mov_b64 s[0:1], 0
	s_mov_b64 s[8:9], 0
	s_branch .LBB87_54
.LBB87_42:
	s_mov_b64 s[2:3], -1
.LBB87_43:
	s_mov_b64 s[0:1], 0
                                        ; implicit-def: $vgpr5
.LBB87_44:
	s_and_b64 vcc, exec, s[8:9]
	s_cbranch_vccz .LBB87_157
; %bb.45:
	v_cmp_eq_u16_e32 vcc, 44, v4
	s_cbranch_vccz .LBB87_156
; %bb.46:
	global_load_ubyte v1, v[2:3], off
	s_movk_i32 s2, 0xff
	v_mov_b32_e32 v5, 0x7f800001
	v_mov_b32_e32 v6, 0x400000
	s_mov_b64 s[0:1], -1
	s_waitcnt vmcnt(0)
	v_lshlrev_b32_e32 v7, 23, v1
	v_cmp_ne_u32_e32 vcc, s2, v1
	v_cndmask_b32_e32 v5, v5, v7, vcc
	v_cmp_ne_u32_e32 vcc, 0, v1
	v_cndmask_b32_e32 v5, v6, v5, vcc
	s_mov_b64 s[2:3], 0
	s_branch .LBB87_157
.LBB87_47:
	s_mov_b64 s[10:11], -1
	s_mov_b64 s[0:1], 0
	s_mov_b64 s[8:9], 0
.LBB87_48:
	s_and_b64 vcc, exec, s[10:11]
	s_cbranch_vccz .LBB87_53
; %bb.49:
	v_mov_b32_e32 v3, 44
	v_cmp_eq_u16_sdwa s[10:11], s45, v3 src0_sel:BYTE_0 src1_sel:DWORD
	s_mov_b64 s[0:1], -1
	s_and_b64 vcc, exec, s[10:11]
	s_cbranch_vccz .LBB87_53
; %bb.50:
	v_bfe_u32 v3, v2, 23, 8
	s_movk_i32 s0, 0xff
	v_cmp_ne_u32_e32 vcc, s0, v3
	v_mov_b32_e32 v6, 0xff
	s_and_saveexec_b64 s[8:9], vcc
; %bb.51:
	s_mov_b32 s0, 0x3fffff
	v_and_b32_e32 v7, 0x400000, v2
	v_and_or_b32 v3, v2, s0, v3
	v_cmp_ne_u32_e32 vcc, 0, v7
	v_cmp_ne_u32_e64 s[0:1], 0, v3
	s_and_b64 s[0:1], vcc, s[0:1]
	v_lshrrev_b32_e32 v6, 23, v2
	v_cndmask_b32_e64 v3, 0, 1, s[0:1]
	v_add_u32_e32 v6, v6, v3
; %bb.52:
	s_or_b64 exec, exec, s[8:9]
	s_mov_b64 s[8:9], -1
	s_mov_b64 s[0:1], 0
	global_store_byte v[0:1], v6, off
.LBB87_53:
	s_mov_b64 s[10:11], 0
.LBB87_54:
	s_and_b64 vcc, exec, s[10:11]
	s_cbranch_vccz .LBB87_57
; %bb.55:
	v_mov_b32_e32 v3, 29
	v_cmp_eq_u16_sdwa s[10:11], s45, v3 src0_sel:BYTE_0 src1_sel:DWORD
	s_mov_b64 s[0:1], -1
	s_and_b64 vcc, exec, s[10:11]
	s_cbranch_vccz .LBB87_57
; %bb.56:
	v_trunc_f32_e32 v3, v2
	v_mul_f32_e32 v6, 0x2f800000, v3
	v_floor_f32_e32 v6, v6
	v_fmac_f32_e32 v3, 0xcf800000, v6
	v_cvt_u32_f32_e32 v7, v6
	v_cvt_u32_f32_e32 v6, v3
	s_mov_b64 s[8:9], -1
	s_mov_b64 s[0:1], 0
	s_mov_b64 s[10:11], 0
	global_store_dwordx2 v[0:1], v[6:7], off
	s_branch .LBB87_58
.LBB87_57:
	s_mov_b64 s[10:11], 0
.LBB87_58:
	s_and_b64 vcc, exec, s[10:11]
	s_cbranch_vccz .LBB87_74
; %bb.59:
	v_mov_b32_e32 v3, 27
	v_cmp_lt_i16_sdwa s[10:11], s45, v3 src0_sel:BYTE_0 src1_sel:DWORD
	s_mov_b64 s[8:9], -1
	s_and_b64 vcc, exec, s[10:11]
	s_cbranch_vccnz .LBB87_65
; %bb.60:
	v_cmp_gt_i16_sdwa s[10:11], s45, v3 src0_sel:BYTE_0 src1_sel:DWORD
	v_cvt_u32_f32_e32 v3, v2
	s_and_b64 vcc, exec, s[10:11]
	s_cbranch_vccz .LBB87_62
; %bb.61:
	s_mov_b64 s[8:9], 0
	global_store_dword v[0:1], v3, off
.LBB87_62:
	s_andn2_b64 vcc, exec, s[8:9]
	s_cbranch_vccnz .LBB87_64
; %bb.63:
	global_store_short v[0:1], v3, off
.LBB87_64:
	s_mov_b64 s[8:9], 0
.LBB87_65:
	s_andn2_b64 vcc, exec, s[8:9]
	s_cbranch_vccnz .LBB87_73
; %bb.66:
	v_and_b32_e32 v3, 0x7fffffff, v5
	s_mov_b32 s8, 0x43800000
	v_cmp_gt_u32_e32 vcc, s8, v3
	v_mov_b32_e32 v6, 0x80
	s_and_saveexec_b64 s[8:9], vcc
	s_cbranch_execz .LBB87_72
; %bb.67:
	s_mov_b32 s10, 0x3bffffff
	v_cmp_lt_u32_e32 vcc, s10, v3
	s_mov_b64 s[10:11], 0
                                        ; implicit-def: $vgpr3
	s_and_saveexec_b64 s[12:13], vcc
	s_xor_b64 s[12:13], exec, s[12:13]
	s_cbranch_execz .LBB87_309
; %bb.68:
	v_bfe_u32 v3, v2, 20, 1
	s_mov_b32 s14, 0x487ffff
	v_add3_u32 v3, v2, v3, s14
	s_mov_b64 s[10:11], exec
	v_lshrrev_b32_e32 v3, 20, v3
	s_or_saveexec_b64 s[12:13], s[12:13]
                                        ; implicit-def: $sgpr14
	s_xor_b64 exec, exec, s[12:13]
	s_cbranch_execnz .LBB87_310
.LBB87_69:
	s_or_b64 exec, exec, s[12:13]
	v_mov_b32_e32 v6, s14
	s_and_saveexec_b64 s[12:13], s[10:11]
.LBB87_70:
	v_lshrrev_b32_e32 v6, 24, v2
	s_movk_i32 s10, 0x80
	v_and_or_b32 v6, v6, s10, v3
.LBB87_71:
	s_or_b64 exec, exec, s[12:13]
.LBB87_72:
	s_or_b64 exec, exec, s[8:9]
	global_store_byte v[0:1], v6, off
.LBB87_73:
	s_mov_b64 s[8:9], -1
.LBB87_74:
	s_mov_b64 s[10:11], 0
.LBB87_75:
	s_and_b64 vcc, exec, s[10:11]
	s_cbranch_vccz .LBB87_116
; %bb.76:
	v_mov_b32_e32 v3, 22
	v_cmp_gt_i16_sdwa s[12:13], s45, v3 src0_sel:BYTE_0 src1_sel:DWORD
	s_mov_b64 s[10:11], -1
	s_and_b64 vcc, exec, s[12:13]
	s_cbranch_vccz .LBB87_108
; %bb.77:
	v_mov_b32_e32 v3, 24
	v_cmp_lt_i16_sdwa s[10:11], s45, v3 src0_sel:BYTE_0 src1_sel:DWORD
	s_mov_b64 s[8:9], -1
	s_and_b64 vcc, exec, s[10:11]
	s_cbranch_vccnz .LBB87_97
; %bb.78:
	v_cmp_gt_i16_sdwa s[10:11], s45, v3 src0_sel:BYTE_0 src1_sel:DWORD
	s_and_b64 vcc, exec, s[10:11]
	s_cbranch_vccz .LBB87_86
; %bb.79:
	v_and_b32_e32 v3, 0x7fffffff, v5
	s_mov_b32 s8, 0x47800000
	v_cmp_gt_u32_e32 vcc, s8, v3
	v_mov_b32_e32 v6, 0x80
	s_and_saveexec_b64 s[8:9], vcc
	s_cbranch_execz .LBB87_85
; %bb.80:
	s_mov_b32 s10, 0x37ffffff
	v_cmp_lt_u32_e32 vcc, s10, v3
	s_mov_b64 s[10:11], 0
                                        ; implicit-def: $vgpr3
	s_and_saveexec_b64 s[12:13], vcc
	s_xor_b64 s[12:13], exec, s[12:13]
	s_cbranch_execz .LBB87_313
; %bb.81:
	v_bfe_u32 v3, v2, 21, 1
	s_mov_b32 s14, 0x88fffff
	v_add3_u32 v3, v2, v3, s14
	s_mov_b64 s[10:11], exec
	v_lshrrev_b32_e32 v3, 21, v3
	s_or_saveexec_b64 s[12:13], s[12:13]
                                        ; implicit-def: $sgpr14
	s_xor_b64 exec, exec, s[12:13]
	s_cbranch_execnz .LBB87_314
.LBB87_82:
	s_or_b64 exec, exec, s[12:13]
	v_mov_b32_e32 v6, s14
	s_and_saveexec_b64 s[12:13], s[10:11]
.LBB87_83:
	v_lshrrev_b32_e32 v6, 24, v2
	s_movk_i32 s10, 0x80
	v_and_or_b32 v6, v6, s10, v3
.LBB87_84:
	s_or_b64 exec, exec, s[12:13]
.LBB87_85:
	s_or_b64 exec, exec, s[8:9]
	s_mov_b64 s[8:9], 0
	global_store_byte v[0:1], v6, off
.LBB87_86:
	s_and_b64 vcc, exec, s[8:9]
	s_cbranch_vccz .LBB87_96
; %bb.87:
	v_and_b32_e32 v6, 0x7fffffff, v5
	s_mov_b32 s8, 0x43f00000
	v_cmp_gt_u32_e32 vcc, s8, v6
                                        ; implicit-def: $vgpr3
	s_and_saveexec_b64 s[8:9], vcc
	s_xor_b64 s[8:9], exec, s[8:9]
	s_cbranch_execz .LBB87_93
; %bb.88:
	s_mov_b32 s10, 0x3c7fffff
	v_cmp_lt_u32_e32 vcc, s10, v6
                                        ; implicit-def: $vgpr3
	s_and_saveexec_b64 s[10:11], vcc
	s_xor_b64 s[10:11], exec, s[10:11]
; %bb.89:
	v_bfe_u32 v3, v2, 20, 1
	s_mov_b32 s12, 0x407ffff
	v_add3_u32 v3, v2, v3, s12
	v_lshrrev_b32_e32 v6, 20, v3
	v_and_b32_e32 v3, 0xff00000, v3
	s_mov_b32 s12, 0x7f00000
	v_mov_b32_e32 v7, 0x7e
	v_cmp_ne_u32_e32 vcc, s12, v3
	v_cndmask_b32_e32 v3, v7, v6, vcc
; %bb.90:
	s_andn2_saveexec_b64 s[10:11], s[10:11]
; %bb.91:
	s_mov_b32 s12, 0x46800000
	v_add_f32_e64 v3, |v5|, s12
; %bb.92:
	s_or_b64 exec, exec, s[10:11]
                                        ; implicit-def: $vgpr6
.LBB87_93:
	s_andn2_saveexec_b64 s[8:9], s[8:9]
; %bb.94:
	s_mov_b32 s10, 0x7f800000
	v_mov_b32_e32 v3, 0x7e
	v_mov_b32_e32 v7, 0x7f
	v_cmp_lt_u32_e32 vcc, s10, v6
	v_cndmask_b32_e32 v3, v3, v7, vcc
; %bb.95:
	s_or_b64 exec, exec, s[8:9]
	v_lshrrev_b32_e32 v6, 24, v2
	s_movk_i32 s8, 0x80
	v_and_or_b32 v3, v6, s8, v3
	global_store_byte v[0:1], v3, off
.LBB87_96:
	s_mov_b64 s[8:9], 0
.LBB87_97:
	s_andn2_b64 vcc, exec, s[8:9]
	s_cbranch_vccnz .LBB87_107
; %bb.98:
	v_and_b32_e32 v6, 0x7fffffff, v5
	s_mov_b32 s8, 0x47800000
	v_cmp_gt_u32_e32 vcc, s8, v6
                                        ; implicit-def: $vgpr3
	s_and_saveexec_b64 s[8:9], vcc
	s_xor_b64 s[8:9], exec, s[8:9]
	s_cbranch_execz .LBB87_104
; %bb.99:
	s_mov_b32 s10, 0x387fffff
	v_cmp_lt_u32_e32 vcc, s10, v6
                                        ; implicit-def: $vgpr3
	s_and_saveexec_b64 s[10:11], vcc
	s_xor_b64 s[10:11], exec, s[10:11]
; %bb.100:
	v_bfe_u32 v3, v2, 21, 1
	s_mov_b32 s12, 0x80fffff
	v_add3_u32 v3, v2, v3, s12
	v_lshrrev_b32_e32 v3, 21, v3
                                        ; implicit-def: $vgpr5
; %bb.101:
	s_andn2_saveexec_b64 s[10:11], s[10:11]
; %bb.102:
	s_mov_b32 s12, 0x43000000
	v_add_f32_e64 v3, |v5|, s12
; %bb.103:
	s_or_b64 exec, exec, s[10:11]
                                        ; implicit-def: $vgpr6
.LBB87_104:
	s_andn2_saveexec_b64 s[8:9], s[8:9]
; %bb.105:
	s_mov_b32 s10, 0x7f800000
	v_mov_b32_e32 v3, 0x7c
	v_mov_b32_e32 v5, 0x7f
	v_cmp_lt_u32_e32 vcc, s10, v6
	v_cndmask_b32_e32 v3, v3, v5, vcc
; %bb.106:
	s_or_b64 exec, exec, s[8:9]
	v_lshrrev_b32_e32 v5, 24, v2
	s_movk_i32 s8, 0x80
	v_and_or_b32 v3, v5, s8, v3
	global_store_byte v[0:1], v3, off
.LBB87_107:
	s_mov_b64 s[10:11], 0
	s_mov_b64 s[8:9], -1
.LBB87_108:
	s_andn2_b64 vcc, exec, s[10:11]
	s_cbranch_vccnz .LBB87_116
; %bb.109:
	v_mov_b32_e32 v3, 14
	v_cmp_gt_i16_sdwa s[12:13], s45, v3 src0_sel:BYTE_0 src1_sel:DWORD
	s_mov_b64 s[10:11], -1
	s_and_b64 vcc, exec, s[12:13]
	s_cbranch_vccz .LBB87_113
; %bb.110:
	v_mov_b32_e32 v3, 15
	v_cmp_eq_u16_sdwa s[10:11], s45, v3 src0_sel:BYTE_0 src1_sel:DWORD
	s_mov_b64 s[0:1], -1
	s_and_b64 vcc, exec, s[10:11]
	s_cbranch_vccz .LBB87_112
; %bb.111:
	v_bfe_u32 v3, v2, 16, 1
	s_movk_i32 s0, 0x7fff
	v_add3_u32 v3, v2, v3, s0
	v_lshrrev_b32_e32 v3, 16, v3
	v_mov_b32_e32 v5, 0x7fc0
	v_cmp_o_f32_e32 vcc, v2, v2
	v_cndmask_b32_e32 v3, v5, v3, vcc
	global_store_short v[0:1], v3, off
	s_mov_b64 s[8:9], -1
	s_mov_b64 s[0:1], 0
.LBB87_112:
	s_mov_b64 s[10:11], 0
.LBB87_113:
	s_and_b64 vcc, exec, s[10:11]
	s_cbranch_vccz .LBB87_116
; %bb.114:
	v_mov_b32_e32 v3, 11
	v_cmp_eq_u16_sdwa s[10:11], s45, v3 src0_sel:BYTE_0 src1_sel:DWORD
	s_mov_b64 s[0:1], -1
	s_and_b64 vcc, exec, s[10:11]
	s_cbranch_vccz .LBB87_116
; %bb.115:
	v_cmp_neq_f32_e32 vcc, 0, v2
	v_cndmask_b32_e64 v3, 0, 1, vcc
	s_mov_b64 s[8:9], -1
	s_mov_b64 s[0:1], 0
	global_store_byte v[0:1], v3, off
.LBB87_116:
	s_branch .LBB87_35
.LBB87_117:
	v_mov_b32_e32 v3, 5
	v_cmp_lt_i16_sdwa s[10:11], s45, v3 src0_sel:BYTE_0 src1_sel:DWORD
	s_mov_b64 s[8:9], -1
	s_and_b64 vcc, exec, s[10:11]
	s_cbranch_vccnz .LBB87_138
; %bb.118:
	v_mov_b32_e32 v3, 8
	v_cmp_lt_i16_sdwa s[10:11], s45, v3 src0_sel:BYTE_0 src1_sel:DWORD
	s_and_b64 vcc, exec, s[10:11]
	s_cbranch_vccnz .LBB87_128
; %bb.119:
	v_mov_b32_e32 v3, 9
	v_cmp_lt_i16_sdwa s[10:11], s45, v3 src0_sel:BYTE_0 src1_sel:DWORD
	s_and_b64 vcc, exec, s[10:11]
	s_cbranch_vccnz .LBB87_125
; %bb.120:
	v_cmp_gt_i16_sdwa s[10:11], s45, v3 src0_sel:BYTE_0 src1_sel:DWORD
	s_and_b64 vcc, exec, s[10:11]
	s_cbranch_vccz .LBB87_122
; %bb.121:
	v_mov_b32_e32 v12, 0
	v_cvt_f64_f32_e32 v[10:11], v2
	v_mov_b32_e32 v13, v12
	global_store_dwordx4 v[0:1], v[10:13], off
	s_mov_b64 s[8:9], 0
.LBB87_122:
	s_andn2_b64 vcc, exec, s[8:9]
	s_cbranch_vccnz .LBB87_124
; %bb.123:
	v_mov_b32_e32 v3, 0
	global_store_dwordx2 v[0:1], v[2:3], off
.LBB87_124:
	s_mov_b64 s[8:9], 0
.LBB87_125:
	s_andn2_b64 vcc, exec, s[8:9]
	s_cbranch_vccnz .LBB87_127
; %bb.126:
	v_cvt_f16_f32_e32 v3, v2
	global_store_dword v[0:1], v3, off
.LBB87_127:
	s_mov_b64 s[8:9], 0
.LBB87_128:
	s_andn2_b64 vcc, exec, s[8:9]
	s_cbranch_vccnz .LBB87_137
; %bb.129:
	v_mov_b32_e32 v3, 6
	v_cmp_lt_i16_sdwa s[10:11], s45, v3 src0_sel:BYTE_0 src1_sel:DWORD
	s_mov_b64 s[8:9], -1
	s_and_b64 vcc, exec, s[10:11]
	s_cbranch_vccnz .LBB87_135
; %bb.130:
	v_cmp_gt_i16_sdwa s[10:11], s45, v3 src0_sel:BYTE_0 src1_sel:DWORD
	s_and_b64 vcc, exec, s[10:11]
	s_cbranch_vccz .LBB87_132
; %bb.131:
	v_cvt_f64_f32_e32 v[6:7], v2
	global_store_dwordx2 v[0:1], v[6:7], off
	s_mov_b64 s[8:9], 0
.LBB87_132:
	s_andn2_b64 vcc, exec, s[8:9]
	s_cbranch_vccnz .LBB87_134
; %bb.133:
	global_store_dword v[0:1], v2, off
.LBB87_134:
	s_mov_b64 s[8:9], 0
.LBB87_135:
	s_andn2_b64 vcc, exec, s[8:9]
	s_cbranch_vccnz .LBB87_137
; %bb.136:
	v_cvt_f16_f32_e32 v3, v2
	global_store_short v[0:1], v3, off
.LBB87_137:
	s_mov_b64 s[8:9], 0
.LBB87_138:
	s_andn2_b64 vcc, exec, s[8:9]
	s_cbranch_vccnz .LBB87_154
; %bb.139:
	v_mov_b32_e32 v3, 2
	v_cmp_lt_i16_sdwa s[10:11], s45, v3 src0_sel:BYTE_0 src1_sel:DWORD
	s_mov_b64 s[8:9], -1
	s_and_b64 vcc, exec, s[10:11]
	s_cbranch_vccnz .LBB87_149
; %bb.140:
	v_mov_b32_e32 v3, 3
	v_cmp_lt_i16_sdwa s[10:11], s45, v3 src0_sel:BYTE_0 src1_sel:DWORD
	s_and_b64 vcc, exec, s[10:11]
	s_cbranch_vccnz .LBB87_146
; %bb.141:
	v_cmp_gt_i16_sdwa s[10:11], s45, v3 src0_sel:BYTE_0 src1_sel:DWORD
	s_and_b64 vcc, exec, s[10:11]
	s_cbranch_vccz .LBB87_143
; %bb.142:
	v_trunc_f32_e32 v3, v2
	s_mov_b32 s8, 0x2f800000
	v_mul_f32_e64 v5, |v3|, s8
	v_floor_f32_e32 v5, v5
	s_mov_b32 s8, 0xcf800000
	v_cvt_u32_f32_e32 v6, v5
	v_fma_f32 v5, v5, s8, |v3|
	v_cvt_u32_f32_e32 v5, v5
	v_ashrrev_i32_e32 v3, 31, v3
	v_xor_b32_e32 v7, v6, v3
	s_mov_b64 s[8:9], 0
	v_xor_b32_e32 v5, v5, v3
	v_sub_co_u32_e32 v6, vcc, v5, v3
	v_subb_co_u32_e32 v7, vcc, v7, v3, vcc
	global_store_dwordx2 v[0:1], v[6:7], off
.LBB87_143:
	s_andn2_b64 vcc, exec, s[8:9]
	s_cbranch_vccnz .LBB87_145
; %bb.144:
	v_cvt_i32_f32_e32 v3, v2
	global_store_dword v[0:1], v3, off
.LBB87_145:
	s_mov_b64 s[8:9], 0
.LBB87_146:
	s_andn2_b64 vcc, exec, s[8:9]
	s_cbranch_vccnz .LBB87_148
; %bb.147:
	v_cvt_i32_f32_e32 v3, v2
	global_store_short v[0:1], v3, off
.LBB87_148:
	s_mov_b64 s[8:9], 0
.LBB87_149:
	s_andn2_b64 vcc, exec, s[8:9]
	s_cbranch_vccnz .LBB87_154
; %bb.150:
	v_mov_b32_e32 v3, 0
	v_cmp_gt_i16_sdwa s[10:11], s45, v3 src0_sel:BYTE_0 src1_sel:DWORD
	s_mov_b64 s[8:9], -1
	s_and_b64 vcc, exec, s[10:11]
	s_cbranch_vccz .LBB87_152
; %bb.151:
	v_cvt_i32_f32_e32 v3, v2
	s_mov_b64 s[8:9], 0
	global_store_byte v[0:1], v3, off
.LBB87_152:
	s_andn2_b64 vcc, exec, s[8:9]
	s_cbranch_vccnz .LBB87_154
; %bb.153:
	v_trunc_f32_e32 v2, v2
	s_mov_b32 s8, 0x2f800000
	v_mul_f32_e64 v3, |v2|, s8
	v_floor_f32_e32 v3, v3
	s_mov_b32 s8, 0xcf800000
	v_fma_f32 v3, v3, s8, |v2|
	v_cvt_u32_f32_e32 v3, v3
	v_ashrrev_i32_e32 v2, 31, v2
	v_xor_b32_e32 v3, v3, v2
	v_sub_u32_e32 v2, v3, v2
	global_store_byte v[0:1], v2, off
.LBB87_154:
.LBB87_155:
	v_add_u32_e32 v8, 0x80, v8
	s_mov_b64 s[8:9], -1
	s_branch .LBB87_266
.LBB87_156:
	s_mov_b64 s[2:3], -1
                                        ; implicit-def: $vgpr5
.LBB87_157:
	s_mov_b64 s[8:9], 0
.LBB87_158:
	s_and_b64 vcc, exec, s[8:9]
	s_cbranch_vccz .LBB87_162
; %bb.159:
	v_cmp_eq_u16_e32 vcc, 29, v4
	s_cbranch_vccz .LBB87_161
; %bb.160:
	global_load_dwordx2 v[6:7], v[2:3], off
	s_mov_b64 s[0:1], -1
	s_mov_b64 s[2:3], 0
	s_mov_b64 s[8:9], 0
	s_waitcnt vmcnt(0)
	v_ffbh_u32_e32 v1, v7
	v_min_u32_e32 v1, 32, v1
	v_lshlrev_b64 v[6:7], v1, v[6:7]
	v_min_u32_e32 v5, 1, v6
	v_or_b32_e32 v5, v7, v5
	v_cvt_f32_u32_e32 v5, v5
	v_sub_u32_e32 v1, 32, v1
	v_ldexp_f32 v5, v5, v1
	s_branch .LBB87_163
.LBB87_161:
	s_mov_b64 s[2:3], -1
                                        ; implicit-def: $vgpr5
.LBB87_162:
	s_mov_b64 s[8:9], 0
.LBB87_163:
	s_and_b64 vcc, exec, s[8:9]
	s_cbranch_vccz .LBB87_181
; %bb.164:
	v_cmp_gt_i16_e32 vcc, 27, v4
	s_cbranch_vccnz .LBB87_167
; %bb.165:
	v_cmp_lt_i16_e32 vcc, 27, v4
	s_cbranch_vccz .LBB87_168
; %bb.166:
	global_load_dword v1, v[2:3], off
	s_mov_b64 s[0:1], 0
	s_waitcnt vmcnt(0)
	v_cvt_f32_u32_e32 v5, v1
	s_branch .LBB87_169
.LBB87_167:
	s_mov_b64 s[0:1], -1
                                        ; implicit-def: $vgpr5
	s_branch .LBB87_172
.LBB87_168:
	s_mov_b64 s[0:1], -1
                                        ; implicit-def: $vgpr5
.LBB87_169:
	s_andn2_b64 vcc, exec, s[0:1]
	s_cbranch_vccnz .LBB87_171
; %bb.170:
	global_load_ushort v1, v[2:3], off
	s_waitcnt vmcnt(0)
	v_cvt_f32_u32_e32 v5, v1
.LBB87_171:
	s_mov_b64 s[0:1], 0
.LBB87_172:
	s_andn2_b64 vcc, exec, s[0:1]
	s_cbranch_vccnz .LBB87_180
; %bb.173:
	global_load_ubyte v1, v[2:3], off
	s_movk_i32 s0, 0x7f
                                        ; implicit-def: $sgpr12
	s_waitcnt vmcnt(0)
	v_cmp_lt_i16_e32 vcc, s0, v1
	s_mov_b64 s[0:1], 0
	s_and_saveexec_b64 s[8:9], vcc
	s_xor_b64 s[8:9], exec, s[8:9]
	s_cbranch_execz .LBB87_193
; %bb.174:
	s_movk_i32 s0, 0x80
	v_cmp_eq_u16_e32 vcc, s0, v1
	s_mov_b64 s[0:1], -1
                                        ; implicit-def: $sgpr12
	s_and_saveexec_b64 s[10:11], vcc
; %bb.175:
	s_mov_b32 s12, 0x7f800001
	s_xor_b64 s[0:1], exec, -1
; %bb.176:
	s_or_b64 exec, exec, s[10:11]
	s_and_b64 s[0:1], s[0:1], exec
	s_or_saveexec_b64 s[8:9], s[8:9]
	v_mov_b32_e32 v5, s12
	s_xor_b64 exec, exec, s[8:9]
	s_cbranch_execnz .LBB87_194
.LBB87_177:
	s_or_b64 exec, exec, s[8:9]
	s_and_saveexec_b64 s[8:9], s[0:1]
	s_cbranch_execz .LBB87_179
.LBB87_178:
	v_lshlrev_b32_e32 v5, 24, v1
	v_and_b32_e32 v1, 0xffff, v1
	v_and_b32_e32 v6, 7, v1
	v_ffbh_u32_e32 v9, v6
	v_min_u32_e32 v9, 32, v9
	v_subrev_u32_e32 v10, 28, v9
	v_bfe_u32 v7, v1, 3, 4
	v_lshlrev_b32_e32 v1, v10, v1
	v_sub_u32_e32 v9, 29, v9
	v_and_b32_e32 v1, 7, v1
	v_cmp_eq_u32_e32 vcc, 0, v7
	v_cndmask_b32_e32 v7, v7, v9, vcc
	v_cndmask_b32_e32 v1, v6, v1, vcc
	v_mov_b32_e32 v6, 0x3b800000
	v_lshlrev_b32_e32 v1, 20, v1
	v_and_b32_e32 v5, 0x80000000, v5
	v_lshl_add_u32 v6, v7, 23, v6
	v_or3_b32 v5, v5, v6, v1
.LBB87_179:
	s_or_b64 exec, exec, s[8:9]
.LBB87_180:
	s_mov_b64 s[0:1], -1
.LBB87_181:
	s_branch .LBB87_216
.LBB87_182:
	v_cmp_lt_i16_e32 vcc, 22, v4
	s_cbranch_vccz .LBB87_192
; %bb.183:
	v_cmp_gt_i16_e32 vcc, 24, v4
	s_cbranch_vccnz .LBB87_195
; %bb.184:
	v_cmp_lt_i16_e32 vcc, 24, v4
	s_cbranch_vccz .LBB87_196
; %bb.185:
	global_load_ubyte v1, v[2:3], off
	s_movk_i32 s0, 0x7f
                                        ; implicit-def: $sgpr12
	s_waitcnt vmcnt(0)
	v_cmp_lt_i16_e32 vcc, s0, v1
	s_mov_b64 s[0:1], 0
	s_and_saveexec_b64 s[8:9], vcc
	s_xor_b64 s[8:9], exec, s[8:9]
	s_cbranch_execz .LBB87_208
; %bb.186:
	s_movk_i32 s0, 0x80
	v_cmp_eq_u16_e32 vcc, s0, v1
	s_mov_b64 s[0:1], -1
                                        ; implicit-def: $sgpr12
	s_and_saveexec_b64 s[10:11], vcc
; %bb.187:
	s_mov_b32 s12, 0x7f800001
	s_xor_b64 s[0:1], exec, -1
; %bb.188:
	s_or_b64 exec, exec, s[10:11]
	s_and_b64 s[0:1], s[0:1], exec
	s_or_saveexec_b64 s[8:9], s[8:9]
	v_mov_b32_e32 v5, s12
	s_xor_b64 exec, exec, s[8:9]
	s_cbranch_execnz .LBB87_209
.LBB87_189:
	s_or_b64 exec, exec, s[8:9]
	s_and_saveexec_b64 s[8:9], s[0:1]
	s_cbranch_execz .LBB87_191
.LBB87_190:
	v_lshlrev_b32_e32 v5, 24, v1
	v_and_b32_e32 v1, 0xffff, v1
	v_and_b32_e32 v6, 3, v1
	v_ffbh_u32_e32 v9, v6
	v_min_u32_e32 v9, 32, v9
	v_subrev_u32_e32 v10, 29, v9
	v_bfe_u32 v7, v1, 2, 5
	v_lshlrev_b32_e32 v1, v10, v1
	v_sub_u32_e32 v9, 30, v9
	v_and_b32_e32 v1, 3, v1
	v_cmp_eq_u32_e32 vcc, 0, v7
	v_cndmask_b32_e32 v7, v7, v9, vcc
	v_cndmask_b32_e32 v1, v6, v1, vcc
	v_mov_b32_e32 v6, 0x37800000
	v_lshlrev_b32_e32 v1, 21, v1
	v_and_b32_e32 v5, 0x80000000, v5
	v_lshl_add_u32 v6, v7, 23, v6
	v_or3_b32 v5, v5, v6, v1
.LBB87_191:
	s_or_b64 exec, exec, s[8:9]
	s_mov_b64 s[0:1], 0
	s_branch .LBB87_197
.LBB87_192:
	s_mov_b64 s[8:9], -1
                                        ; implicit-def: $vgpr5
	s_branch .LBB87_203
.LBB87_193:
	s_or_saveexec_b64 s[8:9], s[8:9]
	v_mov_b32_e32 v5, s12
	s_xor_b64 exec, exec, s[8:9]
	s_cbranch_execz .LBB87_177
.LBB87_194:
	v_cmp_ne_u16_e32 vcc, 0, v1
	s_andn2_b64 s[0:1], s[0:1], exec
	s_and_b64 s[10:11], vcc, exec
	v_mov_b32_e32 v5, 0
	s_or_b64 s[0:1], s[0:1], s[10:11]
	s_or_b64 exec, exec, s[8:9]
	s_and_saveexec_b64 s[8:9], s[0:1]
	s_cbranch_execnz .LBB87_178
	s_branch .LBB87_179
.LBB87_195:
	s_mov_b64 s[0:1], -1
                                        ; implicit-def: $vgpr5
	s_branch .LBB87_200
.LBB87_196:
	s_mov_b64 s[0:1], -1
                                        ; implicit-def: $vgpr5
.LBB87_197:
	s_and_b64 vcc, exec, s[0:1]
	s_cbranch_vccz .LBB87_199
; %bb.198:
	global_load_ubyte v1, v[2:3], off
	s_mov_b32 s0, 0x7f800000
	s_waitcnt vmcnt(0)
	v_lshlrev_b32_e32 v1, 24, v1
	v_and_b32_e32 v5, 0x7f000000, v1
	v_ffbh_u32_e32 v6, v5
	v_min_u32_e32 v6, 32, v6
	v_sub_u32_e64 v6, v6, 4 clamp
	v_lshlrev_b32_e32 v9, v6, v5
	v_lshlrev_b32_e32 v6, 23, v6
	v_lshrrev_b32_e32 v9, 4, v9
	v_add_u32_e32 v7, 0x1000000, v5
	v_sub_u32_e32 v6, v9, v6
	v_ashrrev_i32_e32 v7, 8, v7
	v_add_u32_e32 v6, 0x3c000000, v6
	v_and_or_b32 v6, v7, s0, v6
	v_cmp_ne_u32_e32 vcc, 0, v5
	v_cndmask_b32_e32 v5, 0, v6, vcc
	s_brev_b32 s0, 1
	v_and_or_b32 v5, v1, s0, v5
.LBB87_199:
	s_mov_b64 s[0:1], 0
.LBB87_200:
	s_andn2_b64 vcc, exec, s[0:1]
	s_cbranch_vccnz .LBB87_202
; %bb.201:
	global_load_ubyte v1, v[2:3], off
	s_movk_i32 s0, 0x7f00
	s_brev_b32 s1, 16
	s_waitcnt vmcnt(0)
	v_lshlrev_b16_e32 v5, 8, v1
	v_lshlrev_b32_e32 v1, 25, v1
	v_lshrrev_b32_e32 v6, 4, v1
	v_and_or_b32 v7, v5, s0, 0.5
	v_or_b32_e32 v6, 0x70000000, v6
	v_add_f32_e32 v7, -0.5, v7
	v_mul_f32_e32 v6, 0x7800000, v6
	v_cmp_gt_u32_e32 vcc, s1, v1
	v_bfe_i32 v5, v5, 0, 16
	v_cndmask_b32_e32 v1, v6, v7, vcc
	s_brev_b32 s0, 1
	v_and_or_b32 v5, v5, s0, v1
.LBB87_202:
	s_mov_b64 s[8:9], 0
	s_mov_b64 s[0:1], -1
.LBB87_203:
	s_andn2_b64 vcc, exec, s[8:9]
	s_cbranch_vccnz .LBB87_216
; %bb.204:
	v_cmp_lt_i16_e32 vcc, 14, v4
	s_cbranch_vccz .LBB87_207
; %bb.205:
	v_cmp_eq_u16_e32 vcc, 15, v4
	s_cbranch_vccz .LBB87_210
; %bb.206:
	global_load_ushort v1, v[2:3], off
	s_mov_b64 s[0:1], -1
	s_mov_b64 s[2:3], 0
	s_waitcnt vmcnt(0)
	v_lshlrev_b32_e32 v5, 16, v1
	s_branch .LBB87_211
.LBB87_207:
	s_mov_b64 s[8:9], -1
                                        ; implicit-def: $vgpr5
	s_branch .LBB87_212
.LBB87_208:
	s_or_saveexec_b64 s[8:9], s[8:9]
	v_mov_b32_e32 v5, s12
	s_xor_b64 exec, exec, s[8:9]
	s_cbranch_execz .LBB87_189
.LBB87_209:
	v_cmp_ne_u16_e32 vcc, 0, v1
	s_andn2_b64 s[0:1], s[0:1], exec
	s_and_b64 s[10:11], vcc, exec
	v_mov_b32_e32 v5, 0
	s_or_b64 s[0:1], s[0:1], s[10:11]
	s_or_b64 exec, exec, s[8:9]
	s_and_saveexec_b64 s[8:9], s[0:1]
	s_cbranch_execnz .LBB87_190
	s_branch .LBB87_191
.LBB87_210:
	s_mov_b64 s[2:3], -1
                                        ; implicit-def: $vgpr5
.LBB87_211:
	s_mov_b64 s[8:9], 0
.LBB87_212:
	s_and_b64 vcc, exec, s[8:9]
	s_cbranch_vccz .LBB87_216
; %bb.213:
	v_cmp_eq_u16_e32 vcc, 11, v4
	s_cbranch_vccz .LBB87_215
; %bb.214:
	global_load_ubyte v1, v[2:3], off
	s_mov_b64 s[0:1], -1
	s_mov_b64 s[2:3], 0
	s_waitcnt vmcnt(0)
	v_cmp_ne_u16_e32 vcc, 0, v1
	v_cndmask_b32_e64 v5, 0, 1.0, vcc
	s_branch .LBB87_216
.LBB87_215:
	s_mov_b64 s[2:3], -1
                                        ; implicit-def: $vgpr5
.LBB87_216:
	s_branch .LBB87_25
.LBB87_217:
	v_cmp_gt_i16_e32 vcc, 5, v4
	s_cbranch_vccnz .LBB87_222
; %bb.218:
	v_cmp_gt_i16_e32 vcc, 8, v4
	s_cbranch_vccnz .LBB87_223
; %bb.219:
	;; [unrolled: 3-line block ×3, first 2 shown]
	v_cmp_lt_i16_e32 vcc, 9, v4
	s_cbranch_vccz .LBB87_225
; %bb.221:
	global_load_dwordx2 v[6:7], v[2:3], off
	s_mov_b64 s[0:1], 0
	s_waitcnt vmcnt(0)
	v_cvt_f32_f64_e32 v5, v[6:7]
	s_branch .LBB87_226
.LBB87_222:
                                        ; implicit-def: $vgpr5
	s_branch .LBB87_244
.LBB87_223:
	s_mov_b64 s[0:1], -1
                                        ; implicit-def: $vgpr5
	s_branch .LBB87_232
.LBB87_224:
	s_mov_b64 s[0:1], -1
                                        ; implicit-def: $vgpr5
	s_branch .LBB87_229
.LBB87_225:
	s_mov_b64 s[0:1], -1
                                        ; implicit-def: $vgpr5
.LBB87_226:
	s_andn2_b64 vcc, exec, s[0:1]
	s_cbranch_vccnz .LBB87_228
; %bb.227:
	global_load_dword v5, v[2:3], off
.LBB87_228:
	s_mov_b64 s[0:1], 0
.LBB87_229:
	s_andn2_b64 vcc, exec, s[0:1]
	s_cbranch_vccnz .LBB87_231
; %bb.230:
	global_load_dword v1, v[2:3], off
	s_waitcnt vmcnt(0)
	v_cvt_f32_f16_e32 v5, v1
.LBB87_231:
	s_mov_b64 s[0:1], 0
.LBB87_232:
	s_andn2_b64 vcc, exec, s[0:1]
	s_cbranch_vccnz .LBB87_243
; %bb.233:
	v_cmp_gt_i16_e32 vcc, 6, v4
	s_cbranch_vccnz .LBB87_236
; %bb.234:
	v_cmp_lt_i16_e32 vcc, 6, v4
	s_cbranch_vccz .LBB87_237
; %bb.235:
	global_load_dwordx2 v[6:7], v[2:3], off
	s_mov_b64 s[0:1], 0
	s_waitcnt vmcnt(0)
	v_cvt_f32_f64_e32 v5, v[6:7]
	s_branch .LBB87_238
.LBB87_236:
	s_mov_b64 s[0:1], -1
                                        ; implicit-def: $vgpr5
	s_branch .LBB87_241
.LBB87_237:
	s_mov_b64 s[0:1], -1
                                        ; implicit-def: $vgpr5
.LBB87_238:
	s_andn2_b64 vcc, exec, s[0:1]
	s_cbranch_vccnz .LBB87_240
; %bb.239:
	global_load_dword v5, v[2:3], off
.LBB87_240:
	s_mov_b64 s[0:1], 0
.LBB87_241:
	s_andn2_b64 vcc, exec, s[0:1]
	s_cbranch_vccnz .LBB87_243
; %bb.242:
	global_load_ushort v1, v[2:3], off
	s_waitcnt vmcnt(0)
	v_cvt_f32_f16_e32 v5, v1
.LBB87_243:
	s_cbranch_execnz .LBB87_263
.LBB87_244:
	v_cmp_gt_i16_e32 vcc, 2, v4
	s_cbranch_vccnz .LBB87_248
; %bb.245:
	v_cmp_gt_i16_e32 vcc, 3, v4
	s_cbranch_vccnz .LBB87_249
; %bb.246:
	v_cmp_lt_i16_e32 vcc, 3, v4
	s_cbranch_vccz .LBB87_250
; %bb.247:
	global_load_dwordx2 v[6:7], v[2:3], off
	s_mov_b64 s[0:1], 0
	s_waitcnt vmcnt(0)
	v_xor_b32_e32 v5, v6, v7
	v_ffbh_i32_e32 v1, v7
	v_ashrrev_i32_e32 v5, 31, v5
	v_add_u32_e32 v1, -1, v1
	v_add_u32_e32 v5, 32, v5
	v_min_u32_e32 v1, v1, v5
	v_lshlrev_b64 v[6:7], v1, v[6:7]
	v_min_u32_e32 v5, 1, v6
	v_or_b32_e32 v5, v7, v5
	v_cvt_f32_i32_e32 v5, v5
	v_sub_u32_e32 v1, 32, v1
	v_ldexp_f32 v5, v5, v1
	s_branch .LBB87_251
.LBB87_248:
	s_mov_b64 s[0:1], -1
                                        ; implicit-def: $vgpr5
	s_branch .LBB87_257
.LBB87_249:
	s_mov_b64 s[0:1], -1
                                        ; implicit-def: $vgpr5
	s_branch .LBB87_254
.LBB87_250:
	s_mov_b64 s[0:1], -1
                                        ; implicit-def: $vgpr5
.LBB87_251:
	s_andn2_b64 vcc, exec, s[0:1]
	s_cbranch_vccnz .LBB87_253
; %bb.252:
	global_load_dword v1, v[2:3], off
	s_waitcnt vmcnt(0)
	v_cvt_f32_i32_e32 v5, v1
.LBB87_253:
	s_mov_b64 s[0:1], 0
.LBB87_254:
	s_andn2_b64 vcc, exec, s[0:1]
	s_cbranch_vccnz .LBB87_256
; %bb.255:
	global_load_sshort v1, v[2:3], off
	s_waitcnt vmcnt(0)
	v_cvt_f32_i32_e32 v5, v1
.LBB87_256:
	s_mov_b64 s[0:1], 0
.LBB87_257:
	s_andn2_b64 vcc, exec, s[0:1]
	s_cbranch_vccnz .LBB87_263
; %bb.258:
	v_cmp_lt_i16_e32 vcc, 0, v4
	s_cbranch_vccz .LBB87_260
; %bb.259:
	global_load_sbyte v1, v[2:3], off
	s_mov_b64 s[0:1], 0
	s_waitcnt vmcnt(0)
	v_cvt_f32_i32_e32 v5, v1
	s_branch .LBB87_261
.LBB87_260:
	s_mov_b64 s[0:1], -1
                                        ; implicit-def: $vgpr5
.LBB87_261:
	s_andn2_b64 vcc, exec, s[0:1]
	s_cbranch_vccnz .LBB87_263
; %bb.262:
	global_load_ubyte v1, v[2:3], off
	s_waitcnt vmcnt(0)
	v_cvt_f32_ubyte0_e32 v5, v1
.LBB87_263:
	s_branch .LBB87_26
.LBB87_264:
	s_mov_b64 s[0:1], 0
.LBB87_265:
	s_mov_b64 s[8:9], 0
                                        ; implicit-def: $vgpr8
.LBB87_266:
	s_and_b64 s[54:55], s[0:1], exec
	s_and_b64 s[56:57], s[2:3], exec
	s_orn2_b64 s[2:3], s[8:9], exec
.LBB87_267:
	s_or_b64 exec, exec, s[58:59]
	s_mov_b64 s[10:11], 0
	s_mov_b64 s[0:1], 0
                                        ; implicit-def: $vgpr2_vgpr3
                                        ; implicit-def: $vgpr0
                                        ; implicit-def: $vgpr1
	s_and_saveexec_b64 s[58:59], s[2:3]
	s_cbranch_execz .LBB87_275
; %bb.268:
	v_cmp_gt_i32_e32 vcc, s74, v8
	s_mov_b64 s[0:1], -1
	s_mov_b64 s[60:61], s[56:57]
	s_mov_b64 s[62:63], s[54:55]
	s_and_saveexec_b64 s[64:65], vcc
	s_cbranch_execz .LBB87_544
; %bb.269:
	s_andn2_b64 vcc, exec, s[40:41]
	s_cbranch_vccnz .LBB87_278
; %bb.270:
	s_mov_b32 s60, 0
	s_andn2_b64 vcc, exec, s[52:53]
	v_mov_b32_e32 v2, 0
	v_mov_b32_e32 v0, 0
	s_cbranch_vccnz .LBB87_284
; %bb.271:
	s_add_i32 s68, s75, 1
	s_cmp_eq_u32 s76, 2
	s_cbranch_scc1 .LBB87_279
; %bb.272:
	s_and_b32 s60, s68, 28
	s_mov_b32 s61, 0
	v_mov_b32_e32 v0, 0
	s_mov_b64 s[62:63], s[34:35]
	s_mov_b64 s[66:67], s[50:51]
	v_mov_b32_e32 v3, v8
	v_mov_b32_e32 v2, 0
.LBB87_273:                             ; =>This Inner Loop Header: Depth=1
	s_load_dwordx8 s[16:23], s[62:63], 0x4
	s_load_dwordx4 s[0:3], s[62:63], 0x24
	s_load_dwordx8 s[8:15], s[66:67], 0x0
	s_add_u32 s62, s62, 48
	s_addc_u32 s63, s63, 0
	s_waitcnt lgkmcnt(0)
	v_mul_hi_u32 v1, s17, v3
	v_add_u32_e32 v1, v3, v1
	v_lshrrev_b32_e32 v1, s18, v1
	s_waitcnt vmcnt(0)
	v_mul_lo_u32 v5, v1, s16
	v_mul_hi_u32 v6, s20, v1
	v_sub_u32_e32 v3, v3, v5
	v_add_u32_e32 v5, v1, v6
	v_lshrrev_b32_e32 v5, s21, v5
	v_mul_lo_u32 v7, v5, s19
	v_mul_hi_u32 v9, s23, v5
	v_sub_u32_e32 v1, v1, v7
	v_add_u32_e32 v7, v5, v9
	v_mul_lo_u32 v6, v3, s9
	v_mul_lo_u32 v3, v3, s8
	;; [unrolled: 1-line block ×4, first 2 shown]
	v_lshrrev_b32_e32 v7, s0, v7
	v_add3_u32 v0, v3, v0, v1
	v_mul_hi_u32 v3, s2, v7
	v_add_u32_e32 v3, v7, v3
	v_lshrrev_b32_e32 v3, s3, v3
	s_add_i32 s61, s61, 4
	v_add3_u32 v1, v6, v2, v9
	v_mul_lo_u32 v2, v7, s22
	v_mul_lo_u32 v6, v3, s1
	s_add_u32 s66, s66, 32
	v_sub_u32_e32 v2, v5, v2
	v_sub_u32_e32 v6, v7, v6
	s_addc_u32 s67, s67, 0
	v_mul_lo_u32 v5, v2, s12
	v_mul_lo_u32 v2, v2, s13
	;; [unrolled: 1-line block ×4, first 2 shown]
	s_cmp_eq_u32 s60, s61
	v_add3_u32 v2, v2, v1, v6
	v_add3_u32 v0, v5, v0, v7
	s_cbranch_scc0 .LBB87_273
; %bb.274:
	v_mov_b32_e32 v1, v2
	s_branch .LBB87_280
.LBB87_275:
	s_or_b64 exec, exec, s[58:59]
	s_mov_b64 s[2:3], 0
	s_and_saveexec_b64 s[8:9], s[56:57]
	s_cbranch_execnz .LBB87_922
.LBB87_276:
	s_or_b64 exec, exec, s[8:9]
	s_and_saveexec_b64 s[8:9], s[62:63]
	s_xor_b64 s[8:9], exec, s[8:9]
	s_cbranch_execz .LBB87_923
.LBB87_277:
	global_load_ubyte v1, v[2:3], off
	s_or_b64 s[0:1], s[0:1], exec
	s_waitcnt vmcnt(0)
	v_cmp_ne_u16_e32 vcc, 0, v1
	v_cndmask_b32_e64 v1, 0, 1.0, vcc
	s_or_b64 exec, exec, s[8:9]
	s_and_saveexec_b64 s[8:9], s[10:11]
	s_cbranch_execz .LBB87_969
	s_branch .LBB87_924
.LBB87_278:
                                        ; implicit-def: $vgpr2
                                        ; implicit-def: $vgpr0
	s_andn2_b64 vcc, exec, s[0:1]
	s_cbranch_vccz .LBB87_285
	s_branch .LBB87_287
.LBB87_279:
	s_mov_b32 s61, s60
	v_pk_mov_b32 v[0:1], s[60:61], s[60:61] op_sel:[0,1]
                                        ; implicit-def: $vgpr2
	v_mov_b32_e32 v3, v8
.LBB87_280:
	s_and_b32 s8, s68, 3
	s_cmp_eq_u32 s8, 0
	s_cbranch_scc1 .LBB87_284
; %bb.281:
	s_lshl_b32 s0, s60, 3
	s_add_u32 s0, s0, s34
	s_addc_u32 s1, s35, 0
	s_add_u32 s0, s0, 0xc4
	s_addc_u32 s1, s1, 0
	s_mul_i32 s2, s60, 12
	s_add_u32 s2, s34, s2
	s_addc_u32 s3, s35, 0
.LBB87_282:                             ; =>This Inner Loop Header: Depth=1
	s_load_dwordx2 s[10:11], s[2:3], 0x4
	s_load_dword s9, s[2:3], 0xc
	s_load_dwordx2 s[12:13], s[0:1], 0x0
	v_mov_b32_e32 v2, v1
	s_add_u32 s2, s2, 12
	s_waitcnt lgkmcnt(0)
	v_mul_hi_u32 v1, s11, v3
	v_add_u32_e32 v1, v3, v1
	v_lshrrev_b32_e32 v1, s9, v1
	s_addc_u32 s3, s3, 0
	s_waitcnt vmcnt(0)
	v_mul_lo_u32 v5, v1, s10
	s_add_u32 s0, s0, 8
	v_sub_u32_e32 v5, v3, v5
	v_mov_b32_e32 v3, v1
	s_addc_u32 s1, s1, 0
	s_add_i32 s8, s8, -1
	v_mad_u64_u32 v[6:7], s[10:11], v5, s13, v[2:3]
	v_mad_u64_u32 v[0:1], s[10:11], v5, s12, v[0:1]
	s_cmp_lg_u32 s8, 0
	v_mov_b32_e32 v1, v6
	s_cbranch_scc1 .LBB87_282
; %bb.283:
	v_mov_b32_e32 v2, v1
.LBB87_284:
	s_cbranch_execnz .LBB87_287
.LBB87_285:
	v_mul_hi_u32 v0, s29, v8
	v_add_u32_e32 v0, v8, v0
	v_lshrrev_b32_e32 v1, s30, v0
	v_mul_lo_u32 v0, v1, s28
	v_sub_u32_e32 v0, v8, v0
	v_mul_lo_u32 v2, v0, s37
	s_andn2_b64 vcc, exec, s[48:49]
	v_mul_lo_u32 v0, v0, s36
	s_cbranch_vccnz .LBB87_287
; %bb.286:
	v_mul_hi_u32 v3, s46, v1
	v_add_u32_e32 v3, v1, v3
	v_lshrrev_b32_e32 v3, s47, v3
	v_mul_lo_u32 v3, v3, s31
	v_sub_u32_e32 v3, v1, v3
	v_mad_u64_u32 v[0:1], s[0:1], v3, s38, v[0:1]
	v_mad_u64_u32 v[2:3], s[0:1], v3, s39, v[2:3]
.LBB87_287:
	v_mov_b32_e32 v1, s27
	v_add_co_u32_e32 v2, vcc, s26, v2
	v_addc_co_u32_e32 v3, vcc, 0, v1, vcc
	v_cmp_gt_i16_e32 vcc, 11, v4
	s_cbranch_vccnz .LBB87_294
; %bb.288:
	v_cmp_lt_i16_e32 vcc, 25, v4
	s_cbranch_vccz .LBB87_303
; %bb.289:
	v_cmp_lt_i16_e32 vcc, 28, v4
	s_cbranch_vccz .LBB87_305
; %bb.290:
	v_cmp_lt_i16_e32 vcc, 43, v4
	s_cbranch_vccz .LBB87_307
; %bb.291:
	v_cmp_lt_i16_e32 vcc, 45, v4
	s_cbranch_vccz .LBB87_311
; %bb.292:
	v_cmp_eq_u16_e32 vcc, 46, v4
	s_mov_b64 s[8:9], 0
	s_cbranch_vccz .LBB87_315
; %bb.293:
	global_load_dword v1, v[2:3], off
	s_mov_b64 s[0:1], -1
	s_mov_b64 s[2:3], 0
	s_waitcnt vmcnt(0)
	v_lshlrev_b32_e32 v5, 16, v1
	s_branch .LBB87_316
.LBB87_294:
	s_mov_b64 s[0:1], 0
                                        ; implicit-def: $vgpr5
	s_mov_b64 s[2:3], s[56:57]
	s_cbranch_execnz .LBB87_493
.LBB87_295:
	s_andn2_b64 vcc, exec, s[0:1]
	s_cbranch_vccnz .LBB87_541
.LBB87_296:
	s_brev_b32 s0, -2
	v_mov_b32_e32 v1, s44
	s_waitcnt vmcnt(0)
	v_bfi_b32 v2, s0, v5, v1
	v_mov_b32_e32 v1, s25
	v_add_co_u32_e32 v0, vcc, s24, v0
	v_mov_b32_e32 v3, 11
	v_addc_co_u32_e32 v1, vcc, 0, v1, vcc
	v_cmp_lt_i16_sdwa s[0:1], s45, v3 src0_sel:BYTE_0 src1_sel:DWORD
	s_and_b64 vcc, exec, s[0:1]
	s_cbranch_vccnz .LBB87_304
; %bb.297:
	v_mov_b32_e32 v3, 25
	v_cmp_gt_i16_sdwa s[0:1], s45, v3 src0_sel:BYTE_0 src1_sel:DWORD
	s_and_b64 vcc, exec, s[0:1]
	s_cbranch_vccz .LBB87_306
; %bb.298:
	v_mov_b32_e32 v3, 28
	v_cmp_gt_i16_sdwa s[0:1], s45, v3 src0_sel:BYTE_0 src1_sel:DWORD
	s_and_b64 vcc, exec, s[0:1]
	s_cbranch_vccz .LBB87_308
	;; [unrolled: 5-line block ×4, first 2 shown]
; %bb.301:
	v_mov_b32_e32 v3, 46
	v_cmp_eq_u16_sdwa s[8:9], s45, v3 src0_sel:BYTE_0 src1_sel:DWORD
	s_mov_b64 s[10:11], 0
	s_mov_b64 s[0:1], -1
	s_and_b64 vcc, exec, s[8:9]
	s_mov_b64 s[8:9], 0
	s_cbranch_vccz .LBB87_320
; %bb.302:
	v_bfe_u32 v3, v2, 16, 1
	s_movk_i32 s0, 0x7fff
	v_add3_u32 v3, v2, v3, s0
	v_lshrrev_b32_e32 v3, 16, v3
	v_mov_b32_e32 v6, 0x7fc0
	v_cmp_o_f32_e32 vcc, v2, v2
	v_cndmask_b32_e32 v3, v6, v3, vcc
	global_store_dword v[0:1], v3, off
	s_mov_b64 s[8:9], -1
	s_mov_b64 s[0:1], 0
	s_branch .LBB87_320
.LBB87_303:
	s_mov_b64 s[8:9], -1
	s_mov_b64 s[0:1], 0
	s_mov_b64 s[2:3], s[56:57]
                                        ; implicit-def: $vgpr5
	s_branch .LBB87_457
.LBB87_304:
	s_mov_b64 s[10:11], -1
	s_mov_b64 s[8:9], 0
	s_mov_b64 s[0:1], s[54:55]
	s_branch .LBB87_389
.LBB87_305:
	s_mov_b64 s[8:9], -1
	s_mov_b64 s[0:1], 0
	s_mov_b64 s[2:3], s[56:57]
                                        ; implicit-def: $vgpr5
	s_branch .LBB87_438
.LBB87_306:
	s_mov_b64 s[10:11], -1
	s_mov_b64 s[8:9], 0
	s_mov_b64 s[0:1], s[54:55]
	s_branch .LBB87_347
.LBB87_307:
	s_mov_b64 s[8:9], -1
	s_mov_b64 s[0:1], 0
	s_mov_b64 s[2:3], s[56:57]
                                        ; implicit-def: $vgpr5
	s_branch .LBB87_433
.LBB87_308:
	s_mov_b64 s[10:11], -1
	s_mov_b64 s[8:9], 0
	s_mov_b64 s[0:1], s[54:55]
	s_branch .LBB87_330
.LBB87_309:
	s_or_saveexec_b64 s[12:13], s[12:13]
                                        ; implicit-def: $sgpr14
	s_xor_b64 exec, exec, s[12:13]
	s_cbranch_execz .LBB87_69
.LBB87_310:
	s_mov_b32 s14, 0x46000000
	v_add_f32_e64 v3, |v5|, s14
	v_and_b32_e32 v3, 0xff, v3
	v_cmp_ne_u32_e32 vcc, 0, v3
	s_andn2_b64 s[10:11], s[10:11], exec
	s_and_b64 s[16:17], vcc, exec
	s_mov_b32 s14, 0
	s_or_b64 s[10:11], s[10:11], s[16:17]
	s_or_b64 exec, exec, s[12:13]
	v_mov_b32_e32 v6, s14
	s_and_saveexec_b64 s[12:13], s[10:11]
	s_cbranch_execnz .LBB87_70
	s_branch .LBB87_71
.LBB87_311:
	s_mov_b64 s[8:9], -1
	s_mov_b64 s[0:1], 0
	s_mov_b64 s[2:3], s[56:57]
                                        ; implicit-def: $vgpr5
	s_branch .LBB87_316
.LBB87_312:
	s_mov_b64 s[10:11], -1
	s_mov_b64 s[8:9], 0
	s_mov_b64 s[0:1], s[54:55]
	s_branch .LBB87_326
.LBB87_313:
	s_or_saveexec_b64 s[12:13], s[12:13]
                                        ; implicit-def: $sgpr14
	s_xor_b64 exec, exec, s[12:13]
	s_cbranch_execz .LBB87_82
.LBB87_314:
	s_mov_b32 s14, 0x42800000
	v_add_f32_e64 v3, |v5|, s14
	v_and_b32_e32 v3, 0xff, v3
	v_cmp_ne_u32_e32 vcc, 0, v3
	s_andn2_b64 s[10:11], s[10:11], exec
	s_and_b64 s[16:17], vcc, exec
	s_mov_b32 s14, 0
	s_or_b64 s[10:11], s[10:11], s[16:17]
	s_or_b64 exec, exec, s[12:13]
	v_mov_b32_e32 v6, s14
	s_and_saveexec_b64 s[12:13], s[10:11]
	s_cbranch_execnz .LBB87_83
	s_branch .LBB87_84
.LBB87_315:
	s_mov_b64 s[2:3], -1
                                        ; implicit-def: $vgpr5
	s_mov_b64 s[0:1], 0
.LBB87_316:
	s_and_b64 vcc, exec, s[8:9]
	s_cbranch_vccz .LBB87_432
; %bb.317:
	v_cmp_eq_u16_e32 vcc, 44, v4
	s_cbranch_vccz .LBB87_431
; %bb.318:
	global_load_ubyte v1, v[2:3], off
	s_movk_i32 s2, 0xff
	s_waitcnt vmcnt(1)
	v_mov_b32_e32 v5, 0x7f800001
	v_mov_b32_e32 v6, 0x400000
	s_mov_b64 s[0:1], -1
	s_waitcnt vmcnt(0)
	v_lshlrev_b32_e32 v7, 23, v1
	v_cmp_ne_u32_e32 vcc, s2, v1
	v_cndmask_b32_e32 v5, v5, v7, vcc
	v_cmp_ne_u32_e32 vcc, 0, v1
	v_cndmask_b32_e32 v5, v6, v5, vcc
	s_mov_b64 s[2:3], 0
	s_branch .LBB87_432
.LBB87_319:
	s_mov_b64 s[10:11], -1
	s_mov_b64 s[8:9], 0
	s_mov_b64 s[0:1], s[54:55]
.LBB87_320:
	s_and_b64 vcc, exec, s[10:11]
	s_cbranch_vccz .LBB87_325
; %bb.321:
	v_mov_b32_e32 v3, 44
	v_cmp_eq_u16_sdwa s[10:11], s45, v3 src0_sel:BYTE_0 src1_sel:DWORD
	s_mov_b64 s[0:1], -1
	s_and_b64 vcc, exec, s[10:11]
	s_cbranch_vccz .LBB87_325
; %bb.322:
	v_bfe_u32 v3, v2, 23, 8
	s_movk_i32 s0, 0xff
	v_cmp_ne_u32_e32 vcc, s0, v3
	v_mov_b32_e32 v6, 0xff
	s_and_saveexec_b64 s[8:9], vcc
; %bb.323:
	s_mov_b32 s0, 0x3fffff
	v_and_b32_e32 v7, 0x400000, v2
	v_and_or_b32 v3, v2, s0, v3
	v_cmp_ne_u32_e32 vcc, 0, v7
	v_cmp_ne_u32_e64 s[0:1], 0, v3
	s_and_b64 s[0:1], vcc, s[0:1]
	v_lshrrev_b32_e32 v6, 23, v2
	v_cndmask_b32_e64 v3, 0, 1, s[0:1]
	v_add_u32_e32 v6, v6, v3
; %bb.324:
	s_or_b64 exec, exec, s[8:9]
	s_mov_b64 s[8:9], -1
	s_mov_b64 s[0:1], 0
	global_store_byte v[0:1], v6, off
.LBB87_325:
	s_mov_b64 s[10:11], 0
.LBB87_326:
	s_and_b64 vcc, exec, s[10:11]
	s_cbranch_vccz .LBB87_329
; %bb.327:
	v_mov_b32_e32 v3, 29
	v_cmp_eq_u16_sdwa s[10:11], s45, v3 src0_sel:BYTE_0 src1_sel:DWORD
	s_mov_b64 s[0:1], -1
	s_and_b64 vcc, exec, s[10:11]
	s_cbranch_vccz .LBB87_329
; %bb.328:
	v_trunc_f32_e32 v3, v2
	v_mul_f32_e32 v6, 0x2f800000, v3
	v_floor_f32_e32 v6, v6
	v_fmac_f32_e32 v3, 0xcf800000, v6
	v_cvt_u32_f32_e32 v7, v6
	v_cvt_u32_f32_e32 v6, v3
	s_mov_b64 s[8:9], -1
	s_mov_b64 s[0:1], 0
	s_mov_b64 s[10:11], 0
	global_store_dwordx2 v[0:1], v[6:7], off
	s_branch .LBB87_330
.LBB87_329:
	s_mov_b64 s[10:11], 0
.LBB87_330:
	s_and_b64 vcc, exec, s[10:11]
	s_cbranch_vccz .LBB87_346
; %bb.331:
	v_mov_b32_e32 v3, 27
	v_cmp_lt_i16_sdwa s[10:11], s45, v3 src0_sel:BYTE_0 src1_sel:DWORD
	s_mov_b64 s[8:9], -1
	s_and_b64 vcc, exec, s[10:11]
	s_cbranch_vccnz .LBB87_337
; %bb.332:
	v_cmp_gt_i16_sdwa s[10:11], s45, v3 src0_sel:BYTE_0 src1_sel:DWORD
	v_cvt_u32_f32_e32 v3, v2
	s_and_b64 vcc, exec, s[10:11]
	s_cbranch_vccz .LBB87_334
; %bb.333:
	s_mov_b64 s[8:9], 0
	global_store_dword v[0:1], v3, off
.LBB87_334:
	s_andn2_b64 vcc, exec, s[8:9]
	s_cbranch_vccnz .LBB87_336
; %bb.335:
	global_store_short v[0:1], v3, off
.LBB87_336:
	s_mov_b64 s[8:9], 0
.LBB87_337:
	s_andn2_b64 vcc, exec, s[8:9]
	s_cbranch_vccnz .LBB87_345
; %bb.338:
	v_and_b32_e32 v3, 0x7fffffff, v5
	s_mov_b32 s8, 0x43800000
	v_cmp_gt_u32_e32 vcc, s8, v3
	v_mov_b32_e32 v6, 0x80
	s_and_saveexec_b64 s[8:9], vcc
	s_cbranch_execz .LBB87_344
; %bb.339:
	s_mov_b32 s10, 0x3bffffff
	v_cmp_lt_u32_e32 vcc, s10, v3
	s_mov_b64 s[10:11], 0
                                        ; implicit-def: $vgpr3
	s_and_saveexec_b64 s[12:13], vcc
	s_xor_b64 s[12:13], exec, s[12:13]
	s_cbranch_execz .LBB87_573
; %bb.340:
	v_bfe_u32 v3, v2, 20, 1
	s_mov_b32 s14, 0x487ffff
	v_add3_u32 v3, v2, v3, s14
	s_mov_b64 s[10:11], exec
	v_lshrrev_b32_e32 v3, 20, v3
	s_or_saveexec_b64 s[12:13], s[12:13]
                                        ; implicit-def: $sgpr14
	s_xor_b64 exec, exec, s[12:13]
	s_cbranch_execnz .LBB87_574
.LBB87_341:
	s_or_b64 exec, exec, s[12:13]
	v_mov_b32_e32 v6, s14
	s_and_saveexec_b64 s[12:13], s[10:11]
.LBB87_342:
	v_lshrrev_b32_e32 v6, 24, v2
	s_movk_i32 s10, 0x80
	v_and_or_b32 v6, v6, s10, v3
.LBB87_343:
	s_or_b64 exec, exec, s[12:13]
.LBB87_344:
	s_or_b64 exec, exec, s[8:9]
	global_store_byte v[0:1], v6, off
.LBB87_345:
	s_mov_b64 s[8:9], -1
.LBB87_346:
	s_mov_b64 s[10:11], 0
.LBB87_347:
	s_and_b64 vcc, exec, s[10:11]
	s_cbranch_vccz .LBB87_388
; %bb.348:
	v_mov_b32_e32 v3, 22
	v_cmp_gt_i16_sdwa s[12:13], s45, v3 src0_sel:BYTE_0 src1_sel:DWORD
	s_mov_b64 s[10:11], -1
	s_and_b64 vcc, exec, s[12:13]
	s_cbranch_vccz .LBB87_380
; %bb.349:
	v_mov_b32_e32 v3, 24
	v_cmp_lt_i16_sdwa s[10:11], s45, v3 src0_sel:BYTE_0 src1_sel:DWORD
	s_mov_b64 s[8:9], -1
	s_and_b64 vcc, exec, s[10:11]
	s_cbranch_vccnz .LBB87_369
; %bb.350:
	v_cmp_gt_i16_sdwa s[10:11], s45, v3 src0_sel:BYTE_0 src1_sel:DWORD
	s_and_b64 vcc, exec, s[10:11]
	s_cbranch_vccz .LBB87_358
; %bb.351:
	v_and_b32_e32 v3, 0x7fffffff, v5
	s_mov_b32 s8, 0x47800000
	v_cmp_gt_u32_e32 vcc, s8, v3
	v_mov_b32_e32 v6, 0x80
	s_and_saveexec_b64 s[8:9], vcc
	s_cbranch_execz .LBB87_357
; %bb.352:
	s_mov_b32 s10, 0x37ffffff
	v_cmp_lt_u32_e32 vcc, s10, v3
	s_mov_b64 s[10:11], 0
                                        ; implicit-def: $vgpr3
	s_and_saveexec_b64 s[12:13], vcc
	s_xor_b64 s[12:13], exec, s[12:13]
	s_cbranch_execz .LBB87_576
; %bb.353:
	v_bfe_u32 v3, v2, 21, 1
	s_mov_b32 s14, 0x88fffff
	v_add3_u32 v3, v2, v3, s14
	s_mov_b64 s[10:11], exec
	v_lshrrev_b32_e32 v3, 21, v3
	s_or_saveexec_b64 s[12:13], s[12:13]
                                        ; implicit-def: $sgpr14
	s_xor_b64 exec, exec, s[12:13]
	s_cbranch_execnz .LBB87_577
.LBB87_354:
	s_or_b64 exec, exec, s[12:13]
	v_mov_b32_e32 v6, s14
	s_and_saveexec_b64 s[12:13], s[10:11]
.LBB87_355:
	v_lshrrev_b32_e32 v6, 24, v2
	s_movk_i32 s10, 0x80
	v_and_or_b32 v6, v6, s10, v3
.LBB87_356:
	s_or_b64 exec, exec, s[12:13]
.LBB87_357:
	s_or_b64 exec, exec, s[8:9]
	s_mov_b64 s[8:9], 0
	global_store_byte v[0:1], v6, off
.LBB87_358:
	s_and_b64 vcc, exec, s[8:9]
	s_cbranch_vccz .LBB87_368
; %bb.359:
	v_and_b32_e32 v6, 0x7fffffff, v5
	s_mov_b32 s8, 0x43f00000
	v_cmp_gt_u32_e32 vcc, s8, v6
                                        ; implicit-def: $vgpr3
	s_and_saveexec_b64 s[8:9], vcc
	s_xor_b64 s[8:9], exec, s[8:9]
	s_cbranch_execz .LBB87_365
; %bb.360:
	s_mov_b32 s10, 0x3c7fffff
	v_cmp_lt_u32_e32 vcc, s10, v6
                                        ; implicit-def: $vgpr3
	s_and_saveexec_b64 s[10:11], vcc
	s_xor_b64 s[10:11], exec, s[10:11]
; %bb.361:
	v_bfe_u32 v3, v2, 20, 1
	s_mov_b32 s12, 0x407ffff
	v_add3_u32 v3, v2, v3, s12
	v_lshrrev_b32_e32 v6, 20, v3
	v_and_b32_e32 v3, 0xff00000, v3
	s_mov_b32 s12, 0x7f00000
	v_mov_b32_e32 v7, 0x7e
	v_cmp_ne_u32_e32 vcc, s12, v3
	v_cndmask_b32_e32 v3, v7, v6, vcc
; %bb.362:
	s_andn2_saveexec_b64 s[10:11], s[10:11]
; %bb.363:
	s_mov_b32 s12, 0x46800000
	v_add_f32_e64 v3, |v5|, s12
; %bb.364:
	s_or_b64 exec, exec, s[10:11]
                                        ; implicit-def: $vgpr6
.LBB87_365:
	s_andn2_saveexec_b64 s[8:9], s[8:9]
; %bb.366:
	s_mov_b32 s10, 0x7f800000
	v_mov_b32_e32 v3, 0x7e
	v_mov_b32_e32 v7, 0x7f
	v_cmp_lt_u32_e32 vcc, s10, v6
	v_cndmask_b32_e32 v3, v3, v7, vcc
; %bb.367:
	s_or_b64 exec, exec, s[8:9]
	v_lshrrev_b32_e32 v6, 24, v2
	s_movk_i32 s8, 0x80
	v_and_or_b32 v3, v6, s8, v3
	global_store_byte v[0:1], v3, off
.LBB87_368:
	s_mov_b64 s[8:9], 0
.LBB87_369:
	s_andn2_b64 vcc, exec, s[8:9]
	s_cbranch_vccnz .LBB87_379
; %bb.370:
	v_and_b32_e32 v6, 0x7fffffff, v5
	s_mov_b32 s8, 0x47800000
	v_cmp_gt_u32_e32 vcc, s8, v6
                                        ; implicit-def: $vgpr3
	s_and_saveexec_b64 s[8:9], vcc
	s_xor_b64 s[8:9], exec, s[8:9]
	s_cbranch_execz .LBB87_376
; %bb.371:
	s_mov_b32 s10, 0x387fffff
	v_cmp_lt_u32_e32 vcc, s10, v6
                                        ; implicit-def: $vgpr3
	s_and_saveexec_b64 s[10:11], vcc
	s_xor_b64 s[10:11], exec, s[10:11]
; %bb.372:
	v_bfe_u32 v3, v2, 21, 1
	s_mov_b32 s12, 0x80fffff
	v_add3_u32 v3, v2, v3, s12
	v_lshrrev_b32_e32 v3, 21, v3
                                        ; implicit-def: $vgpr5
; %bb.373:
	s_andn2_saveexec_b64 s[10:11], s[10:11]
; %bb.374:
	s_mov_b32 s12, 0x43000000
	v_add_f32_e64 v3, |v5|, s12
; %bb.375:
	s_or_b64 exec, exec, s[10:11]
                                        ; implicit-def: $vgpr6
.LBB87_376:
	s_andn2_saveexec_b64 s[8:9], s[8:9]
; %bb.377:
	s_mov_b32 s10, 0x7f800000
	v_mov_b32_e32 v3, 0x7c
	v_mov_b32_e32 v5, 0x7f
	v_cmp_lt_u32_e32 vcc, s10, v6
	v_cndmask_b32_e32 v3, v3, v5, vcc
; %bb.378:
	s_or_b64 exec, exec, s[8:9]
	v_lshrrev_b32_e32 v5, 24, v2
	s_movk_i32 s8, 0x80
	v_and_or_b32 v3, v5, s8, v3
	global_store_byte v[0:1], v3, off
.LBB87_379:
	s_mov_b64 s[10:11], 0
	s_mov_b64 s[8:9], -1
.LBB87_380:
	s_andn2_b64 vcc, exec, s[10:11]
	s_cbranch_vccnz .LBB87_388
; %bb.381:
	v_mov_b32_e32 v3, 14
	v_cmp_gt_i16_sdwa s[12:13], s45, v3 src0_sel:BYTE_0 src1_sel:DWORD
	s_mov_b64 s[10:11], -1
	s_and_b64 vcc, exec, s[12:13]
	s_cbranch_vccz .LBB87_385
; %bb.382:
	v_mov_b32_e32 v3, 15
	v_cmp_eq_u16_sdwa s[10:11], s45, v3 src0_sel:BYTE_0 src1_sel:DWORD
	s_mov_b64 s[0:1], -1
	s_and_b64 vcc, exec, s[10:11]
	s_cbranch_vccz .LBB87_384
; %bb.383:
	v_bfe_u32 v3, v2, 16, 1
	s_movk_i32 s0, 0x7fff
	v_add3_u32 v3, v2, v3, s0
	v_lshrrev_b32_e32 v3, 16, v3
	v_mov_b32_e32 v5, 0x7fc0
	v_cmp_o_f32_e32 vcc, v2, v2
	v_cndmask_b32_e32 v3, v5, v3, vcc
	global_store_short v[0:1], v3, off
	s_mov_b64 s[8:9], -1
	s_mov_b64 s[0:1], 0
.LBB87_384:
	s_mov_b64 s[10:11], 0
.LBB87_385:
	s_and_b64 vcc, exec, s[10:11]
	s_cbranch_vccz .LBB87_388
; %bb.386:
	v_mov_b32_e32 v3, 11
	v_cmp_eq_u16_sdwa s[10:11], s45, v3 src0_sel:BYTE_0 src1_sel:DWORD
	s_mov_b64 s[0:1], -1
	s_and_b64 vcc, exec, s[10:11]
	s_cbranch_vccz .LBB87_388
; %bb.387:
	v_cmp_neq_f32_e32 vcc, 0, v2
	v_cndmask_b32_e64 v3, 0, 1, vcc
	s_mov_b64 s[8:9], -1
	s_mov_b64 s[0:1], 0
	global_store_byte v[0:1], v3, off
.LBB87_388:
	s_mov_b64 s[10:11], 0
.LBB87_389:
	s_and_b64 vcc, exec, s[10:11]
	s_cbranch_vccz .LBB87_428
; %bb.390:
	v_mov_b32_e32 v3, 5
	v_cmp_lt_i16_sdwa s[10:11], s45, v3 src0_sel:BYTE_0 src1_sel:DWORD
	s_mov_b64 s[8:9], -1
	s_and_b64 vcc, exec, s[10:11]
	s_cbranch_vccnz .LBB87_411
; %bb.391:
	v_mov_b32_e32 v3, 8
	v_cmp_lt_i16_sdwa s[10:11], s45, v3 src0_sel:BYTE_0 src1_sel:DWORD
	s_and_b64 vcc, exec, s[10:11]
	s_cbranch_vccnz .LBB87_401
; %bb.392:
	v_mov_b32_e32 v3, 9
	v_cmp_lt_i16_sdwa s[10:11], s45, v3 src0_sel:BYTE_0 src1_sel:DWORD
	s_and_b64 vcc, exec, s[10:11]
	s_cbranch_vccnz .LBB87_398
; %bb.393:
	v_cmp_gt_i16_sdwa s[10:11], s45, v3 src0_sel:BYTE_0 src1_sel:DWORD
	s_and_b64 vcc, exec, s[10:11]
	s_cbranch_vccz .LBB87_395
; %bb.394:
	v_mov_b32_e32 v12, 0
	v_cvt_f64_f32_e32 v[10:11], v2
	v_mov_b32_e32 v13, v12
	s_mov_b64 s[8:9], 0
	global_store_dwordx4 v[0:1], v[10:13], off
.LBB87_395:
	s_andn2_b64 vcc, exec, s[8:9]
	s_cbranch_vccnz .LBB87_397
; %bb.396:
	v_mov_b32_e32 v3, 0
	global_store_dwordx2 v[0:1], v[2:3], off
.LBB87_397:
	s_mov_b64 s[8:9], 0
.LBB87_398:
	s_andn2_b64 vcc, exec, s[8:9]
	s_cbranch_vccnz .LBB87_400
; %bb.399:
	v_cvt_f16_f32_e32 v3, v2
	global_store_dword v[0:1], v3, off
.LBB87_400:
	s_mov_b64 s[8:9], 0
.LBB87_401:
	s_andn2_b64 vcc, exec, s[8:9]
	s_cbranch_vccnz .LBB87_410
; %bb.402:
	v_mov_b32_e32 v3, 6
	v_cmp_lt_i16_sdwa s[10:11], s45, v3 src0_sel:BYTE_0 src1_sel:DWORD
	s_mov_b64 s[8:9], -1
	s_and_b64 vcc, exec, s[10:11]
	s_cbranch_vccnz .LBB87_408
; %bb.403:
	v_cmp_gt_i16_sdwa s[10:11], s45, v3 src0_sel:BYTE_0 src1_sel:DWORD
	s_and_b64 vcc, exec, s[10:11]
	s_cbranch_vccz .LBB87_405
; %bb.404:
	v_cvt_f64_f32_e32 v[6:7], v2
	s_mov_b64 s[8:9], 0
	global_store_dwordx2 v[0:1], v[6:7], off
.LBB87_405:
	s_andn2_b64 vcc, exec, s[8:9]
	s_cbranch_vccnz .LBB87_407
; %bb.406:
	global_store_dword v[0:1], v2, off
.LBB87_407:
	s_mov_b64 s[8:9], 0
.LBB87_408:
	s_andn2_b64 vcc, exec, s[8:9]
	s_cbranch_vccnz .LBB87_410
; %bb.409:
	v_cvt_f16_f32_e32 v3, v2
	global_store_short v[0:1], v3, off
.LBB87_410:
	s_mov_b64 s[8:9], 0
.LBB87_411:
	s_andn2_b64 vcc, exec, s[8:9]
	s_cbranch_vccnz .LBB87_427
; %bb.412:
	v_mov_b32_e32 v3, 2
	v_cmp_lt_i16_sdwa s[10:11], s45, v3 src0_sel:BYTE_0 src1_sel:DWORD
	s_mov_b64 s[8:9], -1
	s_and_b64 vcc, exec, s[10:11]
	s_cbranch_vccnz .LBB87_422
; %bb.413:
	v_mov_b32_e32 v3, 3
	v_cmp_lt_i16_sdwa s[10:11], s45, v3 src0_sel:BYTE_0 src1_sel:DWORD
	s_and_b64 vcc, exec, s[10:11]
	s_cbranch_vccnz .LBB87_419
; %bb.414:
	v_cmp_gt_i16_sdwa s[10:11], s45, v3 src0_sel:BYTE_0 src1_sel:DWORD
	s_and_b64 vcc, exec, s[10:11]
	s_cbranch_vccz .LBB87_416
; %bb.415:
	v_trunc_f32_e32 v3, v2
	s_mov_b32 s8, 0x2f800000
	v_mul_f32_e64 v5, |v3|, s8
	v_floor_f32_e32 v5, v5
	s_mov_b32 s8, 0xcf800000
	v_cvt_u32_f32_e32 v6, v5
	v_fma_f32 v5, v5, s8, |v3|
	v_cvt_u32_f32_e32 v5, v5
	v_ashrrev_i32_e32 v3, 31, v3
	v_xor_b32_e32 v7, v6, v3
	s_mov_b64 s[8:9], 0
	v_xor_b32_e32 v5, v5, v3
	v_sub_co_u32_e32 v6, vcc, v5, v3
	v_subb_co_u32_e32 v7, vcc, v7, v3, vcc
	global_store_dwordx2 v[0:1], v[6:7], off
.LBB87_416:
	s_andn2_b64 vcc, exec, s[8:9]
	s_cbranch_vccnz .LBB87_418
; %bb.417:
	v_cvt_i32_f32_e32 v3, v2
	global_store_dword v[0:1], v3, off
.LBB87_418:
	s_mov_b64 s[8:9], 0
.LBB87_419:
	s_andn2_b64 vcc, exec, s[8:9]
	s_cbranch_vccnz .LBB87_421
; %bb.420:
	v_cvt_i32_f32_e32 v3, v2
	global_store_short v[0:1], v3, off
.LBB87_421:
	s_mov_b64 s[8:9], 0
.LBB87_422:
	s_andn2_b64 vcc, exec, s[8:9]
	s_cbranch_vccnz .LBB87_427
; %bb.423:
	v_mov_b32_e32 v3, 0
	v_cmp_gt_i16_sdwa s[10:11], s45, v3 src0_sel:BYTE_0 src1_sel:DWORD
	s_mov_b64 s[8:9], -1
	s_and_b64 vcc, exec, s[10:11]
	s_cbranch_vccz .LBB87_425
; %bb.424:
	v_cvt_i32_f32_e32 v3, v2
	s_mov_b64 s[8:9], 0
	global_store_byte v[0:1], v3, off
.LBB87_425:
	s_andn2_b64 vcc, exec, s[8:9]
	s_cbranch_vccnz .LBB87_427
; %bb.426:
	v_trunc_f32_e32 v2, v2
	s_mov_b32 s8, 0x2f800000
	v_mul_f32_e64 v3, |v2|, s8
	v_floor_f32_e32 v3, v3
	s_mov_b32 s8, 0xcf800000
	v_fma_f32 v3, v3, s8, |v2|
	v_cvt_u32_f32_e32 v3, v3
	v_ashrrev_i32_e32 v2, 31, v2
	v_xor_b32_e32 v3, v3, v2
	v_sub_u32_e32 v2, v3, v2
	global_store_byte v[0:1], v2, off
.LBB87_427:
	s_mov_b64 s[8:9], -1
.LBB87_428:
	s_andn2_b64 vcc, exec, s[8:9]
	s_cbranch_vccnz .LBB87_430
; %bb.429:
	v_add_u32_e32 v8, 0x80, v8
	s_mov_b64 s[8:9], -1
	s_branch .LBB87_543
.LBB87_430:
	s_mov_b64 s[8:9], 0
	s_branch .LBB87_542
.LBB87_431:
	s_mov_b64 s[2:3], -1
                                        ; implicit-def: $vgpr5
.LBB87_432:
	s_mov_b64 s[8:9], 0
.LBB87_433:
	s_and_b64 vcc, exec, s[8:9]
	s_cbranch_vccz .LBB87_437
; %bb.434:
	v_cmp_eq_u16_e32 vcc, 29, v4
	s_cbranch_vccz .LBB87_436
; %bb.435:
	global_load_dwordx2 v[6:7], v[2:3], off
	s_mov_b64 s[0:1], -1
	s_mov_b64 s[2:3], 0
	s_mov_b64 s[8:9], 0
	s_waitcnt vmcnt(0)
	v_ffbh_u32_e32 v1, v7
	v_min_u32_e32 v1, 32, v1
	v_lshlrev_b64 v[6:7], v1, v[6:7]
	v_min_u32_e32 v5, 1, v6
	v_or_b32_e32 v5, v7, v5
	v_cvt_f32_u32_e32 v5, v5
	v_sub_u32_e32 v1, 32, v1
	v_ldexp_f32 v5, v5, v1
	s_branch .LBB87_438
.LBB87_436:
	s_mov_b64 s[2:3], -1
                                        ; implicit-def: $vgpr5
.LBB87_437:
	s_mov_b64 s[8:9], 0
.LBB87_438:
	s_and_b64 vcc, exec, s[8:9]
	s_cbranch_vccz .LBB87_456
; %bb.439:
	v_cmp_gt_i16_e32 vcc, 27, v4
	s_cbranch_vccnz .LBB87_442
; %bb.440:
	v_cmp_lt_i16_e32 vcc, 27, v4
	s_cbranch_vccz .LBB87_443
; %bb.441:
	global_load_dword v1, v[2:3], off
	s_mov_b64 s[0:1], 0
	s_waitcnt vmcnt(0)
	v_cvt_f32_u32_e32 v5, v1
	s_branch .LBB87_444
.LBB87_442:
	s_mov_b64 s[0:1], -1
                                        ; implicit-def: $vgpr5
	s_branch .LBB87_447
.LBB87_443:
	s_mov_b64 s[0:1], -1
                                        ; implicit-def: $vgpr5
.LBB87_444:
	s_andn2_b64 vcc, exec, s[0:1]
	s_cbranch_vccnz .LBB87_446
; %bb.445:
	global_load_ushort v1, v[2:3], off
	s_waitcnt vmcnt(0)
	v_cvt_f32_u32_e32 v5, v1
.LBB87_446:
	s_mov_b64 s[0:1], 0
.LBB87_447:
	s_andn2_b64 vcc, exec, s[0:1]
	s_cbranch_vccnz .LBB87_455
; %bb.448:
	global_load_ubyte v1, v[2:3], off
	s_movk_i32 s0, 0x7f
                                        ; implicit-def: $sgpr12
	s_waitcnt vmcnt(0)
	v_cmp_lt_i16_e32 vcc, s0, v1
	s_mov_b64 s[0:1], 0
	s_and_saveexec_b64 s[8:9], vcc
	s_xor_b64 s[8:9], exec, s[8:9]
	s_cbranch_execz .LBB87_469
; %bb.449:
	s_movk_i32 s0, 0x80
	v_cmp_eq_u16_e32 vcc, s0, v1
	s_mov_b64 s[0:1], -1
                                        ; implicit-def: $sgpr12
	s_and_saveexec_b64 s[10:11], vcc
; %bb.450:
	s_mov_b32 s12, 0x7f800001
	s_xor_b64 s[0:1], exec, -1
; %bb.451:
	s_or_b64 exec, exec, s[10:11]
	s_and_b64 s[0:1], s[0:1], exec
	s_or_saveexec_b64 s[8:9], s[8:9]
	v_mov_b32_e32 v5, s12
	s_xor_b64 exec, exec, s[8:9]
	s_cbranch_execnz .LBB87_470
.LBB87_452:
	s_or_b64 exec, exec, s[8:9]
	s_and_saveexec_b64 s[8:9], s[0:1]
	s_cbranch_execz .LBB87_454
.LBB87_453:
	v_lshlrev_b32_e32 v5, 24, v1
	v_and_b32_e32 v1, 0xffff, v1
	v_and_b32_e32 v6, 7, v1
	v_ffbh_u32_e32 v9, v6
	v_min_u32_e32 v9, 32, v9
	v_subrev_u32_e32 v10, 28, v9
	v_bfe_u32 v7, v1, 3, 4
	v_lshlrev_b32_e32 v1, v10, v1
	v_sub_u32_e32 v9, 29, v9
	v_and_b32_e32 v1, 7, v1
	v_cmp_eq_u32_e32 vcc, 0, v7
	v_cndmask_b32_e32 v7, v7, v9, vcc
	v_cndmask_b32_e32 v1, v6, v1, vcc
	v_mov_b32_e32 v6, 0x3b800000
	v_lshlrev_b32_e32 v1, 20, v1
	v_and_b32_e32 v5, 0x80000000, v5
	v_lshl_add_u32 v6, v7, 23, v6
	v_or3_b32 v5, v5, v6, v1
.LBB87_454:
	s_or_b64 exec, exec, s[8:9]
.LBB87_455:
	s_mov_b64 s[0:1], -1
.LBB87_456:
	s_mov_b64 s[8:9], 0
.LBB87_457:
	s_and_b64 vcc, exec, s[8:9]
	s_cbranch_vccz .LBB87_492
; %bb.458:
	v_cmp_lt_i16_e32 vcc, 22, v4
	s_cbranch_vccz .LBB87_468
; %bb.459:
	v_cmp_gt_i16_e32 vcc, 24, v4
	s_cbranch_vccnz .LBB87_471
; %bb.460:
	v_cmp_lt_i16_e32 vcc, 24, v4
	s_cbranch_vccz .LBB87_472
; %bb.461:
	global_load_ubyte v1, v[2:3], off
	s_movk_i32 s0, 0x7f
                                        ; implicit-def: $sgpr12
	s_waitcnt vmcnt(0)
	v_cmp_lt_i16_e32 vcc, s0, v1
	s_mov_b64 s[0:1], 0
	s_and_saveexec_b64 s[8:9], vcc
	s_xor_b64 s[8:9], exec, s[8:9]
	s_cbranch_execz .LBB87_484
; %bb.462:
	s_movk_i32 s0, 0x80
	v_cmp_eq_u16_e32 vcc, s0, v1
	s_mov_b64 s[0:1], -1
                                        ; implicit-def: $sgpr12
	s_and_saveexec_b64 s[10:11], vcc
; %bb.463:
	s_mov_b32 s12, 0x7f800001
	s_xor_b64 s[0:1], exec, -1
; %bb.464:
	s_or_b64 exec, exec, s[10:11]
	s_and_b64 s[0:1], s[0:1], exec
	s_or_saveexec_b64 s[8:9], s[8:9]
	v_mov_b32_e32 v5, s12
	s_xor_b64 exec, exec, s[8:9]
	s_cbranch_execnz .LBB87_485
.LBB87_465:
	s_or_b64 exec, exec, s[8:9]
	s_and_saveexec_b64 s[8:9], s[0:1]
	s_cbranch_execz .LBB87_467
.LBB87_466:
	v_lshlrev_b32_e32 v5, 24, v1
	v_and_b32_e32 v1, 0xffff, v1
	v_and_b32_e32 v6, 3, v1
	v_ffbh_u32_e32 v9, v6
	v_min_u32_e32 v9, 32, v9
	v_subrev_u32_e32 v10, 29, v9
	v_bfe_u32 v7, v1, 2, 5
	v_lshlrev_b32_e32 v1, v10, v1
	v_sub_u32_e32 v9, 30, v9
	v_and_b32_e32 v1, 3, v1
	v_cmp_eq_u32_e32 vcc, 0, v7
	v_cndmask_b32_e32 v7, v7, v9, vcc
	v_cndmask_b32_e32 v1, v6, v1, vcc
	v_mov_b32_e32 v6, 0x37800000
	v_lshlrev_b32_e32 v1, 21, v1
	v_and_b32_e32 v5, 0x80000000, v5
	v_lshl_add_u32 v6, v7, 23, v6
	v_or3_b32 v5, v5, v6, v1
.LBB87_467:
	s_or_b64 exec, exec, s[8:9]
	s_mov_b64 s[0:1], 0
	s_branch .LBB87_473
.LBB87_468:
	s_mov_b64 s[8:9], -1
                                        ; implicit-def: $vgpr5
	s_branch .LBB87_479
.LBB87_469:
	s_or_saveexec_b64 s[8:9], s[8:9]
	v_mov_b32_e32 v5, s12
	s_xor_b64 exec, exec, s[8:9]
	s_cbranch_execz .LBB87_452
.LBB87_470:
	v_cmp_ne_u16_e32 vcc, 0, v1
	s_andn2_b64 s[0:1], s[0:1], exec
	s_and_b64 s[10:11], vcc, exec
	v_mov_b32_e32 v5, 0
	s_or_b64 s[0:1], s[0:1], s[10:11]
	s_or_b64 exec, exec, s[8:9]
	s_and_saveexec_b64 s[8:9], s[0:1]
	s_cbranch_execnz .LBB87_453
	s_branch .LBB87_454
.LBB87_471:
	s_mov_b64 s[0:1], -1
                                        ; implicit-def: $vgpr5
	s_branch .LBB87_476
.LBB87_472:
	s_mov_b64 s[0:1], -1
                                        ; implicit-def: $vgpr5
.LBB87_473:
	s_and_b64 vcc, exec, s[0:1]
	s_cbranch_vccz .LBB87_475
; %bb.474:
	global_load_ubyte v1, v[2:3], off
	s_mov_b32 s0, 0x7f800000
	s_waitcnt vmcnt(0)
	v_lshlrev_b32_e32 v1, 24, v1
	v_and_b32_e32 v5, 0x7f000000, v1
	v_ffbh_u32_e32 v6, v5
	v_min_u32_e32 v6, 32, v6
	v_sub_u32_e64 v6, v6, 4 clamp
	v_lshlrev_b32_e32 v9, v6, v5
	v_lshlrev_b32_e32 v6, 23, v6
	v_lshrrev_b32_e32 v9, 4, v9
	v_add_u32_e32 v7, 0x1000000, v5
	v_sub_u32_e32 v6, v9, v6
	v_ashrrev_i32_e32 v7, 8, v7
	v_add_u32_e32 v6, 0x3c000000, v6
	v_and_or_b32 v6, v7, s0, v6
	v_cmp_ne_u32_e32 vcc, 0, v5
	v_cndmask_b32_e32 v5, 0, v6, vcc
	s_brev_b32 s0, 1
	v_and_or_b32 v5, v1, s0, v5
.LBB87_475:
	s_mov_b64 s[0:1], 0
.LBB87_476:
	s_andn2_b64 vcc, exec, s[0:1]
	s_cbranch_vccnz .LBB87_478
; %bb.477:
	global_load_ubyte v1, v[2:3], off
	s_movk_i32 s0, 0x7f00
	s_brev_b32 s1, 16
	s_waitcnt vmcnt(0)
	v_lshlrev_b16_e32 v5, 8, v1
	v_lshlrev_b32_e32 v1, 25, v1
	v_lshrrev_b32_e32 v6, 4, v1
	v_and_or_b32 v7, v5, s0, 0.5
	v_or_b32_e32 v6, 0x70000000, v6
	v_add_f32_e32 v7, -0.5, v7
	v_mul_f32_e32 v6, 0x7800000, v6
	v_cmp_gt_u32_e32 vcc, s1, v1
	v_bfe_i32 v5, v5, 0, 16
	v_cndmask_b32_e32 v1, v6, v7, vcc
	s_brev_b32 s0, 1
	v_and_or_b32 v5, v5, s0, v1
.LBB87_478:
	s_mov_b64 s[8:9], 0
	s_mov_b64 s[0:1], -1
.LBB87_479:
	s_andn2_b64 vcc, exec, s[8:9]
	s_cbranch_vccnz .LBB87_492
; %bb.480:
	v_cmp_lt_i16_e32 vcc, 14, v4
	s_cbranch_vccz .LBB87_483
; %bb.481:
	v_cmp_eq_u16_e32 vcc, 15, v4
	s_cbranch_vccz .LBB87_486
; %bb.482:
	global_load_ushort v1, v[2:3], off
	s_mov_b64 s[0:1], -1
	s_mov_b64 s[2:3], 0
	s_waitcnt vmcnt(0)
	v_lshlrev_b32_e32 v5, 16, v1
	s_branch .LBB87_487
.LBB87_483:
	s_mov_b64 s[8:9], -1
                                        ; implicit-def: $vgpr5
	s_branch .LBB87_488
.LBB87_484:
	s_or_saveexec_b64 s[8:9], s[8:9]
	v_mov_b32_e32 v5, s12
	s_xor_b64 exec, exec, s[8:9]
	s_cbranch_execz .LBB87_465
.LBB87_485:
	v_cmp_ne_u16_e32 vcc, 0, v1
	s_andn2_b64 s[0:1], s[0:1], exec
	s_and_b64 s[10:11], vcc, exec
	v_mov_b32_e32 v5, 0
	s_or_b64 s[0:1], s[0:1], s[10:11]
	s_or_b64 exec, exec, s[8:9]
	s_and_saveexec_b64 s[8:9], s[0:1]
	s_cbranch_execnz .LBB87_466
	s_branch .LBB87_467
.LBB87_486:
	s_mov_b64 s[2:3], -1
                                        ; implicit-def: $vgpr5
.LBB87_487:
	s_mov_b64 s[8:9], 0
.LBB87_488:
	s_and_b64 vcc, exec, s[8:9]
	s_cbranch_vccz .LBB87_492
; %bb.489:
	v_cmp_eq_u16_e32 vcc, 11, v4
	s_cbranch_vccz .LBB87_491
; %bb.490:
	global_load_ubyte v1, v[2:3], off
	s_mov_b64 s[0:1], -1
	s_mov_b64 s[2:3], 0
	s_waitcnt vmcnt(0)
	v_cmp_ne_u16_e32 vcc, 0, v1
	v_cndmask_b32_e64 v5, 0, 1.0, vcc
	s_branch .LBB87_492
.LBB87_491:
	s_mov_b64 s[2:3], -1
                                        ; implicit-def: $vgpr5
.LBB87_492:
	s_branch .LBB87_295
.LBB87_493:
	v_cmp_gt_i16_e32 vcc, 5, v4
	s_cbranch_vccnz .LBB87_498
; %bb.494:
	v_cmp_gt_i16_e32 vcc, 8, v4
	s_cbranch_vccnz .LBB87_499
; %bb.495:
	;; [unrolled: 3-line block ×3, first 2 shown]
	v_cmp_lt_i16_e32 vcc, 9, v4
	s_cbranch_vccz .LBB87_501
; %bb.497:
	global_load_dwordx2 v[6:7], v[2:3], off
	s_mov_b64 s[0:1], 0
	s_waitcnt vmcnt(0)
	v_cvt_f32_f64_e32 v5, v[6:7]
	s_branch .LBB87_502
.LBB87_498:
	s_mov_b64 s[0:1], -1
                                        ; implicit-def: $vgpr5
	s_branch .LBB87_520
.LBB87_499:
	s_mov_b64 s[0:1], -1
                                        ; implicit-def: $vgpr5
	s_branch .LBB87_508
.LBB87_500:
	s_mov_b64 s[0:1], -1
                                        ; implicit-def: $vgpr5
	s_branch .LBB87_505
.LBB87_501:
	s_mov_b64 s[0:1], -1
                                        ; implicit-def: $vgpr5
.LBB87_502:
	s_andn2_b64 vcc, exec, s[0:1]
	s_cbranch_vccnz .LBB87_504
; %bb.503:
	global_load_dword v5, v[2:3], off
.LBB87_504:
	s_mov_b64 s[0:1], 0
.LBB87_505:
	s_andn2_b64 vcc, exec, s[0:1]
	s_cbranch_vccnz .LBB87_507
; %bb.506:
	global_load_dword v1, v[2:3], off
	s_waitcnt vmcnt(0)
	v_cvt_f32_f16_e32 v5, v1
.LBB87_507:
	s_mov_b64 s[0:1], 0
.LBB87_508:
	s_andn2_b64 vcc, exec, s[0:1]
	s_cbranch_vccnz .LBB87_519
; %bb.509:
	v_cmp_gt_i16_e32 vcc, 6, v4
	s_cbranch_vccnz .LBB87_512
; %bb.510:
	v_cmp_lt_i16_e32 vcc, 6, v4
	s_cbranch_vccz .LBB87_513
; %bb.511:
	global_load_dwordx2 v[6:7], v[2:3], off
	s_mov_b64 s[0:1], 0
	s_waitcnt vmcnt(0)
	v_cvt_f32_f64_e32 v5, v[6:7]
	s_branch .LBB87_514
.LBB87_512:
	s_mov_b64 s[0:1], -1
                                        ; implicit-def: $vgpr5
	s_branch .LBB87_517
.LBB87_513:
	s_mov_b64 s[0:1], -1
                                        ; implicit-def: $vgpr5
.LBB87_514:
	s_andn2_b64 vcc, exec, s[0:1]
	s_cbranch_vccnz .LBB87_516
; %bb.515:
	global_load_dword v5, v[2:3], off
.LBB87_516:
	s_mov_b64 s[0:1], 0
.LBB87_517:
	s_andn2_b64 vcc, exec, s[0:1]
	s_cbranch_vccnz .LBB87_519
; %bb.518:
	global_load_ushort v1, v[2:3], off
	s_waitcnt vmcnt(0)
	v_cvt_f32_f16_e32 v5, v1
.LBB87_519:
	s_mov_b64 s[0:1], 0
.LBB87_520:
	s_andn2_b64 vcc, exec, s[0:1]
	s_cbranch_vccnz .LBB87_540
; %bb.521:
	v_cmp_gt_i16_e32 vcc, 2, v4
	s_cbranch_vccnz .LBB87_525
; %bb.522:
	v_cmp_gt_i16_e32 vcc, 3, v4
	s_cbranch_vccnz .LBB87_526
; %bb.523:
	v_cmp_lt_i16_e32 vcc, 3, v4
	s_cbranch_vccz .LBB87_527
; %bb.524:
	global_load_dwordx2 v[6:7], v[2:3], off
	s_mov_b64 s[0:1], 0
	s_waitcnt vmcnt(0)
	v_xor_b32_e32 v5, v6, v7
	v_ffbh_i32_e32 v1, v7
	v_ashrrev_i32_e32 v5, 31, v5
	v_add_u32_e32 v1, -1, v1
	v_add_u32_e32 v5, 32, v5
	v_min_u32_e32 v1, v1, v5
	v_lshlrev_b64 v[6:7], v1, v[6:7]
	v_min_u32_e32 v5, 1, v6
	v_or_b32_e32 v5, v7, v5
	v_cvt_f32_i32_e32 v5, v5
	v_sub_u32_e32 v1, 32, v1
	v_ldexp_f32 v5, v5, v1
	s_branch .LBB87_528
.LBB87_525:
	s_mov_b64 s[0:1], -1
                                        ; implicit-def: $vgpr5
	s_branch .LBB87_534
.LBB87_526:
	s_mov_b64 s[0:1], -1
                                        ; implicit-def: $vgpr5
	s_branch .LBB87_531
.LBB87_527:
	s_mov_b64 s[0:1], -1
                                        ; implicit-def: $vgpr5
.LBB87_528:
	s_andn2_b64 vcc, exec, s[0:1]
	s_cbranch_vccnz .LBB87_530
; %bb.529:
	global_load_dword v1, v[2:3], off
	s_waitcnt vmcnt(0)
	v_cvt_f32_i32_e32 v5, v1
.LBB87_530:
	s_mov_b64 s[0:1], 0
.LBB87_531:
	s_andn2_b64 vcc, exec, s[0:1]
	s_cbranch_vccnz .LBB87_533
; %bb.532:
	global_load_sshort v1, v[2:3], off
	s_waitcnt vmcnt(0)
	v_cvt_f32_i32_e32 v5, v1
.LBB87_533:
	s_mov_b64 s[0:1], 0
.LBB87_534:
	s_andn2_b64 vcc, exec, s[0:1]
	s_cbranch_vccnz .LBB87_540
; %bb.535:
	v_cmp_lt_i16_e32 vcc, 0, v4
	s_cbranch_vccz .LBB87_537
; %bb.536:
	global_load_sbyte v1, v[2:3], off
	s_mov_b64 s[0:1], 0
	s_waitcnt vmcnt(0)
	v_cvt_f32_i32_e32 v5, v1
	s_branch .LBB87_538
.LBB87_537:
	s_mov_b64 s[0:1], -1
                                        ; implicit-def: $vgpr5
.LBB87_538:
	s_andn2_b64 vcc, exec, s[0:1]
	s_cbranch_vccnz .LBB87_540
; %bb.539:
	global_load_ubyte v1, v[2:3], off
	s_waitcnt vmcnt(0)
	v_cvt_f32_ubyte0_e32 v5, v1
.LBB87_540:
	s_branch .LBB87_296
.LBB87_541:
	s_mov_b64 s[8:9], 0
	s_mov_b64 s[0:1], s[54:55]
.LBB87_542:
                                        ; implicit-def: $vgpr8
.LBB87_543:
	s_andn2_b64 s[10:11], s[54:55], exec
	s_and_b64 s[0:1], s[0:1], exec
	s_or_b64 s[62:63], s[10:11], s[0:1]
	s_andn2_b64 s[0:1], s[56:57], exec
	s_and_b64 s[2:3], s[2:3], exec
	s_or_b64 s[60:61], s[0:1], s[2:3]
	s_orn2_b64 s[0:1], s[8:9], exec
.LBB87_544:
	s_or_b64 exec, exec, s[64:65]
	s_mov_b64 s[2:3], 0
	s_mov_b64 s[8:9], 0
	;; [unrolled: 1-line block ×3, first 2 shown]
                                        ; implicit-def: $vgpr2_vgpr3
                                        ; implicit-def: $vgpr0
                                        ; implicit-def: $vgpr1
	s_and_saveexec_b64 s[64:65], s[0:1]
	s_cbranch_execz .LBB87_921
; %bb.545:
	v_cmp_gt_i32_e32 vcc, s74, v8
	s_mov_b64 s[2:3], -1
	s_mov_b64 s[68:69], s[60:61]
	s_mov_b64 s[70:71], s[62:63]
	s_and_saveexec_b64 s[66:67], vcc
	s_cbranch_execz .LBB87_820
; %bb.546:
	s_andn2_b64 vcc, exec, s[40:41]
	s_cbranch_vccnz .LBB87_552
; %bb.547:
	s_mov_b32 s68, 0
	s_andn2_b64 vcc, exec, s[52:53]
	v_mov_b32_e32 v2, 0
	v_mov_b32_e32 v0, 0
	s_cbranch_vccnz .LBB87_558
; %bb.548:
	s_add_i32 s77, s75, 1
	s_cmp_eq_u32 s76, 2
	s_cbranch_scc1 .LBB87_553
; %bb.549:
	s_and_b32 s68, s77, 28
	s_mov_b32 s69, 0
	v_mov_b32_e32 v0, 0
	s_mov_b64 s[70:71], s[34:35]
	s_mov_b64 s[72:73], s[50:51]
	v_mov_b32_e32 v3, v8
	v_mov_b32_e32 v2, 0
.LBB87_550:                             ; =>This Inner Loop Header: Depth=1
	s_load_dwordx8 s[16:23], s[70:71], 0x4
	s_load_dwordx4 s[0:3], s[70:71], 0x24
	s_load_dwordx8 s[8:15], s[72:73], 0x0
	s_add_u32 s70, s70, 48
	s_addc_u32 s71, s71, 0
	s_waitcnt lgkmcnt(0)
	v_mul_hi_u32 v1, s17, v3
	v_add_u32_e32 v1, v3, v1
	v_lshrrev_b32_e32 v1, s18, v1
	s_waitcnt vmcnt(0)
	v_mul_lo_u32 v5, v1, s16
	v_mul_hi_u32 v6, s20, v1
	v_sub_u32_e32 v3, v3, v5
	v_add_u32_e32 v5, v1, v6
	v_lshrrev_b32_e32 v5, s21, v5
	v_mul_lo_u32 v7, v5, s19
	v_mul_hi_u32 v9, s23, v5
	v_sub_u32_e32 v1, v1, v7
	v_add_u32_e32 v7, v5, v9
	v_mul_lo_u32 v6, v3, s9
	v_mul_lo_u32 v3, v3, s8
	;; [unrolled: 1-line block ×4, first 2 shown]
	v_lshrrev_b32_e32 v7, s0, v7
	v_add3_u32 v0, v3, v0, v1
	v_mul_hi_u32 v3, s2, v7
	v_add_u32_e32 v3, v7, v3
	v_lshrrev_b32_e32 v3, s3, v3
	s_add_i32 s69, s69, 4
	v_add3_u32 v1, v6, v2, v9
	v_mul_lo_u32 v2, v7, s22
	v_mul_lo_u32 v6, v3, s1
	s_add_u32 s72, s72, 32
	v_sub_u32_e32 v2, v5, v2
	v_sub_u32_e32 v6, v7, v6
	s_addc_u32 s73, s73, 0
	v_mul_lo_u32 v5, v2, s12
	v_mul_lo_u32 v2, v2, s13
	;; [unrolled: 1-line block ×4, first 2 shown]
	s_cmp_eq_u32 s68, s69
	v_add3_u32 v2, v2, v1, v6
	v_add3_u32 v0, v5, v0, v7
	s_cbranch_scc0 .LBB87_550
; %bb.551:
	v_mov_b32_e32 v1, v2
	s_branch .LBB87_554
.LBB87_552:
	s_mov_b64 s[0:1], -1
                                        ; implicit-def: $vgpr2
                                        ; implicit-def: $vgpr0
	s_branch .LBB87_559
.LBB87_553:
	s_mov_b32 s69, s68
	v_pk_mov_b32 v[0:1], s[68:69], s[68:69] op_sel:[0,1]
                                        ; implicit-def: $vgpr2
	v_mov_b32_e32 v3, v8
.LBB87_554:
	s_and_b32 s8, s77, 3
	s_cmp_eq_u32 s8, 0
	s_cbranch_scc1 .LBB87_558
; %bb.555:
	s_lshl_b32 s0, s68, 3
	s_add_u32 s0, s0, s34
	s_addc_u32 s1, s35, 0
	s_add_u32 s0, s0, 0xc4
	s_addc_u32 s1, s1, 0
	s_mul_i32 s2, s68, 12
	s_add_u32 s2, s34, s2
	s_addc_u32 s3, s35, 0
.LBB87_556:                             ; =>This Inner Loop Header: Depth=1
	s_load_dwordx2 s[10:11], s[2:3], 0x4
	s_load_dword s9, s[2:3], 0xc
	s_load_dwordx2 s[12:13], s[0:1], 0x0
	v_mov_b32_e32 v2, v1
	s_add_u32 s2, s2, 12
	s_waitcnt lgkmcnt(0)
	v_mul_hi_u32 v1, s11, v3
	v_add_u32_e32 v1, v3, v1
	v_lshrrev_b32_e32 v1, s9, v1
	s_addc_u32 s3, s3, 0
	s_waitcnt vmcnt(0)
	v_mul_lo_u32 v5, v1, s10
	s_add_u32 s0, s0, 8
	v_sub_u32_e32 v5, v3, v5
	v_mov_b32_e32 v3, v1
	s_addc_u32 s1, s1, 0
	s_add_i32 s8, s8, -1
	v_mad_u64_u32 v[6:7], s[10:11], v5, s13, v[2:3]
	v_mad_u64_u32 v[0:1], s[10:11], v5, s12, v[0:1]
	s_cmp_lg_u32 s8, 0
	v_mov_b32_e32 v1, v6
	s_cbranch_scc1 .LBB87_556
; %bb.557:
	v_mov_b32_e32 v2, v1
.LBB87_558:
	s_mov_b64 s[0:1], 0
.LBB87_559:
	s_andn2_b64 vcc, exec, s[0:1]
	s_cbranch_vccnz .LBB87_562
; %bb.560:
	v_mul_hi_u32 v0, s29, v8
	v_add_u32_e32 v0, v8, v0
	v_lshrrev_b32_e32 v1, s30, v0
	v_mul_lo_u32 v0, v1, s28
	v_sub_u32_e32 v0, v8, v0
	v_mul_lo_u32 v2, v0, s37
	s_andn2_b64 vcc, exec, s[48:49]
	v_mul_lo_u32 v0, v0, s36
	s_cbranch_vccnz .LBB87_562
; %bb.561:
	v_mul_hi_u32 v3, s46, v1
	v_add_u32_e32 v3, v1, v3
	v_lshrrev_b32_e32 v3, s47, v3
	v_mul_lo_u32 v3, v3, s31
	v_sub_u32_e32 v3, v1, v3
	v_mad_u64_u32 v[0:1], s[0:1], v3, s38, v[0:1]
	v_mad_u64_u32 v[2:3], s[0:1], v3, s39, v[2:3]
.LBB87_562:
	v_mov_b32_e32 v1, s27
	v_add_co_u32_e32 v2, vcc, s26, v2
	v_addc_co_u32_e32 v3, vcc, 0, v1, vcc
	v_cmp_gt_i16_e32 vcc, 11, v4
	s_cbranch_vccnz .LBB87_569
; %bb.563:
	v_cmp_lt_i16_e32 vcc, 25, v4
	s_cbranch_vccz .LBB87_570
; %bb.564:
	v_cmp_lt_i16_e32 vcc, 28, v4
	s_cbranch_vccz .LBB87_571
	;; [unrolled: 3-line block ×4, first 2 shown]
; %bb.567:
	v_cmp_eq_u16_e32 vcc, 46, v4
	s_mov_b64 s[8:9], 0
	s_cbranch_vccz .LBB87_578
; %bb.568:
	global_load_dword v1, v[2:3], off
	s_mov_b64 s[0:1], -1
	s_mov_b64 s[2:3], 0
	s_waitcnt vmcnt(0)
	v_lshlrev_b32_e32 v5, 16, v1
	s_branch .LBB87_579
.LBB87_569:
	s_mov_b64 s[8:9], -1
	s_mov_b64 s[0:1], 0
                                        ; implicit-def: $vgpr5
	s_mov_b64 s[2:3], s[60:61]
	s_branch .LBB87_644
.LBB87_570:
	s_mov_b64 s[8:9], -1
	s_mov_b64 s[0:1], 0
	s_mov_b64 s[2:3], s[60:61]
                                        ; implicit-def: $vgpr5
	s_branch .LBB87_608
.LBB87_571:
	s_mov_b64 s[8:9], -1
	s_mov_b64 s[0:1], 0
	s_mov_b64 s[2:3], s[60:61]
                                        ; implicit-def: $vgpr5
	s_branch .LBB87_589
.LBB87_572:
	s_mov_b64 s[8:9], -1
	s_mov_b64 s[0:1], 0
	s_mov_b64 s[2:3], s[60:61]
                                        ; implicit-def: $vgpr5
	s_branch .LBB87_584
.LBB87_573:
	s_or_saveexec_b64 s[12:13], s[12:13]
                                        ; implicit-def: $sgpr14
	s_xor_b64 exec, exec, s[12:13]
	s_cbranch_execz .LBB87_341
.LBB87_574:
	s_mov_b32 s14, 0x46000000
	v_add_f32_e64 v3, |v5|, s14
	v_and_b32_e32 v3, 0xff, v3
	v_cmp_ne_u32_e32 vcc, 0, v3
	s_andn2_b64 s[10:11], s[10:11], exec
	s_and_b64 s[16:17], vcc, exec
	s_mov_b32 s14, 0
	s_or_b64 s[10:11], s[10:11], s[16:17]
	s_or_b64 exec, exec, s[12:13]
	v_mov_b32_e32 v6, s14
	s_and_saveexec_b64 s[12:13], s[10:11]
	s_cbranch_execnz .LBB87_342
	s_branch .LBB87_343
.LBB87_575:
	s_mov_b64 s[8:9], -1
	s_mov_b64 s[0:1], 0
	s_mov_b64 s[2:3], s[60:61]
                                        ; implicit-def: $vgpr5
	s_branch .LBB87_579
.LBB87_576:
	s_or_saveexec_b64 s[12:13], s[12:13]
                                        ; implicit-def: $sgpr14
	s_xor_b64 exec, exec, s[12:13]
	s_cbranch_execz .LBB87_354
.LBB87_577:
	s_mov_b32 s14, 0x42800000
	v_add_f32_e64 v3, |v5|, s14
	v_and_b32_e32 v3, 0xff, v3
	v_cmp_ne_u32_e32 vcc, 0, v3
	s_andn2_b64 s[10:11], s[10:11], exec
	s_and_b64 s[16:17], vcc, exec
	s_mov_b32 s14, 0
	s_or_b64 s[10:11], s[10:11], s[16:17]
	s_or_b64 exec, exec, s[12:13]
	v_mov_b32_e32 v6, s14
	s_and_saveexec_b64 s[12:13], s[10:11]
	s_cbranch_execnz .LBB87_355
	s_branch .LBB87_356
.LBB87_578:
	s_mov_b64 s[2:3], -1
                                        ; implicit-def: $vgpr5
	s_mov_b64 s[0:1], 0
.LBB87_579:
	s_and_b64 vcc, exec, s[8:9]
	s_cbranch_vccz .LBB87_583
; %bb.580:
	v_cmp_eq_u16_e32 vcc, 44, v4
	s_cbranch_vccz .LBB87_582
; %bb.581:
	global_load_ubyte v1, v[2:3], off
	s_movk_i32 s2, 0xff
	s_waitcnt vmcnt(1)
	v_mov_b32_e32 v5, 0x7f800001
	v_mov_b32_e32 v6, 0x400000
	s_mov_b64 s[0:1], -1
	s_waitcnt vmcnt(0)
	v_lshlrev_b32_e32 v7, 23, v1
	v_cmp_ne_u32_e32 vcc, s2, v1
	v_cndmask_b32_e32 v5, v5, v7, vcc
	v_cmp_ne_u32_e32 vcc, 0, v1
	v_cndmask_b32_e32 v5, v6, v5, vcc
	s_mov_b64 s[2:3], 0
	s_branch .LBB87_583
.LBB87_582:
	s_mov_b64 s[2:3], -1
                                        ; implicit-def: $vgpr5
.LBB87_583:
	s_mov_b64 s[8:9], 0
.LBB87_584:
	s_and_b64 vcc, exec, s[8:9]
	s_cbranch_vccz .LBB87_588
; %bb.585:
	v_cmp_eq_u16_e32 vcc, 29, v4
	s_cbranch_vccz .LBB87_587
; %bb.586:
	global_load_dwordx2 v[6:7], v[2:3], off
	s_mov_b64 s[0:1], -1
	s_mov_b64 s[2:3], 0
	s_mov_b64 s[8:9], 0
	s_waitcnt vmcnt(0)
	v_ffbh_u32_e32 v1, v7
	v_min_u32_e32 v1, 32, v1
	v_lshlrev_b64 v[6:7], v1, v[6:7]
	v_min_u32_e32 v5, 1, v6
	v_or_b32_e32 v5, v7, v5
	v_cvt_f32_u32_e32 v5, v5
	v_sub_u32_e32 v1, 32, v1
	v_ldexp_f32 v5, v5, v1
	s_branch .LBB87_589
.LBB87_587:
	s_mov_b64 s[2:3], -1
                                        ; implicit-def: $vgpr5
.LBB87_588:
	s_mov_b64 s[8:9], 0
.LBB87_589:
	s_and_b64 vcc, exec, s[8:9]
	s_cbranch_vccz .LBB87_607
; %bb.590:
	v_cmp_gt_i16_e32 vcc, 27, v4
	s_cbranch_vccnz .LBB87_593
; %bb.591:
	v_cmp_lt_i16_e32 vcc, 27, v4
	s_cbranch_vccz .LBB87_594
; %bb.592:
	global_load_dword v1, v[2:3], off
	s_mov_b64 s[0:1], 0
	s_waitcnt vmcnt(0)
	v_cvt_f32_u32_e32 v5, v1
	s_branch .LBB87_595
.LBB87_593:
	s_mov_b64 s[0:1], -1
                                        ; implicit-def: $vgpr5
	s_branch .LBB87_598
.LBB87_594:
	s_mov_b64 s[0:1], -1
                                        ; implicit-def: $vgpr5
.LBB87_595:
	s_andn2_b64 vcc, exec, s[0:1]
	s_cbranch_vccnz .LBB87_597
; %bb.596:
	global_load_ushort v1, v[2:3], off
	s_waitcnt vmcnt(0)
	v_cvt_f32_u32_e32 v5, v1
.LBB87_597:
	s_mov_b64 s[0:1], 0
.LBB87_598:
	s_andn2_b64 vcc, exec, s[0:1]
	s_cbranch_vccnz .LBB87_606
; %bb.599:
	global_load_ubyte v1, v[2:3], off
	s_movk_i32 s0, 0x7f
                                        ; implicit-def: $sgpr12
	s_waitcnt vmcnt(0)
	v_cmp_lt_i16_e32 vcc, s0, v1
	s_mov_b64 s[0:1], 0
	s_and_saveexec_b64 s[8:9], vcc
	s_xor_b64 s[8:9], exec, s[8:9]
	s_cbranch_execz .LBB87_620
; %bb.600:
	s_movk_i32 s0, 0x80
	v_cmp_eq_u16_e32 vcc, s0, v1
	s_mov_b64 s[0:1], -1
                                        ; implicit-def: $sgpr12
	s_and_saveexec_b64 s[10:11], vcc
; %bb.601:
	s_mov_b32 s12, 0x7f800001
	s_xor_b64 s[0:1], exec, -1
; %bb.602:
	s_or_b64 exec, exec, s[10:11]
	s_and_b64 s[0:1], s[0:1], exec
	s_or_saveexec_b64 s[8:9], s[8:9]
	v_mov_b32_e32 v5, s12
	s_xor_b64 exec, exec, s[8:9]
	s_cbranch_execnz .LBB87_621
.LBB87_603:
	s_or_b64 exec, exec, s[8:9]
	s_and_saveexec_b64 s[8:9], s[0:1]
	s_cbranch_execz .LBB87_605
.LBB87_604:
	v_lshlrev_b32_e32 v5, 24, v1
	v_and_b32_e32 v1, 0xffff, v1
	v_and_b32_e32 v6, 7, v1
	v_ffbh_u32_e32 v9, v6
	v_min_u32_e32 v9, 32, v9
	v_subrev_u32_e32 v10, 28, v9
	v_bfe_u32 v7, v1, 3, 4
	v_lshlrev_b32_e32 v1, v10, v1
	v_sub_u32_e32 v9, 29, v9
	v_and_b32_e32 v1, 7, v1
	v_cmp_eq_u32_e32 vcc, 0, v7
	v_cndmask_b32_e32 v7, v7, v9, vcc
	v_cndmask_b32_e32 v1, v6, v1, vcc
	v_mov_b32_e32 v6, 0x3b800000
	v_lshlrev_b32_e32 v1, 20, v1
	v_and_b32_e32 v5, 0x80000000, v5
	v_lshl_add_u32 v6, v7, 23, v6
	v_or3_b32 v5, v5, v6, v1
.LBB87_605:
	s_or_b64 exec, exec, s[8:9]
.LBB87_606:
	s_mov_b64 s[0:1], -1
.LBB87_607:
	s_mov_b64 s[8:9], 0
.LBB87_608:
	s_and_b64 vcc, exec, s[8:9]
	s_cbranch_vccz .LBB87_643
; %bb.609:
	v_cmp_lt_i16_e32 vcc, 22, v4
	s_cbranch_vccz .LBB87_619
; %bb.610:
	v_cmp_gt_i16_e32 vcc, 24, v4
	s_cbranch_vccnz .LBB87_622
; %bb.611:
	v_cmp_lt_i16_e32 vcc, 24, v4
	s_cbranch_vccz .LBB87_623
; %bb.612:
	global_load_ubyte v1, v[2:3], off
	s_movk_i32 s0, 0x7f
                                        ; implicit-def: $sgpr12
	s_waitcnt vmcnt(0)
	v_cmp_lt_i16_e32 vcc, s0, v1
	s_mov_b64 s[0:1], 0
	s_and_saveexec_b64 s[8:9], vcc
	s_xor_b64 s[8:9], exec, s[8:9]
	s_cbranch_execz .LBB87_635
; %bb.613:
	s_movk_i32 s0, 0x80
	v_cmp_eq_u16_e32 vcc, s0, v1
	s_mov_b64 s[0:1], -1
                                        ; implicit-def: $sgpr12
	s_and_saveexec_b64 s[10:11], vcc
; %bb.614:
	s_mov_b32 s12, 0x7f800001
	s_xor_b64 s[0:1], exec, -1
; %bb.615:
	s_or_b64 exec, exec, s[10:11]
	s_and_b64 s[0:1], s[0:1], exec
	s_or_saveexec_b64 s[8:9], s[8:9]
	v_mov_b32_e32 v5, s12
	s_xor_b64 exec, exec, s[8:9]
	s_cbranch_execnz .LBB87_636
.LBB87_616:
	s_or_b64 exec, exec, s[8:9]
	s_and_saveexec_b64 s[8:9], s[0:1]
	s_cbranch_execz .LBB87_618
.LBB87_617:
	v_lshlrev_b32_e32 v5, 24, v1
	v_and_b32_e32 v1, 0xffff, v1
	v_and_b32_e32 v6, 3, v1
	v_ffbh_u32_e32 v9, v6
	v_min_u32_e32 v9, 32, v9
	v_subrev_u32_e32 v10, 29, v9
	v_bfe_u32 v7, v1, 2, 5
	v_lshlrev_b32_e32 v1, v10, v1
	v_sub_u32_e32 v9, 30, v9
	v_and_b32_e32 v1, 3, v1
	v_cmp_eq_u32_e32 vcc, 0, v7
	v_cndmask_b32_e32 v7, v7, v9, vcc
	v_cndmask_b32_e32 v1, v6, v1, vcc
	v_mov_b32_e32 v6, 0x37800000
	v_lshlrev_b32_e32 v1, 21, v1
	v_and_b32_e32 v5, 0x80000000, v5
	v_lshl_add_u32 v6, v7, 23, v6
	v_or3_b32 v5, v5, v6, v1
.LBB87_618:
	s_or_b64 exec, exec, s[8:9]
	s_mov_b64 s[0:1], 0
	s_branch .LBB87_624
.LBB87_619:
	s_mov_b64 s[8:9], -1
                                        ; implicit-def: $vgpr5
	s_branch .LBB87_630
.LBB87_620:
	s_or_saveexec_b64 s[8:9], s[8:9]
	v_mov_b32_e32 v5, s12
	s_xor_b64 exec, exec, s[8:9]
	s_cbranch_execz .LBB87_603
.LBB87_621:
	v_cmp_ne_u16_e32 vcc, 0, v1
	s_andn2_b64 s[0:1], s[0:1], exec
	s_and_b64 s[10:11], vcc, exec
	v_mov_b32_e32 v5, 0
	s_or_b64 s[0:1], s[0:1], s[10:11]
	s_or_b64 exec, exec, s[8:9]
	s_and_saveexec_b64 s[8:9], s[0:1]
	s_cbranch_execnz .LBB87_604
	s_branch .LBB87_605
.LBB87_622:
	s_mov_b64 s[0:1], -1
                                        ; implicit-def: $vgpr5
	s_branch .LBB87_627
.LBB87_623:
	s_mov_b64 s[0:1], -1
                                        ; implicit-def: $vgpr5
.LBB87_624:
	s_and_b64 vcc, exec, s[0:1]
	s_cbranch_vccz .LBB87_626
; %bb.625:
	global_load_ubyte v1, v[2:3], off
	s_mov_b32 s0, 0x7f800000
	s_waitcnt vmcnt(0)
	v_lshlrev_b32_e32 v1, 24, v1
	v_and_b32_e32 v5, 0x7f000000, v1
	v_ffbh_u32_e32 v6, v5
	v_min_u32_e32 v6, 32, v6
	v_sub_u32_e64 v6, v6, 4 clamp
	v_lshlrev_b32_e32 v9, v6, v5
	v_lshlrev_b32_e32 v6, 23, v6
	v_lshrrev_b32_e32 v9, 4, v9
	v_add_u32_e32 v7, 0x1000000, v5
	v_sub_u32_e32 v6, v9, v6
	v_ashrrev_i32_e32 v7, 8, v7
	v_add_u32_e32 v6, 0x3c000000, v6
	v_and_or_b32 v6, v7, s0, v6
	v_cmp_ne_u32_e32 vcc, 0, v5
	v_cndmask_b32_e32 v5, 0, v6, vcc
	s_brev_b32 s0, 1
	v_and_or_b32 v5, v1, s0, v5
.LBB87_626:
	s_mov_b64 s[0:1], 0
.LBB87_627:
	s_andn2_b64 vcc, exec, s[0:1]
	s_cbranch_vccnz .LBB87_629
; %bb.628:
	global_load_ubyte v1, v[2:3], off
	s_movk_i32 s0, 0x7f00
	s_brev_b32 s1, 16
	s_waitcnt vmcnt(0)
	v_lshlrev_b16_e32 v5, 8, v1
	v_lshlrev_b32_e32 v1, 25, v1
	v_lshrrev_b32_e32 v6, 4, v1
	v_and_or_b32 v7, v5, s0, 0.5
	v_or_b32_e32 v6, 0x70000000, v6
	v_add_f32_e32 v7, -0.5, v7
	v_mul_f32_e32 v6, 0x7800000, v6
	v_cmp_gt_u32_e32 vcc, s1, v1
	v_bfe_i32 v5, v5, 0, 16
	v_cndmask_b32_e32 v1, v6, v7, vcc
	s_brev_b32 s0, 1
	v_and_or_b32 v5, v5, s0, v1
.LBB87_629:
	s_mov_b64 s[8:9], 0
	s_mov_b64 s[0:1], -1
.LBB87_630:
	s_andn2_b64 vcc, exec, s[8:9]
	s_cbranch_vccnz .LBB87_643
; %bb.631:
	v_cmp_lt_i16_e32 vcc, 14, v4
	s_cbranch_vccz .LBB87_634
; %bb.632:
	v_cmp_eq_u16_e32 vcc, 15, v4
	s_cbranch_vccz .LBB87_637
; %bb.633:
	global_load_ushort v1, v[2:3], off
	s_mov_b64 s[0:1], -1
	s_mov_b64 s[2:3], 0
	s_waitcnt vmcnt(0)
	v_lshlrev_b32_e32 v5, 16, v1
	s_branch .LBB87_638
.LBB87_634:
	s_mov_b64 s[8:9], -1
                                        ; implicit-def: $vgpr5
	s_branch .LBB87_639
.LBB87_635:
	s_or_saveexec_b64 s[8:9], s[8:9]
	v_mov_b32_e32 v5, s12
	s_xor_b64 exec, exec, s[8:9]
	s_cbranch_execz .LBB87_616
.LBB87_636:
	v_cmp_ne_u16_e32 vcc, 0, v1
	s_andn2_b64 s[0:1], s[0:1], exec
	s_and_b64 s[10:11], vcc, exec
	v_mov_b32_e32 v5, 0
	s_or_b64 s[0:1], s[0:1], s[10:11]
	s_or_b64 exec, exec, s[8:9]
	s_and_saveexec_b64 s[8:9], s[0:1]
	s_cbranch_execnz .LBB87_617
	s_branch .LBB87_618
.LBB87_637:
	s_mov_b64 s[2:3], -1
                                        ; implicit-def: $vgpr5
.LBB87_638:
	s_mov_b64 s[8:9], 0
.LBB87_639:
	s_and_b64 vcc, exec, s[8:9]
	s_cbranch_vccz .LBB87_643
; %bb.640:
	v_cmp_eq_u16_e32 vcc, 11, v4
	s_cbranch_vccz .LBB87_642
; %bb.641:
	global_load_ubyte v1, v[2:3], off
	s_mov_b64 s[0:1], -1
	s_mov_b64 s[2:3], 0
	s_waitcnt vmcnt(0)
	v_cmp_ne_u16_e32 vcc, 0, v1
	v_cndmask_b32_e64 v5, 0, 1.0, vcc
	s_branch .LBB87_643
.LBB87_642:
	s_mov_b64 s[2:3], -1
                                        ; implicit-def: $vgpr5
.LBB87_643:
	s_mov_b64 s[8:9], 0
.LBB87_644:
	s_and_b64 vcc, exec, s[8:9]
	s_cbranch_vccz .LBB87_693
; %bb.645:
	v_cmp_gt_i16_e32 vcc, 5, v4
	s_cbranch_vccnz .LBB87_650
; %bb.646:
	v_cmp_gt_i16_e32 vcc, 8, v4
	s_cbranch_vccnz .LBB87_651
	;; [unrolled: 3-line block ×3, first 2 shown]
; %bb.648:
	v_cmp_lt_i16_e32 vcc, 9, v4
	s_cbranch_vccz .LBB87_653
; %bb.649:
	global_load_dwordx2 v[6:7], v[2:3], off
	s_mov_b64 s[0:1], 0
	s_waitcnt vmcnt(0)
	v_cvt_f32_f64_e32 v5, v[6:7]
	s_branch .LBB87_654
.LBB87_650:
	s_mov_b64 s[0:1], -1
                                        ; implicit-def: $vgpr5
	s_branch .LBB87_672
.LBB87_651:
	s_mov_b64 s[0:1], -1
                                        ; implicit-def: $vgpr5
	s_branch .LBB87_660
.LBB87_652:
	s_mov_b64 s[0:1], -1
                                        ; implicit-def: $vgpr5
	s_branch .LBB87_657
.LBB87_653:
	s_mov_b64 s[0:1], -1
                                        ; implicit-def: $vgpr5
.LBB87_654:
	s_andn2_b64 vcc, exec, s[0:1]
	s_cbranch_vccnz .LBB87_656
; %bb.655:
	global_load_dword v5, v[2:3], off
.LBB87_656:
	s_mov_b64 s[0:1], 0
.LBB87_657:
	s_andn2_b64 vcc, exec, s[0:1]
	s_cbranch_vccnz .LBB87_659
; %bb.658:
	global_load_dword v1, v[2:3], off
	s_waitcnt vmcnt(0)
	v_cvt_f32_f16_e32 v5, v1
.LBB87_659:
	s_mov_b64 s[0:1], 0
.LBB87_660:
	s_andn2_b64 vcc, exec, s[0:1]
	s_cbranch_vccnz .LBB87_671
; %bb.661:
	v_cmp_gt_i16_e32 vcc, 6, v4
	s_cbranch_vccnz .LBB87_664
; %bb.662:
	v_cmp_lt_i16_e32 vcc, 6, v4
	s_cbranch_vccz .LBB87_665
; %bb.663:
	global_load_dwordx2 v[6:7], v[2:3], off
	s_mov_b64 s[0:1], 0
	s_waitcnt vmcnt(0)
	v_cvt_f32_f64_e32 v5, v[6:7]
	s_branch .LBB87_666
.LBB87_664:
	s_mov_b64 s[0:1], -1
                                        ; implicit-def: $vgpr5
	s_branch .LBB87_669
.LBB87_665:
	s_mov_b64 s[0:1], -1
                                        ; implicit-def: $vgpr5
.LBB87_666:
	s_andn2_b64 vcc, exec, s[0:1]
	s_cbranch_vccnz .LBB87_668
; %bb.667:
	global_load_dword v5, v[2:3], off
.LBB87_668:
	s_mov_b64 s[0:1], 0
.LBB87_669:
	s_andn2_b64 vcc, exec, s[0:1]
	s_cbranch_vccnz .LBB87_671
; %bb.670:
	global_load_ushort v1, v[2:3], off
	s_waitcnt vmcnt(0)
	v_cvt_f32_f16_e32 v5, v1
.LBB87_671:
	s_mov_b64 s[0:1], 0
.LBB87_672:
	s_andn2_b64 vcc, exec, s[0:1]
	s_cbranch_vccnz .LBB87_692
; %bb.673:
	v_cmp_gt_i16_e32 vcc, 2, v4
	s_cbranch_vccnz .LBB87_677
; %bb.674:
	v_cmp_gt_i16_e32 vcc, 3, v4
	s_cbranch_vccnz .LBB87_678
; %bb.675:
	v_cmp_lt_i16_e32 vcc, 3, v4
	s_cbranch_vccz .LBB87_679
; %bb.676:
	global_load_dwordx2 v[6:7], v[2:3], off
	s_mov_b64 s[0:1], 0
	s_waitcnt vmcnt(0)
	v_xor_b32_e32 v5, v6, v7
	v_ffbh_i32_e32 v1, v7
	v_ashrrev_i32_e32 v5, 31, v5
	v_add_u32_e32 v1, -1, v1
	v_add_u32_e32 v5, 32, v5
	v_min_u32_e32 v1, v1, v5
	v_lshlrev_b64 v[6:7], v1, v[6:7]
	v_min_u32_e32 v5, 1, v6
	v_or_b32_e32 v5, v7, v5
	v_cvt_f32_i32_e32 v5, v5
	v_sub_u32_e32 v1, 32, v1
	v_ldexp_f32 v5, v5, v1
	s_branch .LBB87_680
.LBB87_677:
	s_mov_b64 s[0:1], -1
                                        ; implicit-def: $vgpr5
	s_branch .LBB87_686
.LBB87_678:
	s_mov_b64 s[0:1], -1
                                        ; implicit-def: $vgpr5
	s_branch .LBB87_683
.LBB87_679:
	s_mov_b64 s[0:1], -1
                                        ; implicit-def: $vgpr5
.LBB87_680:
	s_andn2_b64 vcc, exec, s[0:1]
	s_cbranch_vccnz .LBB87_682
; %bb.681:
	global_load_dword v1, v[2:3], off
	s_waitcnt vmcnt(0)
	v_cvt_f32_i32_e32 v5, v1
.LBB87_682:
	s_mov_b64 s[0:1], 0
.LBB87_683:
	s_andn2_b64 vcc, exec, s[0:1]
	s_cbranch_vccnz .LBB87_685
; %bb.684:
	global_load_sshort v1, v[2:3], off
	s_waitcnt vmcnt(0)
	v_cvt_f32_i32_e32 v5, v1
.LBB87_685:
	s_mov_b64 s[0:1], 0
.LBB87_686:
	s_andn2_b64 vcc, exec, s[0:1]
	s_cbranch_vccnz .LBB87_692
; %bb.687:
	v_cmp_lt_i16_e32 vcc, 0, v4
	s_cbranch_vccz .LBB87_689
; %bb.688:
	global_load_sbyte v1, v[2:3], off
	s_mov_b64 s[0:1], 0
	s_waitcnt vmcnt(0)
	v_cvt_f32_i32_e32 v5, v1
	s_branch .LBB87_690
.LBB87_689:
	s_mov_b64 s[0:1], -1
                                        ; implicit-def: $vgpr5
.LBB87_690:
	s_andn2_b64 vcc, exec, s[0:1]
	s_cbranch_vccnz .LBB87_692
; %bb.691:
	global_load_ubyte v1, v[2:3], off
	s_waitcnt vmcnt(0)
	v_cvt_f32_ubyte0_e32 v5, v1
.LBB87_692:
	s_mov_b64 s[0:1], -1
.LBB87_693:
	s_andn2_b64 vcc, exec, s[0:1]
	s_cbranch_vccnz .LBB87_701
; %bb.694:
	s_brev_b32 s0, -2
	v_mov_b32_e32 v1, s44
	s_waitcnt vmcnt(0)
	v_bfi_b32 v2, s0, v5, v1
	v_mov_b32_e32 v1, s25
	v_add_co_u32_e32 v0, vcc, s24, v0
	v_mov_b32_e32 v3, 11
	v_addc_co_u32_e32 v1, vcc, 0, v1, vcc
	v_cmp_lt_i16_sdwa s[0:1], s45, v3 src0_sel:BYTE_0 src1_sel:DWORD
	s_and_b64 vcc, exec, s[0:1]
	s_cbranch_vccnz .LBB87_702
; %bb.695:
	v_mov_b32_e32 v3, 25
	v_cmp_gt_i16_sdwa s[0:1], s45, v3 src0_sel:BYTE_0 src1_sel:DWORD
	s_and_b64 vcc, exec, s[0:1]
	s_cbranch_vccz .LBB87_703
; %bb.696:
	v_mov_b32_e32 v3, 28
	v_cmp_gt_i16_sdwa s[0:1], s45, v3 src0_sel:BYTE_0 src1_sel:DWORD
	s_and_b64 vcc, exec, s[0:1]
	s_cbranch_vccz .LBB87_704
	;; [unrolled: 5-line block ×4, first 2 shown]
; %bb.699:
	v_mov_b32_e32 v3, 46
	v_cmp_eq_u16_sdwa s[8:9], s45, v3 src0_sel:BYTE_0 src1_sel:DWORD
	s_mov_b64 s[10:11], 0
	s_mov_b64 s[0:1], -1
	s_and_b64 vcc, exec, s[8:9]
	s_mov_b64 s[8:9], 0
	s_cbranch_vccz .LBB87_707
; %bb.700:
	v_bfe_u32 v3, v2, 16, 1
	s_movk_i32 s0, 0x7fff
	v_add3_u32 v3, v2, v3, s0
	v_lshrrev_b32_e32 v3, 16, v3
	v_mov_b32_e32 v6, 0x7fc0
	v_cmp_o_f32_e32 vcc, v2, v2
	v_cndmask_b32_e32 v3, v6, v3, vcc
	global_store_dword v[0:1], v3, off
	s_mov_b64 s[8:9], -1
	s_mov_b64 s[0:1], 0
	s_branch .LBB87_707
.LBB87_701:
	s_mov_b64 s[8:9], 0
	s_mov_b64 s[0:1], s[62:63]
	s_branch .LBB87_818
.LBB87_702:
	s_mov_b64 s[10:11], -1
	s_mov_b64 s[8:9], 0
	s_mov_b64 s[0:1], s[62:63]
	s_branch .LBB87_776
.LBB87_703:
	s_mov_b64 s[10:11], -1
	s_mov_b64 s[8:9], 0
	s_mov_b64 s[0:1], s[62:63]
	s_branch .LBB87_734
.LBB87_704:
	s_mov_b64 s[10:11], -1
	s_mov_b64 s[8:9], 0
	s_mov_b64 s[0:1], s[62:63]
	s_branch .LBB87_717
.LBB87_705:
	s_mov_b64 s[10:11], -1
	s_mov_b64 s[8:9], 0
	s_mov_b64 s[0:1], s[62:63]
	s_branch .LBB87_713
.LBB87_706:
	s_mov_b64 s[10:11], -1
	s_mov_b64 s[8:9], 0
	s_mov_b64 s[0:1], s[62:63]
.LBB87_707:
	s_and_b64 vcc, exec, s[10:11]
	s_cbranch_vccz .LBB87_712
; %bb.708:
	v_mov_b32_e32 v3, 44
	v_cmp_eq_u16_sdwa s[10:11], s45, v3 src0_sel:BYTE_0 src1_sel:DWORD
	s_mov_b64 s[0:1], -1
	s_and_b64 vcc, exec, s[10:11]
	s_cbranch_vccz .LBB87_712
; %bb.709:
	v_bfe_u32 v3, v2, 23, 8
	s_movk_i32 s0, 0xff
	v_cmp_ne_u32_e32 vcc, s0, v3
	v_mov_b32_e32 v6, 0xff
	s_and_saveexec_b64 s[8:9], vcc
; %bb.710:
	s_mov_b32 s0, 0x3fffff
	v_and_b32_e32 v7, 0x400000, v2
	v_and_or_b32 v3, v2, s0, v3
	v_cmp_ne_u32_e32 vcc, 0, v7
	v_cmp_ne_u32_e64 s[0:1], 0, v3
	s_and_b64 s[0:1], vcc, s[0:1]
	v_lshrrev_b32_e32 v6, 23, v2
	v_cndmask_b32_e64 v3, 0, 1, s[0:1]
	v_add_u32_e32 v6, v6, v3
; %bb.711:
	s_or_b64 exec, exec, s[8:9]
	s_mov_b64 s[8:9], -1
	s_mov_b64 s[0:1], 0
	global_store_byte v[0:1], v6, off
.LBB87_712:
	s_mov_b64 s[10:11], 0
.LBB87_713:
	s_and_b64 vcc, exec, s[10:11]
	s_cbranch_vccz .LBB87_716
; %bb.714:
	v_mov_b32_e32 v3, 29
	v_cmp_eq_u16_sdwa s[10:11], s45, v3 src0_sel:BYTE_0 src1_sel:DWORD
	s_mov_b64 s[0:1], -1
	s_and_b64 vcc, exec, s[10:11]
	s_cbranch_vccz .LBB87_716
; %bb.715:
	v_trunc_f32_e32 v3, v2
	v_mul_f32_e32 v6, 0x2f800000, v3
	v_floor_f32_e32 v6, v6
	v_fmac_f32_e32 v3, 0xcf800000, v6
	v_cvt_u32_f32_e32 v7, v6
	v_cvt_u32_f32_e32 v6, v3
	s_mov_b64 s[8:9], -1
	s_mov_b64 s[0:1], 0
	s_mov_b64 s[10:11], 0
	global_store_dwordx2 v[0:1], v[6:7], off
	s_branch .LBB87_717
.LBB87_716:
	s_mov_b64 s[10:11], 0
.LBB87_717:
	s_and_b64 vcc, exec, s[10:11]
	s_cbranch_vccz .LBB87_733
; %bb.718:
	v_mov_b32_e32 v3, 27
	v_cmp_lt_i16_sdwa s[10:11], s45, v3 src0_sel:BYTE_0 src1_sel:DWORD
	s_mov_b64 s[8:9], -1
	s_and_b64 vcc, exec, s[10:11]
	s_cbranch_vccnz .LBB87_724
; %bb.719:
	v_cmp_gt_i16_sdwa s[10:11], s45, v3 src0_sel:BYTE_0 src1_sel:DWORD
	v_cvt_u32_f32_e32 v3, v2
	s_and_b64 vcc, exec, s[10:11]
	s_cbranch_vccz .LBB87_721
; %bb.720:
	s_mov_b64 s[8:9], 0
	global_store_dword v[0:1], v3, off
.LBB87_721:
	s_andn2_b64 vcc, exec, s[8:9]
	s_cbranch_vccnz .LBB87_723
; %bb.722:
	global_store_short v[0:1], v3, off
.LBB87_723:
	s_mov_b64 s[8:9], 0
.LBB87_724:
	s_andn2_b64 vcc, exec, s[8:9]
	s_cbranch_vccnz .LBB87_732
; %bb.725:
	v_and_b32_e32 v3, 0x7fffffff, v5
	s_mov_b32 s8, 0x43800000
	v_cmp_gt_u32_e32 vcc, s8, v3
	v_mov_b32_e32 v6, 0x80
	s_and_saveexec_b64 s[8:9], vcc
	s_cbranch_execz .LBB87_731
; %bb.726:
	s_mov_b32 s10, 0x3bffffff
	v_cmp_lt_u32_e32 vcc, s10, v3
	s_mov_b64 s[10:11], 0
                                        ; implicit-def: $vgpr3
	s_and_saveexec_b64 s[12:13], vcc
	s_xor_b64 s[12:13], exec, s[12:13]
	s_cbranch_execz .LBB87_849
; %bb.727:
	v_bfe_u32 v3, v2, 20, 1
	s_mov_b32 s14, 0x487ffff
	v_add3_u32 v3, v2, v3, s14
	s_mov_b64 s[10:11], exec
	v_lshrrev_b32_e32 v3, 20, v3
	s_or_saveexec_b64 s[12:13], s[12:13]
                                        ; implicit-def: $sgpr14
	s_xor_b64 exec, exec, s[12:13]
	s_cbranch_execnz .LBB87_850
.LBB87_728:
	s_or_b64 exec, exec, s[12:13]
	v_mov_b32_e32 v6, s14
	s_and_saveexec_b64 s[12:13], s[10:11]
.LBB87_729:
	v_lshrrev_b32_e32 v6, 24, v2
	s_movk_i32 s10, 0x80
	v_and_or_b32 v6, v6, s10, v3
.LBB87_730:
	s_or_b64 exec, exec, s[12:13]
.LBB87_731:
	s_or_b64 exec, exec, s[8:9]
	global_store_byte v[0:1], v6, off
.LBB87_732:
	s_mov_b64 s[8:9], -1
.LBB87_733:
	s_mov_b64 s[10:11], 0
.LBB87_734:
	s_and_b64 vcc, exec, s[10:11]
	s_cbranch_vccz .LBB87_775
; %bb.735:
	v_mov_b32_e32 v3, 22
	v_cmp_gt_i16_sdwa s[12:13], s45, v3 src0_sel:BYTE_0 src1_sel:DWORD
	s_mov_b64 s[10:11], -1
	s_and_b64 vcc, exec, s[12:13]
	s_cbranch_vccz .LBB87_767
; %bb.736:
	v_mov_b32_e32 v3, 24
	v_cmp_lt_i16_sdwa s[10:11], s45, v3 src0_sel:BYTE_0 src1_sel:DWORD
	s_mov_b64 s[8:9], -1
	s_and_b64 vcc, exec, s[10:11]
	s_cbranch_vccnz .LBB87_756
; %bb.737:
	v_cmp_gt_i16_sdwa s[10:11], s45, v3 src0_sel:BYTE_0 src1_sel:DWORD
	s_and_b64 vcc, exec, s[10:11]
	s_cbranch_vccz .LBB87_745
; %bb.738:
	v_and_b32_e32 v3, 0x7fffffff, v5
	s_mov_b32 s8, 0x47800000
	v_cmp_gt_u32_e32 vcc, s8, v3
	v_mov_b32_e32 v6, 0x80
	s_and_saveexec_b64 s[8:9], vcc
	s_cbranch_execz .LBB87_744
; %bb.739:
	s_mov_b32 s10, 0x37ffffff
	v_cmp_lt_u32_e32 vcc, s10, v3
	s_mov_b64 s[10:11], 0
                                        ; implicit-def: $vgpr3
	s_and_saveexec_b64 s[12:13], vcc
	s_xor_b64 s[12:13], exec, s[12:13]
	s_cbranch_execz .LBB87_852
; %bb.740:
	v_bfe_u32 v3, v2, 21, 1
	s_mov_b32 s14, 0x88fffff
	v_add3_u32 v3, v2, v3, s14
	s_mov_b64 s[10:11], exec
	v_lshrrev_b32_e32 v3, 21, v3
	s_or_saveexec_b64 s[12:13], s[12:13]
                                        ; implicit-def: $sgpr14
	s_xor_b64 exec, exec, s[12:13]
	s_cbranch_execnz .LBB87_853
.LBB87_741:
	s_or_b64 exec, exec, s[12:13]
	v_mov_b32_e32 v6, s14
	s_and_saveexec_b64 s[12:13], s[10:11]
.LBB87_742:
	v_lshrrev_b32_e32 v6, 24, v2
	s_movk_i32 s10, 0x80
	v_and_or_b32 v6, v6, s10, v3
.LBB87_743:
	s_or_b64 exec, exec, s[12:13]
.LBB87_744:
	s_or_b64 exec, exec, s[8:9]
	s_mov_b64 s[8:9], 0
	global_store_byte v[0:1], v6, off
.LBB87_745:
	s_and_b64 vcc, exec, s[8:9]
	s_cbranch_vccz .LBB87_755
; %bb.746:
	v_and_b32_e32 v6, 0x7fffffff, v5
	s_mov_b32 s8, 0x43f00000
	v_cmp_gt_u32_e32 vcc, s8, v6
                                        ; implicit-def: $vgpr3
	s_and_saveexec_b64 s[8:9], vcc
	s_xor_b64 s[8:9], exec, s[8:9]
	s_cbranch_execz .LBB87_752
; %bb.747:
	s_mov_b32 s10, 0x3c7fffff
	v_cmp_lt_u32_e32 vcc, s10, v6
                                        ; implicit-def: $vgpr3
	s_and_saveexec_b64 s[10:11], vcc
	s_xor_b64 s[10:11], exec, s[10:11]
; %bb.748:
	v_bfe_u32 v3, v2, 20, 1
	s_mov_b32 s12, 0x407ffff
	v_add3_u32 v3, v2, v3, s12
	v_lshrrev_b32_e32 v6, 20, v3
	v_and_b32_e32 v3, 0xff00000, v3
	s_mov_b32 s12, 0x7f00000
	v_mov_b32_e32 v7, 0x7e
	v_cmp_ne_u32_e32 vcc, s12, v3
	v_cndmask_b32_e32 v3, v7, v6, vcc
; %bb.749:
	s_andn2_saveexec_b64 s[10:11], s[10:11]
; %bb.750:
	s_mov_b32 s12, 0x46800000
	v_add_f32_e64 v3, |v5|, s12
; %bb.751:
	s_or_b64 exec, exec, s[10:11]
                                        ; implicit-def: $vgpr6
.LBB87_752:
	s_andn2_saveexec_b64 s[8:9], s[8:9]
; %bb.753:
	s_mov_b32 s10, 0x7f800000
	v_mov_b32_e32 v3, 0x7e
	v_mov_b32_e32 v7, 0x7f
	v_cmp_lt_u32_e32 vcc, s10, v6
	v_cndmask_b32_e32 v3, v3, v7, vcc
; %bb.754:
	s_or_b64 exec, exec, s[8:9]
	v_lshrrev_b32_e32 v6, 24, v2
	s_movk_i32 s8, 0x80
	v_and_or_b32 v3, v6, s8, v3
	global_store_byte v[0:1], v3, off
.LBB87_755:
	s_mov_b64 s[8:9], 0
.LBB87_756:
	s_andn2_b64 vcc, exec, s[8:9]
	s_cbranch_vccnz .LBB87_766
; %bb.757:
	v_and_b32_e32 v6, 0x7fffffff, v5
	s_mov_b32 s8, 0x47800000
	v_cmp_gt_u32_e32 vcc, s8, v6
                                        ; implicit-def: $vgpr3
	s_and_saveexec_b64 s[8:9], vcc
	s_xor_b64 s[8:9], exec, s[8:9]
	s_cbranch_execz .LBB87_763
; %bb.758:
	s_mov_b32 s10, 0x387fffff
	v_cmp_lt_u32_e32 vcc, s10, v6
                                        ; implicit-def: $vgpr3
	s_and_saveexec_b64 s[10:11], vcc
	s_xor_b64 s[10:11], exec, s[10:11]
; %bb.759:
	v_bfe_u32 v3, v2, 21, 1
	s_mov_b32 s12, 0x80fffff
	v_add3_u32 v3, v2, v3, s12
	v_lshrrev_b32_e32 v3, 21, v3
                                        ; implicit-def: $vgpr5
; %bb.760:
	s_andn2_saveexec_b64 s[10:11], s[10:11]
; %bb.761:
	s_mov_b32 s12, 0x43000000
	v_add_f32_e64 v3, |v5|, s12
; %bb.762:
	s_or_b64 exec, exec, s[10:11]
                                        ; implicit-def: $vgpr6
.LBB87_763:
	s_andn2_saveexec_b64 s[8:9], s[8:9]
; %bb.764:
	s_mov_b32 s10, 0x7f800000
	v_mov_b32_e32 v3, 0x7c
	v_mov_b32_e32 v5, 0x7f
	v_cmp_lt_u32_e32 vcc, s10, v6
	v_cndmask_b32_e32 v3, v3, v5, vcc
; %bb.765:
	s_or_b64 exec, exec, s[8:9]
	v_lshrrev_b32_e32 v5, 24, v2
	s_movk_i32 s8, 0x80
	v_and_or_b32 v3, v5, s8, v3
	global_store_byte v[0:1], v3, off
.LBB87_766:
	s_mov_b64 s[10:11], 0
	s_mov_b64 s[8:9], -1
.LBB87_767:
	s_andn2_b64 vcc, exec, s[10:11]
	s_cbranch_vccnz .LBB87_775
; %bb.768:
	v_mov_b32_e32 v3, 14
	v_cmp_gt_i16_sdwa s[12:13], s45, v3 src0_sel:BYTE_0 src1_sel:DWORD
	s_mov_b64 s[10:11], -1
	s_and_b64 vcc, exec, s[12:13]
	s_cbranch_vccz .LBB87_772
; %bb.769:
	v_mov_b32_e32 v3, 15
	v_cmp_eq_u16_sdwa s[10:11], s45, v3 src0_sel:BYTE_0 src1_sel:DWORD
	s_mov_b64 s[0:1], -1
	s_and_b64 vcc, exec, s[10:11]
	s_cbranch_vccz .LBB87_771
; %bb.770:
	v_bfe_u32 v3, v2, 16, 1
	s_movk_i32 s0, 0x7fff
	v_add3_u32 v3, v2, v3, s0
	v_lshrrev_b32_e32 v3, 16, v3
	v_mov_b32_e32 v5, 0x7fc0
	v_cmp_o_f32_e32 vcc, v2, v2
	v_cndmask_b32_e32 v3, v5, v3, vcc
	global_store_short v[0:1], v3, off
	s_mov_b64 s[8:9], -1
	s_mov_b64 s[0:1], 0
.LBB87_771:
	s_mov_b64 s[10:11], 0
.LBB87_772:
	s_and_b64 vcc, exec, s[10:11]
	s_cbranch_vccz .LBB87_775
; %bb.773:
	v_mov_b32_e32 v3, 11
	v_cmp_eq_u16_sdwa s[10:11], s45, v3 src0_sel:BYTE_0 src1_sel:DWORD
	s_mov_b64 s[0:1], -1
	s_and_b64 vcc, exec, s[10:11]
	s_cbranch_vccz .LBB87_775
; %bb.774:
	v_cmp_neq_f32_e32 vcc, 0, v2
	v_cndmask_b32_e64 v3, 0, 1, vcc
	s_mov_b64 s[8:9], -1
	s_mov_b64 s[0:1], 0
	global_store_byte v[0:1], v3, off
.LBB87_775:
	s_mov_b64 s[10:11], 0
.LBB87_776:
	s_and_b64 vcc, exec, s[10:11]
	s_cbranch_vccz .LBB87_815
; %bb.777:
	v_mov_b32_e32 v3, 5
	v_cmp_lt_i16_sdwa s[10:11], s45, v3 src0_sel:BYTE_0 src1_sel:DWORD
	s_mov_b64 s[8:9], -1
	s_and_b64 vcc, exec, s[10:11]
	s_cbranch_vccnz .LBB87_798
; %bb.778:
	v_mov_b32_e32 v3, 8
	v_cmp_lt_i16_sdwa s[10:11], s45, v3 src0_sel:BYTE_0 src1_sel:DWORD
	s_and_b64 vcc, exec, s[10:11]
	s_cbranch_vccnz .LBB87_788
; %bb.779:
	v_mov_b32_e32 v3, 9
	v_cmp_lt_i16_sdwa s[10:11], s45, v3 src0_sel:BYTE_0 src1_sel:DWORD
	s_and_b64 vcc, exec, s[10:11]
	s_cbranch_vccnz .LBB87_785
; %bb.780:
	v_cmp_gt_i16_sdwa s[10:11], s45, v3 src0_sel:BYTE_0 src1_sel:DWORD
	s_and_b64 vcc, exec, s[10:11]
	s_cbranch_vccz .LBB87_782
; %bb.781:
	v_mov_b32_e32 v12, 0
	v_cvt_f64_f32_e32 v[10:11], v2
	v_mov_b32_e32 v13, v12
	s_mov_b64 s[8:9], 0
	global_store_dwordx4 v[0:1], v[10:13], off
.LBB87_782:
	s_andn2_b64 vcc, exec, s[8:9]
	s_cbranch_vccnz .LBB87_784
; %bb.783:
	v_mov_b32_e32 v3, 0
	global_store_dwordx2 v[0:1], v[2:3], off
.LBB87_784:
	s_mov_b64 s[8:9], 0
.LBB87_785:
	s_andn2_b64 vcc, exec, s[8:9]
	s_cbranch_vccnz .LBB87_787
; %bb.786:
	v_cvt_f16_f32_e32 v3, v2
	global_store_dword v[0:1], v3, off
.LBB87_787:
	s_mov_b64 s[8:9], 0
.LBB87_788:
	s_andn2_b64 vcc, exec, s[8:9]
	s_cbranch_vccnz .LBB87_797
; %bb.789:
	v_mov_b32_e32 v3, 6
	v_cmp_lt_i16_sdwa s[10:11], s45, v3 src0_sel:BYTE_0 src1_sel:DWORD
	s_mov_b64 s[8:9], -1
	s_and_b64 vcc, exec, s[10:11]
	s_cbranch_vccnz .LBB87_795
; %bb.790:
	v_cmp_gt_i16_sdwa s[10:11], s45, v3 src0_sel:BYTE_0 src1_sel:DWORD
	s_and_b64 vcc, exec, s[10:11]
	s_cbranch_vccz .LBB87_792
; %bb.791:
	v_cvt_f64_f32_e32 v[6:7], v2
	s_mov_b64 s[8:9], 0
	global_store_dwordx2 v[0:1], v[6:7], off
.LBB87_792:
	s_andn2_b64 vcc, exec, s[8:9]
	s_cbranch_vccnz .LBB87_794
; %bb.793:
	global_store_dword v[0:1], v2, off
.LBB87_794:
	s_mov_b64 s[8:9], 0
.LBB87_795:
	s_andn2_b64 vcc, exec, s[8:9]
	s_cbranch_vccnz .LBB87_797
; %bb.796:
	v_cvt_f16_f32_e32 v3, v2
	global_store_short v[0:1], v3, off
.LBB87_797:
	s_mov_b64 s[8:9], 0
.LBB87_798:
	s_andn2_b64 vcc, exec, s[8:9]
	s_cbranch_vccnz .LBB87_814
; %bb.799:
	v_mov_b32_e32 v3, 2
	v_cmp_lt_i16_sdwa s[10:11], s45, v3 src0_sel:BYTE_0 src1_sel:DWORD
	s_mov_b64 s[8:9], -1
	s_and_b64 vcc, exec, s[10:11]
	s_cbranch_vccnz .LBB87_809
; %bb.800:
	v_mov_b32_e32 v3, 3
	v_cmp_lt_i16_sdwa s[10:11], s45, v3 src0_sel:BYTE_0 src1_sel:DWORD
	s_and_b64 vcc, exec, s[10:11]
	s_cbranch_vccnz .LBB87_806
; %bb.801:
	v_cmp_gt_i16_sdwa s[10:11], s45, v3 src0_sel:BYTE_0 src1_sel:DWORD
	s_and_b64 vcc, exec, s[10:11]
	s_cbranch_vccz .LBB87_803
; %bb.802:
	v_trunc_f32_e32 v3, v2
	s_mov_b32 s8, 0x2f800000
	v_mul_f32_e64 v5, |v3|, s8
	v_floor_f32_e32 v5, v5
	s_mov_b32 s8, 0xcf800000
	v_cvt_u32_f32_e32 v6, v5
	v_fma_f32 v5, v5, s8, |v3|
	v_cvt_u32_f32_e32 v5, v5
	v_ashrrev_i32_e32 v3, 31, v3
	v_xor_b32_e32 v7, v6, v3
	s_mov_b64 s[8:9], 0
	v_xor_b32_e32 v5, v5, v3
	v_sub_co_u32_e32 v6, vcc, v5, v3
	v_subb_co_u32_e32 v7, vcc, v7, v3, vcc
	global_store_dwordx2 v[0:1], v[6:7], off
.LBB87_803:
	s_andn2_b64 vcc, exec, s[8:9]
	s_cbranch_vccnz .LBB87_805
; %bb.804:
	v_cvt_i32_f32_e32 v3, v2
	global_store_dword v[0:1], v3, off
.LBB87_805:
	s_mov_b64 s[8:9], 0
.LBB87_806:
	s_andn2_b64 vcc, exec, s[8:9]
	s_cbranch_vccnz .LBB87_808
; %bb.807:
	v_cvt_i32_f32_e32 v3, v2
	global_store_short v[0:1], v3, off
.LBB87_808:
	s_mov_b64 s[8:9], 0
.LBB87_809:
	s_andn2_b64 vcc, exec, s[8:9]
	s_cbranch_vccnz .LBB87_814
; %bb.810:
	v_mov_b32_e32 v3, 0
	v_cmp_gt_i16_sdwa s[10:11], s45, v3 src0_sel:BYTE_0 src1_sel:DWORD
	s_mov_b64 s[8:9], -1
	s_and_b64 vcc, exec, s[10:11]
	s_cbranch_vccz .LBB87_812
; %bb.811:
	v_cvt_i32_f32_e32 v3, v2
	s_mov_b64 s[8:9], 0
	global_store_byte v[0:1], v3, off
.LBB87_812:
	s_andn2_b64 vcc, exec, s[8:9]
	s_cbranch_vccnz .LBB87_814
; %bb.813:
	v_trunc_f32_e32 v2, v2
	s_mov_b32 s8, 0x2f800000
	v_mul_f32_e64 v3, |v2|, s8
	v_floor_f32_e32 v3, v3
	s_mov_b32 s8, 0xcf800000
	v_fma_f32 v3, v3, s8, |v2|
	v_cvt_u32_f32_e32 v3, v3
	v_ashrrev_i32_e32 v2, 31, v2
	v_xor_b32_e32 v3, v3, v2
	v_sub_u32_e32 v2, v3, v2
	global_store_byte v[0:1], v2, off
.LBB87_814:
	s_mov_b64 s[8:9], -1
.LBB87_815:
	s_andn2_b64 vcc, exec, s[8:9]
	s_cbranch_vccnz .LBB87_817
; %bb.816:
	v_add_u32_e32 v8, 0x80, v8
	s_mov_b64 s[8:9], -1
	s_branch .LBB87_819
.LBB87_817:
	s_mov_b64 s[8:9], 0
.LBB87_818:
                                        ; implicit-def: $vgpr8
.LBB87_819:
	s_andn2_b64 s[10:11], s[62:63], exec
	s_and_b64 s[0:1], s[0:1], exec
	s_or_b64 s[70:71], s[10:11], s[0:1]
	s_andn2_b64 s[0:1], s[60:61], exec
	s_and_b64 s[2:3], s[2:3], exec
	s_or_b64 s[68:69], s[0:1], s[2:3]
	s_orn2_b64 s[2:3], s[8:9], exec
.LBB87_820:
	s_or_b64 exec, exec, s[66:67]
	s_mov_b64 s[0:1], 0
	s_mov_b64 s[8:9], 0
	;; [unrolled: 1-line block ×3, first 2 shown]
                                        ; implicit-def: $vgpr2_vgpr3
                                        ; implicit-def: $vgpr0
                                        ; implicit-def: $vgpr1
	s_and_saveexec_b64 s[66:67], s[2:3]
	s_cbranch_execz .LBB87_920
; %bb.821:
	v_cmp_gt_i32_e32 vcc, s74, v8
	s_mov_b64 s[2:3], 0
	s_mov_b64 s[12:13], s[68:69]
                                        ; implicit-def: $vgpr2_vgpr3
                                        ; implicit-def: $vgpr0
                                        ; implicit-def: $vgpr1
	s_and_saveexec_b64 s[72:73], vcc
	s_cbranch_execz .LBB87_919
; %bb.822:
	s_andn2_b64 vcc, exec, s[40:41]
	s_cbranch_vccnz .LBB87_828
; %bb.823:
	s_mov_b32 s74, 0
	s_andn2_b64 vcc, exec, s[52:53]
	v_mov_b32_e32 v2, 0
	v_mov_b32_e32 v0, 0
	s_cbranch_vccnz .LBB87_834
; %bb.824:
	s_add_i32 s77, s75, 1
	s_cmp_eq_u32 s76, 2
	s_cbranch_scc1 .LBB87_829
; %bb.825:
	s_and_b32 s74, s77, 28
	s_mov_b32 s75, 0
	v_mov_b32_e32 v0, 0
	s_mov_b64 s[52:53], s[34:35]
	v_mov_b32_e32 v3, v8
	v_mov_b32_e32 v2, 0
.LBB87_826:                             ; =>This Inner Loop Header: Depth=1
	s_load_dwordx8 s[16:23], s[52:53], 0x4
	s_load_dwordx4 s[0:3], s[52:53], 0x24
	s_load_dwordx8 s[8:15], s[50:51], 0x0
	s_add_u32 s52, s52, 48
	s_addc_u32 s53, s53, 0
	s_waitcnt lgkmcnt(0)
	v_mul_hi_u32 v1, s17, v3
	v_add_u32_e32 v1, v3, v1
	v_lshrrev_b32_e32 v1, s18, v1
	s_waitcnt vmcnt(0)
	v_mul_lo_u32 v5, v1, s16
	v_mul_hi_u32 v6, s20, v1
	v_sub_u32_e32 v3, v3, v5
	v_add_u32_e32 v5, v1, v6
	v_lshrrev_b32_e32 v5, s21, v5
	v_mul_lo_u32 v7, v5, s19
	v_mul_hi_u32 v9, s23, v5
	v_sub_u32_e32 v1, v1, v7
	v_add_u32_e32 v7, v5, v9
	v_mul_lo_u32 v6, v3, s9
	v_mul_lo_u32 v3, v3, s8
	;; [unrolled: 1-line block ×4, first 2 shown]
	v_lshrrev_b32_e32 v7, s0, v7
	v_add3_u32 v0, v3, v0, v1
	v_mul_hi_u32 v3, s2, v7
	v_add_u32_e32 v3, v7, v3
	v_lshrrev_b32_e32 v3, s3, v3
	s_add_i32 s75, s75, 4
	v_add3_u32 v1, v6, v2, v9
	v_mul_lo_u32 v2, v7, s22
	v_mul_lo_u32 v6, v3, s1
	s_add_u32 s50, s50, 32
	v_sub_u32_e32 v2, v5, v2
	v_sub_u32_e32 v6, v7, v6
	s_addc_u32 s51, s51, 0
	v_mul_lo_u32 v5, v2, s12
	v_mul_lo_u32 v2, v2, s13
	;; [unrolled: 1-line block ×4, first 2 shown]
	s_cmp_eq_u32 s74, s75
	v_add3_u32 v2, v2, v1, v6
	v_add3_u32 v0, v5, v0, v7
	s_cbranch_scc0 .LBB87_826
; %bb.827:
	v_mov_b32_e32 v1, v2
	s_branch .LBB87_830
.LBB87_828:
	s_mov_b64 s[0:1], -1
                                        ; implicit-def: $vgpr2
                                        ; implicit-def: $vgpr0
	s_branch .LBB87_835
.LBB87_829:
	s_mov_b32 s75, s74
	v_pk_mov_b32 v[0:1], s[74:75], s[74:75] op_sel:[0,1]
                                        ; implicit-def: $vgpr2
	v_mov_b32_e32 v3, v8
.LBB87_830:
	s_and_b32 s8, s77, 3
	s_cmp_eq_u32 s8, 0
	s_cbranch_scc1 .LBB87_834
; %bb.831:
	s_lshl_b32 s0, s74, 3
	s_add_u32 s0, s0, s34
	s_addc_u32 s1, s35, 0
	s_add_u32 s0, s0, 0xc4
	s_addc_u32 s1, s1, 0
	s_mul_i32 s2, s74, 12
	s_add_u32 s2, s34, s2
	s_addc_u32 s3, s35, 0
.LBB87_832:                             ; =>This Inner Loop Header: Depth=1
	s_load_dwordx2 s[10:11], s[2:3], 0x4
	s_load_dword s9, s[2:3], 0xc
	s_load_dwordx2 s[12:13], s[0:1], 0x0
	v_mov_b32_e32 v2, v1
	s_add_u32 s2, s2, 12
	s_waitcnt lgkmcnt(0)
	v_mul_hi_u32 v1, s11, v3
	v_add_u32_e32 v1, v3, v1
	v_lshrrev_b32_e32 v1, s9, v1
	s_addc_u32 s3, s3, 0
	s_waitcnt vmcnt(0)
	v_mul_lo_u32 v5, v1, s10
	s_add_u32 s0, s0, 8
	v_sub_u32_e32 v5, v3, v5
	v_mov_b32_e32 v3, v1
	s_addc_u32 s1, s1, 0
	s_add_i32 s8, s8, -1
	v_mad_u64_u32 v[6:7], s[10:11], v5, s13, v[2:3]
	v_mad_u64_u32 v[0:1], s[10:11], v5, s12, v[0:1]
	s_cmp_lg_u32 s8, 0
	v_mov_b32_e32 v1, v6
	s_cbranch_scc1 .LBB87_832
; %bb.833:
	v_mov_b32_e32 v2, v1
.LBB87_834:
	s_mov_b64 s[0:1], 0
.LBB87_835:
	s_andn2_b64 vcc, exec, s[0:1]
	s_cbranch_vccnz .LBB87_838
; %bb.836:
	v_mul_hi_u32 v0, s29, v8
	v_add_u32_e32 v0, v8, v0
	v_lshrrev_b32_e32 v1, s30, v0
	v_mul_lo_u32 v0, v1, s28
	v_sub_u32_e32 v0, v8, v0
	v_mul_lo_u32 v2, v0, s37
	s_andn2_b64 vcc, exec, s[48:49]
	v_mul_lo_u32 v0, v0, s36
	s_cbranch_vccnz .LBB87_838
; %bb.837:
	v_mul_hi_u32 v3, s46, v1
	v_add_u32_e32 v3, v1, v3
	v_lshrrev_b32_e32 v3, s47, v3
	v_mul_lo_u32 v3, v3, s31
	v_sub_u32_e32 v3, v1, v3
	v_mad_u64_u32 v[0:1], s[0:1], v3, s38, v[0:1]
	v_mad_u64_u32 v[2:3], s[0:1], v3, s39, v[2:3]
.LBB87_838:
	v_mov_b32_e32 v1, s27
	v_add_co_u32_e32 v2, vcc, s26, v2
	v_addc_co_u32_e32 v3, vcc, 0, v1, vcc
	v_cmp_gt_i16_e32 vcc, 11, v4
	s_cbranch_vccnz .LBB87_845
; %bb.839:
	v_cmp_lt_i16_e32 vcc, 25, v4
	s_mov_b64 s[2:3], 0
	s_cbranch_vccz .LBB87_846
; %bb.840:
	v_cmp_lt_i16_e32 vcc, 28, v4
	s_cbranch_vccz .LBB87_847
; %bb.841:
	v_cmp_lt_i16_e32 vcc, 43, v4
	;; [unrolled: 3-line block ×3, first 2 shown]
	s_cbranch_vccz .LBB87_851
; %bb.843:
	v_cmp_eq_u16_e32 vcc, 46, v4
	s_mov_b64 s[10:11], 0
	s_cbranch_vccz .LBB87_854
; %bb.844:
	global_load_dword v1, v[2:3], off
	s_mov_b64 s[0:1], 0
	s_mov_b64 s[8:9], -1
	s_waitcnt vmcnt(0)
	v_lshlrev_b32_e32 v1, 16, v1
	s_branch .LBB87_855
.LBB87_845:
	s_mov_b64 s[12:13], -1
	s_mov_b64 s[8:9], 0
	s_mov_b64 s[2:3], 0
	s_mov_b64 s[0:1], s[68:69]
                                        ; implicit-def: $vgpr1
	s_branch .LBB87_918
.LBB87_846:
	s_mov_b64 s[10:11], -1
	s_mov_b64 s[8:9], 0
	s_mov_b64 s[0:1], s[68:69]
                                        ; implicit-def: $vgpr1
	s_branch .LBB87_884
.LBB87_847:
	s_mov_b64 s[10:11], -1
	s_mov_b64 s[8:9], 0
	s_mov_b64 s[0:1], s[68:69]
                                        ; implicit-def: $vgpr1
	s_branch .LBB87_865
.LBB87_848:
	s_mov_b64 s[10:11], -1
	s_mov_b64 s[8:9], 0
	s_mov_b64 s[0:1], s[68:69]
                                        ; implicit-def: $vgpr1
	s_branch .LBB87_860
.LBB87_849:
	s_or_saveexec_b64 s[12:13], s[12:13]
                                        ; implicit-def: $sgpr14
	s_xor_b64 exec, exec, s[12:13]
	s_cbranch_execz .LBB87_728
.LBB87_850:
	s_mov_b32 s14, 0x46000000
	v_add_f32_e64 v3, |v5|, s14
	v_and_b32_e32 v3, 0xff, v3
	v_cmp_ne_u32_e32 vcc, 0, v3
	s_andn2_b64 s[10:11], s[10:11], exec
	s_and_b64 s[16:17], vcc, exec
	s_mov_b32 s14, 0
	s_or_b64 s[10:11], s[10:11], s[16:17]
	s_or_b64 exec, exec, s[12:13]
	v_mov_b32_e32 v6, s14
	s_and_saveexec_b64 s[12:13], s[10:11]
	s_cbranch_execnz .LBB87_729
	s_branch .LBB87_730
.LBB87_851:
	s_mov_b64 s[10:11], -1
	s_mov_b64 s[8:9], 0
	s_mov_b64 s[0:1], s[68:69]
                                        ; implicit-def: $vgpr1
	s_branch .LBB87_855
.LBB87_852:
	s_or_saveexec_b64 s[12:13], s[12:13]
                                        ; implicit-def: $sgpr14
	s_xor_b64 exec, exec, s[12:13]
	s_cbranch_execz .LBB87_741
.LBB87_853:
	s_mov_b32 s14, 0x42800000
	v_add_f32_e64 v3, |v5|, s14
	v_and_b32_e32 v3, 0xff, v3
	v_cmp_ne_u32_e32 vcc, 0, v3
	s_andn2_b64 s[10:11], s[10:11], exec
	s_and_b64 s[16:17], vcc, exec
	s_mov_b32 s14, 0
	s_or_b64 s[10:11], s[10:11], s[16:17]
	s_or_b64 exec, exec, s[12:13]
	v_mov_b32_e32 v6, s14
	s_and_saveexec_b64 s[12:13], s[10:11]
	s_cbranch_execnz .LBB87_742
	s_branch .LBB87_743
.LBB87_854:
	s_mov_b64 s[0:1], -1
                                        ; implicit-def: $vgpr1
	s_mov_b64 s[8:9], 0
.LBB87_855:
	s_and_b64 vcc, exec, s[10:11]
	s_cbranch_vccz .LBB87_859
; %bb.856:
	v_cmp_eq_u16_e32 vcc, 44, v4
	s_cbranch_vccz .LBB87_858
; %bb.857:
	global_load_ubyte v1, v[2:3], off
	s_movk_i32 s8, 0xff
	s_waitcnt vmcnt(1)
	v_mov_b32_e32 v5, 0x7f800001
	v_mov_b32_e32 v6, 0x400000
	s_mov_b64 s[0:1], 0
	s_waitcnt vmcnt(0)
	v_lshlrev_b32_e32 v7, 23, v1
	v_cmp_ne_u32_e32 vcc, s8, v1
	v_cndmask_b32_e32 v5, v5, v7, vcc
	v_cmp_ne_u32_e32 vcc, 0, v1
	v_cndmask_b32_e32 v1, v6, v5, vcc
	s_mov_b64 s[8:9], -1
	s_branch .LBB87_859
.LBB87_858:
	s_mov_b64 s[0:1], -1
                                        ; implicit-def: $vgpr1
.LBB87_859:
	s_mov_b64 s[10:11], 0
.LBB87_860:
	s_and_b64 vcc, exec, s[10:11]
	s_cbranch_vccz .LBB87_864
; %bb.861:
	v_cmp_eq_u16_e32 vcc, 29, v4
	s_cbranch_vccz .LBB87_863
; %bb.862:
	global_load_dwordx2 v[6:7], v[2:3], off
	s_mov_b64 s[0:1], 0
	s_mov_b64 s[8:9], -1
	s_mov_b64 s[10:11], 0
	s_waitcnt vmcnt(0)
	v_ffbh_u32_e32 v1, v7
	v_min_u32_e32 v1, 32, v1
	v_lshlrev_b64 v[6:7], v1, v[6:7]
	v_min_u32_e32 v5, 1, v6
	v_or_b32_e32 v5, v7, v5
	v_cvt_f32_u32_e32 v5, v5
	v_sub_u32_e32 v1, 32, v1
	v_ldexp_f32 v1, v5, v1
	s_branch .LBB87_865
.LBB87_863:
	s_mov_b64 s[0:1], -1
                                        ; implicit-def: $vgpr1
.LBB87_864:
	s_mov_b64 s[10:11], 0
.LBB87_865:
	s_and_b64 vcc, exec, s[10:11]
	s_cbranch_vccz .LBB87_883
; %bb.866:
	v_cmp_gt_i16_e32 vcc, 27, v4
	s_cbranch_vccnz .LBB87_869
; %bb.867:
	v_cmp_lt_i16_e32 vcc, 27, v4
	s_cbranch_vccz .LBB87_870
; %bb.868:
	global_load_dword v1, v[2:3], off
	s_mov_b64 s[8:9], 0
	s_waitcnt vmcnt(0)
	v_cvt_f32_u32_e32 v1, v1
	s_branch .LBB87_871
.LBB87_869:
	s_mov_b64 s[8:9], -1
                                        ; implicit-def: $vgpr1
	s_branch .LBB87_874
.LBB87_870:
	s_mov_b64 s[8:9], -1
                                        ; implicit-def: $vgpr1
.LBB87_871:
	s_andn2_b64 vcc, exec, s[8:9]
	s_cbranch_vccnz .LBB87_873
; %bb.872:
	global_load_ushort v1, v[2:3], off
	s_waitcnt vmcnt(0)
	v_cvt_f32_u32_e32 v1, v1
.LBB87_873:
	s_mov_b64 s[8:9], 0
.LBB87_874:
	s_andn2_b64 vcc, exec, s[8:9]
	s_cbranch_vccnz .LBB87_882
; %bb.875:
	global_load_ubyte v5, v[2:3], off
	s_movk_i32 s8, 0x7f
                                        ; implicit-def: $sgpr14
	s_waitcnt vmcnt(0)
	v_cmp_lt_i16_e32 vcc, s8, v5
	s_mov_b64 s[8:9], 0
	s_and_saveexec_b64 s[10:11], vcc
	s_xor_b64 s[10:11], exec, s[10:11]
	s_cbranch_execz .LBB87_896
; %bb.876:
	s_movk_i32 s8, 0x80
	v_cmp_eq_u16_e32 vcc, s8, v5
	s_mov_b64 s[8:9], -1
                                        ; implicit-def: $sgpr14
	s_and_saveexec_b64 s[12:13], vcc
; %bb.877:
	s_mov_b32 s14, 0x7f800001
	s_xor_b64 s[8:9], exec, -1
; %bb.878:
	s_or_b64 exec, exec, s[12:13]
	s_and_b64 s[8:9], s[8:9], exec
	s_or_saveexec_b64 s[10:11], s[10:11]
	v_mov_b32_e32 v1, s14
	s_xor_b64 exec, exec, s[10:11]
	s_cbranch_execnz .LBB87_897
.LBB87_879:
	s_or_b64 exec, exec, s[10:11]
	s_and_saveexec_b64 s[10:11], s[8:9]
	s_cbranch_execz .LBB87_881
.LBB87_880:
	v_lshlrev_b32_e32 v1, 24, v5
	v_and_b32_e32 v5, 0xffff, v5
	v_and_b32_e32 v6, 7, v5
	v_ffbh_u32_e32 v8, v6
	v_min_u32_e32 v8, 32, v8
	v_subrev_u32_e32 v9, 28, v8
	v_bfe_u32 v7, v5, 3, 4
	v_lshlrev_b32_e32 v5, v9, v5
	v_sub_u32_e32 v8, 29, v8
	v_and_b32_e32 v5, 7, v5
	v_cmp_eq_u32_e32 vcc, 0, v7
	v_cndmask_b32_e32 v7, v7, v8, vcc
	v_cndmask_b32_e32 v5, v6, v5, vcc
	v_mov_b32_e32 v6, 0x3b800000
	v_lshlrev_b32_e32 v5, 20, v5
	v_and_b32_e32 v1, 0x80000000, v1
	v_lshl_add_u32 v6, v7, 23, v6
	v_or3_b32 v1, v1, v6, v5
.LBB87_881:
	s_or_b64 exec, exec, s[10:11]
.LBB87_882:
	s_mov_b64 s[8:9], -1
.LBB87_883:
	s_mov_b64 s[10:11], 0
.LBB87_884:
	s_and_b64 vcc, exec, s[10:11]
	s_cbranch_vccz .LBB87_917
; %bb.885:
	v_cmp_lt_i16_e32 vcc, 22, v4
	s_cbranch_vccz .LBB87_895
; %bb.886:
	v_cmp_gt_i16_e32 vcc, 24, v4
	s_cbranch_vccnz .LBB87_898
; %bb.887:
	v_cmp_lt_i16_e32 vcc, 24, v4
	s_cbranch_vccz .LBB87_899
; %bb.888:
	global_load_ubyte v5, v[2:3], off
	s_movk_i32 s2, 0x7f
                                        ; implicit-def: $sgpr12
	s_waitcnt vmcnt(0)
	v_cmp_lt_i16_e32 vcc, s2, v5
	s_mov_b64 s[2:3], 0
	s_and_saveexec_b64 s[8:9], vcc
	s_xor_b64 s[8:9], exec, s[8:9]
	s_cbranch_execz .LBB87_911
; %bb.889:
	s_movk_i32 s2, 0x80
	v_cmp_eq_u16_e32 vcc, s2, v5
	s_mov_b64 s[2:3], -1
                                        ; implicit-def: $sgpr12
	s_and_saveexec_b64 s[10:11], vcc
; %bb.890:
	s_mov_b32 s12, 0x7f800001
	s_xor_b64 s[2:3], exec, -1
; %bb.891:
	s_or_b64 exec, exec, s[10:11]
	s_and_b64 s[2:3], s[2:3], exec
	s_or_saveexec_b64 s[8:9], s[8:9]
	v_mov_b32_e32 v1, s12
	s_xor_b64 exec, exec, s[8:9]
	s_cbranch_execnz .LBB87_912
.LBB87_892:
	s_or_b64 exec, exec, s[8:9]
	s_and_saveexec_b64 s[8:9], s[2:3]
	s_cbranch_execz .LBB87_894
.LBB87_893:
	v_lshlrev_b32_e32 v1, 24, v5
	v_and_b32_e32 v5, 0xffff, v5
	v_and_b32_e32 v6, 3, v5
	v_ffbh_u32_e32 v8, v6
	v_min_u32_e32 v8, 32, v8
	v_subrev_u32_e32 v9, 29, v8
	v_bfe_u32 v7, v5, 2, 5
	v_lshlrev_b32_e32 v5, v9, v5
	v_sub_u32_e32 v8, 30, v8
	v_and_b32_e32 v5, 3, v5
	v_cmp_eq_u32_e32 vcc, 0, v7
	v_cndmask_b32_e32 v7, v7, v8, vcc
	v_cndmask_b32_e32 v5, v6, v5, vcc
	v_mov_b32_e32 v6, 0x37800000
	v_lshlrev_b32_e32 v5, 21, v5
	v_and_b32_e32 v1, 0x80000000, v1
	v_lshl_add_u32 v6, v7, 23, v6
	v_or3_b32 v1, v1, v6, v5
.LBB87_894:
	s_or_b64 exec, exec, s[8:9]
	s_mov_b64 s[2:3], 0
	s_branch .LBB87_900
.LBB87_895:
	s_mov_b64 s[2:3], -1
                                        ; implicit-def: $vgpr1
	s_branch .LBB87_906
.LBB87_896:
	s_or_saveexec_b64 s[10:11], s[10:11]
	v_mov_b32_e32 v1, s14
	s_xor_b64 exec, exec, s[10:11]
	s_cbranch_execz .LBB87_879
.LBB87_897:
	v_cmp_ne_u16_e32 vcc, 0, v5
	s_andn2_b64 s[8:9], s[8:9], exec
	s_and_b64 s[12:13], vcc, exec
	v_mov_b32_e32 v1, 0
	s_or_b64 s[8:9], s[8:9], s[12:13]
	s_or_b64 exec, exec, s[10:11]
	s_and_saveexec_b64 s[10:11], s[8:9]
	s_cbranch_execnz .LBB87_880
	s_branch .LBB87_881
.LBB87_898:
	s_mov_b64 s[2:3], -1
                                        ; implicit-def: $vgpr1
	s_branch .LBB87_903
.LBB87_899:
	s_mov_b64 s[2:3], -1
                                        ; implicit-def: $vgpr1
.LBB87_900:
	s_and_b64 vcc, exec, s[2:3]
	s_cbranch_vccz .LBB87_902
; %bb.901:
	global_load_ubyte v1, v[2:3], off
	s_mov_b32 s2, 0x7f800000
	s_waitcnt vmcnt(0)
	v_lshlrev_b32_e32 v1, 24, v1
	v_and_b32_e32 v5, 0x7f000000, v1
	v_ffbh_u32_e32 v6, v5
	v_min_u32_e32 v6, 32, v6
	v_sub_u32_e64 v6, v6, 4 clamp
	v_lshlrev_b32_e32 v8, v6, v5
	v_lshlrev_b32_e32 v6, 23, v6
	v_lshrrev_b32_e32 v8, 4, v8
	v_add_u32_e32 v7, 0x1000000, v5
	v_sub_u32_e32 v6, v8, v6
	v_ashrrev_i32_e32 v7, 8, v7
	v_add_u32_e32 v6, 0x3c000000, v6
	v_and_or_b32 v6, v7, s2, v6
	v_cmp_ne_u32_e32 vcc, 0, v5
	v_cndmask_b32_e32 v5, 0, v6, vcc
	s_brev_b32 s2, 1
	v_and_or_b32 v1, v1, s2, v5
.LBB87_902:
	s_mov_b64 s[2:3], 0
.LBB87_903:
	s_andn2_b64 vcc, exec, s[2:3]
	s_cbranch_vccnz .LBB87_905
; %bb.904:
	global_load_ubyte v1, v[2:3], off
	s_movk_i32 s2, 0x7f00
	s_brev_b32 s3, 16
	s_waitcnt vmcnt(0)
	v_lshlrev_b16_e32 v5, 8, v1
	v_lshlrev_b32_e32 v1, 25, v1
	v_lshrrev_b32_e32 v6, 4, v1
	v_and_or_b32 v7, v5, s2, 0.5
	v_or_b32_e32 v6, 0x70000000, v6
	v_add_f32_e32 v7, -0.5, v7
	v_mul_f32_e32 v6, 0x7800000, v6
	v_cmp_gt_u32_e32 vcc, s3, v1
	v_bfe_i32 v5, v5, 0, 16
	v_cndmask_b32_e32 v1, v6, v7, vcc
	s_brev_b32 s2, 1
	v_and_or_b32 v1, v5, s2, v1
.LBB87_905:
	s_mov_b64 s[2:3], 0
	s_mov_b64 s[8:9], -1
.LBB87_906:
	s_andn2_b64 vcc, exec, s[2:3]
	s_mov_b64 s[2:3], 0
	s_cbranch_vccnz .LBB87_917
; %bb.907:
	v_cmp_lt_i16_e32 vcc, 14, v4
	s_cbranch_vccz .LBB87_910
; %bb.908:
	v_cmp_eq_u16_e32 vcc, 15, v4
	s_cbranch_vccz .LBB87_913
; %bb.909:
	global_load_ushort v1, v[2:3], off
	s_mov_b64 s[0:1], 0
	s_mov_b64 s[8:9], -1
	s_waitcnt vmcnt(0)
	v_lshlrev_b32_e32 v1, 16, v1
	s_branch .LBB87_914
.LBB87_910:
	s_mov_b64 s[10:11], -1
                                        ; implicit-def: $vgpr1
	s_branch .LBB87_915
.LBB87_911:
	s_or_saveexec_b64 s[8:9], s[8:9]
	v_mov_b32_e32 v1, s12
	s_xor_b64 exec, exec, s[8:9]
	s_cbranch_execz .LBB87_892
.LBB87_912:
	v_cmp_ne_u16_e32 vcc, 0, v5
	s_andn2_b64 s[2:3], s[2:3], exec
	s_and_b64 s[10:11], vcc, exec
	v_mov_b32_e32 v1, 0
	s_or_b64 s[2:3], s[2:3], s[10:11]
	s_or_b64 exec, exec, s[8:9]
	s_and_saveexec_b64 s[8:9], s[2:3]
	s_cbranch_execnz .LBB87_893
	s_branch .LBB87_894
.LBB87_913:
	s_mov_b64 s[0:1], -1
                                        ; implicit-def: $vgpr1
.LBB87_914:
	s_mov_b64 s[10:11], 0
.LBB87_915:
	s_and_b64 vcc, exec, s[10:11]
	s_cbranch_vccz .LBB87_917
; %bb.916:
	v_cmp_ne_u16_e32 vcc, 11, v4
	s_andn2_b64 s[0:1], s[0:1], exec
	s_and_b64 s[10:11], vcc, exec
	s_mov_b64 s[2:3], -1
	s_or_b64 s[0:1], s[0:1], s[10:11]
                                        ; implicit-def: $vgpr1
.LBB87_917:
	s_mov_b64 s[12:13], 0
.LBB87_918:
	s_and_b64 s[10:11], s[8:9], exec
	s_and_b64 s[8:9], s[12:13], exec
	s_andn2_b64 s[12:13], s[68:69], exec
	s_and_b64 s[0:1], s[0:1], exec
	s_and_b64 s[2:3], s[2:3], exec
	s_or_b64 s[12:13], s[12:13], s[0:1]
.LBB87_919:
	s_or_b64 exec, exec, s[72:73]
	s_and_b64 s[0:1], s[2:3], exec
	s_andn2_b64 s[2:3], s[68:69], exec
	s_and_b64 s[12:13], s[12:13], exec
	s_and_b64 s[10:11], s[10:11], exec
	;; [unrolled: 1-line block ×3, first 2 shown]
	s_or_b64 s[68:69], s[2:3], s[12:13]
.LBB87_920:
	s_or_b64 exec, exec, s[66:67]
	s_andn2_b64 s[2:3], s[62:63], exec
	s_and_b64 s[12:13], s[70:71], exec
	s_or_b64 s[62:63], s[2:3], s[12:13]
	s_and_b64 s[2:3], s[0:1], exec
	s_andn2_b64 s[0:1], s[60:61], exec
	s_and_b64 s[12:13], s[68:69], exec
	s_and_b64 s[10:11], s[10:11], exec
	s_and_b64 s[8:9], s[8:9], exec
	s_or_b64 s[60:61], s[0:1], s[12:13]
.LBB87_921:
	s_or_b64 exec, exec, s[64:65]
	s_andn2_b64 s[0:1], s[54:55], exec
	s_and_b64 s[12:13], s[62:63], exec
	s_or_b64 s[54:55], s[0:1], s[12:13]
	s_and_b64 s[0:1], s[10:11], exec
	s_and_b64 s[10:11], s[8:9], exec
	s_and_b64 s[62:63], s[2:3], exec
	s_andn2_b64 s[2:3], s[56:57], exec
	s_and_b64 s[8:9], s[60:61], exec
	s_or_b64 s[56:57], s[2:3], s[8:9]
	s_or_b64 exec, exec, s[58:59]
	s_mov_b64 s[2:3], 0
	s_and_saveexec_b64 s[8:9], s[56:57]
	s_cbranch_execz .LBB87_276
.LBB87_922:
	s_mov_b64 s[2:3], exec
	s_andn2_b64 s[62:63], s[62:63], exec
	s_trap 2
                                        ; implicit-def: $vgpr1
	s_or_b64 exec, exec, s[8:9]
	s_and_saveexec_b64 s[8:9], s[62:63]
	s_xor_b64 s[8:9], exec, s[8:9]
	s_cbranch_execnz .LBB87_277
.LBB87_923:
	s_or_b64 exec, exec, s[8:9]
	s_and_saveexec_b64 s[8:9], s[10:11]
	s_cbranch_execz .LBB87_969
.LBB87_924:
	v_cmp_gt_i16_e32 vcc, 5, v4
	s_cbranch_vccnz .LBB87_929
; %bb.925:
	v_cmp_gt_i16_e32 vcc, 8, v4
	s_cbranch_vccnz .LBB87_930
; %bb.926:
	;; [unrolled: 3-line block ×3, first 2 shown]
	v_cmp_lt_i16_e32 vcc, 9, v4
	s_cbranch_vccz .LBB87_932
; %bb.928:
	global_load_dwordx2 v[6:7], v[2:3], off
	s_mov_b64 s[10:11], 0
	s_waitcnt vmcnt(0)
	v_cvt_f32_f64_e32 v1, v[6:7]
	s_branch .LBB87_933
.LBB87_929:
                                        ; implicit-def: $vgpr1
	s_branch .LBB87_950
.LBB87_930:
                                        ; implicit-def: $vgpr1
	s_branch .LBB87_939
.LBB87_931:
	s_mov_b64 s[10:11], -1
                                        ; implicit-def: $vgpr1
	s_branch .LBB87_936
.LBB87_932:
	s_mov_b64 s[10:11], -1
                                        ; implicit-def: $vgpr1
.LBB87_933:
	s_andn2_b64 vcc, exec, s[10:11]
	s_cbranch_vccnz .LBB87_935
; %bb.934:
	global_load_dword v1, v[2:3], off
.LBB87_935:
	s_mov_b64 s[10:11], 0
.LBB87_936:
	s_andn2_b64 vcc, exec, s[10:11]
	s_cbranch_vccnz .LBB87_938
; %bb.937:
	global_load_dword v1, v[2:3], off
	s_waitcnt vmcnt(0)
	v_cvt_f32_f16_e32 v1, v1
.LBB87_938:
	s_cbranch_execnz .LBB87_949
.LBB87_939:
	v_cmp_gt_i16_e32 vcc, 6, v4
	s_cbranch_vccnz .LBB87_942
; %bb.940:
	v_cmp_lt_i16_e32 vcc, 6, v4
	s_cbranch_vccz .LBB87_943
; %bb.941:
	global_load_dwordx2 v[6:7], v[2:3], off
	s_mov_b64 s[10:11], 0
	s_waitcnt vmcnt(0)
	v_cvt_f32_f64_e32 v1, v[6:7]
	s_branch .LBB87_944
.LBB87_942:
	s_mov_b64 s[10:11], -1
                                        ; implicit-def: $vgpr1
	s_branch .LBB87_947
.LBB87_943:
	s_mov_b64 s[10:11], -1
                                        ; implicit-def: $vgpr1
.LBB87_944:
	s_andn2_b64 vcc, exec, s[10:11]
	s_cbranch_vccnz .LBB87_946
; %bb.945:
	global_load_dword v1, v[2:3], off
.LBB87_946:
	s_mov_b64 s[10:11], 0
.LBB87_947:
	s_andn2_b64 vcc, exec, s[10:11]
	s_cbranch_vccnz .LBB87_949
; %bb.948:
	global_load_ushort v1, v[2:3], off
	s_waitcnt vmcnt(0)
	v_cvt_f32_f16_e32 v1, v1
.LBB87_949:
	s_cbranch_execnz .LBB87_968
.LBB87_950:
	v_cmp_gt_i16_e32 vcc, 2, v4
	s_cbranch_vccnz .LBB87_954
; %bb.951:
	v_cmp_gt_i16_e32 vcc, 3, v4
	s_cbranch_vccnz .LBB87_955
; %bb.952:
	v_cmp_lt_i16_e32 vcc, 3, v4
	s_cbranch_vccz .LBB87_956
; %bb.953:
	global_load_dwordx2 v[6:7], v[2:3], off
	s_mov_b64 s[10:11], 0
	s_waitcnt vmcnt(0)
	v_xor_b32_e32 v5, v6, v7
	v_ffbh_i32_e32 v1, v7
	v_ashrrev_i32_e32 v5, 31, v5
	v_add_u32_e32 v1, -1, v1
	v_add_u32_e32 v5, 32, v5
	v_min_u32_e32 v1, v1, v5
	v_lshlrev_b64 v[6:7], v1, v[6:7]
	v_min_u32_e32 v5, 1, v6
	v_or_b32_e32 v5, v7, v5
	v_cvt_f32_i32_e32 v5, v5
	v_sub_u32_e32 v1, 32, v1
	v_ldexp_f32 v1, v5, v1
	s_branch .LBB87_957
.LBB87_954:
                                        ; implicit-def: $vgpr1
	s_branch .LBB87_963
.LBB87_955:
	s_mov_b64 s[10:11], -1
                                        ; implicit-def: $vgpr1
	s_branch .LBB87_960
.LBB87_956:
	s_mov_b64 s[10:11], -1
                                        ; implicit-def: $vgpr1
.LBB87_957:
	s_andn2_b64 vcc, exec, s[10:11]
	s_cbranch_vccnz .LBB87_959
; %bb.958:
	global_load_dword v1, v[2:3], off
	s_waitcnt vmcnt(0)
	v_cvt_f32_i32_e32 v1, v1
.LBB87_959:
	s_mov_b64 s[10:11], 0
.LBB87_960:
	s_andn2_b64 vcc, exec, s[10:11]
	s_cbranch_vccnz .LBB87_962
; %bb.961:
	global_load_sshort v1, v[2:3], off
	s_waitcnt vmcnt(0)
	v_cvt_f32_i32_e32 v1, v1
.LBB87_962:
	s_cbranch_execnz .LBB87_968
.LBB87_963:
	v_cmp_lt_i16_e32 vcc, 0, v4
	s_cbranch_vccz .LBB87_965
; %bb.964:
	global_load_sbyte v1, v[2:3], off
	s_mov_b64 s[10:11], 0
	s_waitcnt vmcnt(0)
	v_cvt_f32_i32_e32 v1, v1
	s_branch .LBB87_966
.LBB87_965:
	s_mov_b64 s[10:11], -1
                                        ; implicit-def: $vgpr1
.LBB87_966:
	s_andn2_b64 vcc, exec, s[10:11]
	s_cbranch_vccnz .LBB87_968
; %bb.967:
	global_load_ubyte v1, v[2:3], off
	s_waitcnt vmcnt(0)
	v_cvt_f32_ubyte0_e32 v1, v1
.LBB87_968:
	s_or_b64 s[0:1], s[0:1], exec
.LBB87_969:
	s_or_b64 exec, exec, s[8:9]
	s_mov_b64 s[12:13], 0
	s_mov_b64 s[10:11], 0
                                        ; implicit-def: $vgpr6
                                        ; implicit-def: $vgpr2_vgpr3
                                        ; implicit-def: $vgpr4
	s_and_saveexec_b64 s[8:9], s[0:1]
	s_cbranch_execz .LBB87_987
; %bb.970:
	s_brev_b32 s0, -2
	v_mov_b32_e32 v2, s44
	s_waitcnt vmcnt(0)
	v_bfi_b32 v4, s0, v1, v2
	v_mov_b32_e32 v3, s25
	v_add_co_u32_e32 v2, vcc, s24, v0
	v_mov_b32_e32 v0, 0xff
	v_addc_co_u32_e32 v3, vcc, 0, v3, vcc
	v_and_b32_e32 v6, s45, v0
	v_cmp_gt_i16_e32 vcc, 11, v6
	s_cbranch_vccnz .LBB87_990
; %bb.971:
	v_cmp_lt_i16_e32 vcc, 25, v6
	s_mov_b64 s[12:13], -1
	s_mov_b64 s[0:1], s[54:55]
	s_cbranch_vccz .LBB87_1008
; %bb.972:
	v_cmp_lt_i16_e32 vcc, 28, v6
	s_mov_b64 s[10:11], -1
	s_mov_b64 s[0:1], s[54:55]
	s_cbranch_vccz .LBB87_992
; %bb.973:
	v_cmp_lt_i16_e32 vcc, 43, v6
	s_mov_b64 s[0:1], s[54:55]
	s_cbranch_vccz .LBB87_984
; %bb.974:
	v_cmp_lt_i16_e32 vcc, 45, v6
	s_mov_b64 s[0:1], s[54:55]
	s_cbranch_vccz .LBB87_978
; %bb.975:
	v_cmp_eq_u16_e32 vcc, 46, v6
	s_mov_b64 s[0:1], -1
	s_cbranch_vccz .LBB87_977
; %bb.976:
	v_bfe_u32 v0, v4, 16, 1
	s_movk_i32 s0, 0x7fff
	v_add3_u32 v0, v4, v0, s0
	v_lshrrev_b32_e32 v0, 16, v0
	v_mov_b32_e32 v5, 0x7fc0
	v_cmp_o_f32_e32 vcc, v4, v4
	v_cndmask_b32_e32 v0, v5, v0, vcc
	global_store_dword v[2:3], v0, off
	s_mov_b64 s[0:1], 0
.LBB87_977:
	s_mov_b64 s[10:11], 0
.LBB87_978:
	s_and_b64 vcc, exec, s[10:11]
	s_cbranch_vccz .LBB87_983
; %bb.979:
	v_cmp_eq_u16_e32 vcc, 44, v6
	s_mov_b64 s[0:1], -1
	s_cbranch_vccz .LBB87_983
; %bb.980:
	v_bfe_u32 v0, v4, 23, 8
	s_movk_i32 s0, 0xff
	v_cmp_ne_u32_e32 vcc, s0, v0
	v_mov_b32_e32 v5, 0xff
	s_and_saveexec_b64 s[10:11], vcc
; %bb.981:
	s_mov_b32 s0, 0x3fffff
	v_and_b32_e32 v7, 0x400000, v4
	v_and_or_b32 v0, v4, s0, v0
	v_cmp_ne_u32_e32 vcc, 0, v7
	v_cmp_ne_u32_e64 s[0:1], 0, v0
	s_and_b64 s[0:1], vcc, s[0:1]
	v_lshrrev_b32_e32 v5, 23, v4
	v_cndmask_b32_e64 v0, 0, 1, s[0:1]
	v_add_u32_e32 v5, v5, v0
; %bb.982:
	s_or_b64 exec, exec, s[10:11]
	s_mov_b64 s[0:1], 0
	global_store_byte v[2:3], v5, off
.LBB87_983:
	s_mov_b64 s[10:11], 0
.LBB87_984:
	s_and_b64 vcc, exec, s[10:11]
	s_cbranch_vccz .LBB87_991
; %bb.985:
	v_cmp_eq_u16_e32 vcc, 29, v6
	s_mov_b64 s[0:1], -1
	s_cbranch_vccz .LBB87_991
; %bb.986:
	v_trunc_f32_e32 v0, v4
	v_mul_f32_e32 v5, 0x2f800000, v0
	v_floor_f32_e32 v5, v5
	v_fmac_f32_e32 v0, 0xcf800000, v5
	v_cvt_u32_f32_e32 v9, v5
	v_cvt_u32_f32_e32 v8, v0
	s_mov_b64 s[0:1], 0
	s_mov_b64 s[10:11], 0
	global_store_dwordx2 v[2:3], v[8:9], off
	s_branch .LBB87_992
.LBB87_987:
	s_or_b64 exec, exec, s[8:9]
	s_and_saveexec_b64 s[0:1], s[54:55]
	s_cbranch_execnz .LBB87_1050
.LBB87_988:
	s_or_b64 exec, exec, s[0:1]
	s_and_saveexec_b64 s[0:1], s[12:13]
	s_xor_b64 s[0:1], exec, s[0:1]
	s_cbranch_execz .LBB87_1051
.LBB87_989:
	v_cmp_neq_f32_e32 vcc, 0, v4
	v_cndmask_b32_e64 v0, 0, 1, vcc
	global_store_byte v[2:3], v0, off
	s_or_b64 exec, exec, s[0:1]
	s_and_saveexec_b64 s[0:1], s[10:11]
	s_xor_b64 s[0:1], exec, s[0:1]
	s_cbranch_execz .LBB87_1089
	s_branch .LBB87_1052
.LBB87_990:
	s_mov_b64 s[10:11], -1
	s_mov_b64 s[0:1], s[54:55]
	s_branch .LBB87_1049
.LBB87_991:
	s_mov_b64 s[10:11], 0
.LBB87_992:
	s_and_b64 vcc, exec, s[10:11]
	s_cbranch_vccz .LBB87_1007
; %bb.993:
	v_cmp_gt_i16_e32 vcc, 27, v6
	s_mov_b64 s[10:11], -1
	s_cbranch_vccnz .LBB87_999
; %bb.994:
	v_cmp_lt_i16_e32 vcc, 27, v6
	s_cbranch_vccz .LBB87_996
; %bb.995:
	v_cvt_u32_f32_e32 v0, v4
	s_mov_b64 s[10:11], 0
	global_store_dword v[2:3], v0, off
.LBB87_996:
	s_andn2_b64 vcc, exec, s[10:11]
	s_cbranch_vccnz .LBB87_998
; %bb.997:
	v_cvt_u32_f32_e32 v0, v4
	global_store_short v[2:3], v0, off
.LBB87_998:
	s_mov_b64 s[10:11], 0
.LBB87_999:
	s_andn2_b64 vcc, exec, s[10:11]
	s_cbranch_vccnz .LBB87_1007
; %bb.1000:
	v_and_b32_e32 v0, 0x7fffffff, v1
	s_mov_b32 s10, 0x43800000
	v_cmp_gt_u32_e32 vcc, s10, v0
	v_mov_b32_e32 v5, 0x80
	s_and_saveexec_b64 s[10:11], vcc
	s_cbranch_execz .LBB87_1006
; %bb.1001:
	s_mov_b32 s12, 0x3bffffff
	v_cmp_lt_u32_e32 vcc, s12, v0
	s_mov_b64 s[12:13], 0
                                        ; implicit-def: $vgpr0
	s_and_saveexec_b64 s[14:15], vcc
	s_xor_b64 s[14:15], exec, s[14:15]
	s_cbranch_execz .LBB87_1160
; %bb.1002:
	v_bfe_u32 v0, v4, 20, 1
	s_mov_b32 s16, 0x487ffff
	v_add3_u32 v0, v4, v0, s16
	s_mov_b64 s[12:13], exec
	v_lshrrev_b32_e32 v0, 20, v0
	s_or_saveexec_b64 s[14:15], s[14:15]
                                        ; implicit-def: $sgpr16
	s_xor_b64 exec, exec, s[14:15]
	s_cbranch_execnz .LBB87_1161
.LBB87_1003:
	s_or_b64 exec, exec, s[14:15]
	v_mov_b32_e32 v5, s16
	s_and_saveexec_b64 s[14:15], s[12:13]
.LBB87_1004:
	v_lshrrev_b32_e32 v5, 24, v4
	s_movk_i32 s12, 0x80
	v_and_or_b32 v5, v5, s12, v0
.LBB87_1005:
	s_or_b64 exec, exec, s[14:15]
.LBB87_1006:
	s_or_b64 exec, exec, s[10:11]
	global_store_byte v[2:3], v5, off
.LBB87_1007:
	s_mov_b64 s[12:13], 0
.LBB87_1008:
	s_mov_b64 s[10:11], 0
	s_and_b64 vcc, exec, s[12:13]
	s_cbranch_vccz .LBB87_1048
; %bb.1009:
	v_cmp_lt_i16_e32 vcc, 22, v6
	s_mov_b64 s[12:13], -1
	s_cbranch_vccz .LBB87_1041
; %bb.1010:
	v_cmp_gt_i16_e32 vcc, 24, v6
	s_cbranch_vccnz .LBB87_1030
; %bb.1011:
	v_cmp_lt_i16_e32 vcc, 24, v6
	s_cbranch_vccz .LBB87_1019
; %bb.1012:
	v_and_b32_e32 v0, 0x7fffffff, v1
	s_mov_b32 s12, 0x47800000
	v_cmp_gt_u32_e32 vcc, s12, v0
	v_mov_b32_e32 v5, 0x80
	s_and_saveexec_b64 s[12:13], vcc
	s_cbranch_execz .LBB87_1018
; %bb.1013:
	s_mov_b32 s14, 0x37ffffff
	v_cmp_lt_u32_e32 vcc, s14, v0
	s_mov_b64 s[14:15], 0
                                        ; implicit-def: $vgpr0
	s_and_saveexec_b64 s[16:17], vcc
	s_xor_b64 s[16:17], exec, s[16:17]
	s_cbranch_execz .LBB87_1285
; %bb.1014:
	v_bfe_u32 v0, v4, 21, 1
	s_mov_b32 s18, 0x88fffff
	v_add3_u32 v0, v4, v0, s18
	s_mov_b64 s[14:15], exec
	v_lshrrev_b32_e32 v0, 21, v0
	s_or_saveexec_b64 s[16:17], s[16:17]
                                        ; implicit-def: $sgpr18
	s_xor_b64 exec, exec, s[16:17]
	s_cbranch_execnz .LBB87_1286
.LBB87_1015:
	s_or_b64 exec, exec, s[16:17]
	v_mov_b32_e32 v5, s18
	s_and_saveexec_b64 s[16:17], s[14:15]
.LBB87_1016:
	v_lshrrev_b32_e32 v5, 24, v4
	s_movk_i32 s14, 0x80
	v_and_or_b32 v5, v5, s14, v0
.LBB87_1017:
	s_or_b64 exec, exec, s[16:17]
.LBB87_1018:
	s_or_b64 exec, exec, s[12:13]
	s_mov_b64 s[12:13], 0
	global_store_byte v[2:3], v5, off
.LBB87_1019:
	s_and_b64 vcc, exec, s[12:13]
	s_cbranch_vccz .LBB87_1029
; %bb.1020:
	v_and_b32_e32 v5, 0x7fffffff, v1
	s_mov_b32 s12, 0x43f00000
	v_cmp_gt_u32_e32 vcc, s12, v5
                                        ; implicit-def: $vgpr0
	s_and_saveexec_b64 s[12:13], vcc
	s_xor_b64 s[12:13], exec, s[12:13]
	s_cbranch_execz .LBB87_1026
; %bb.1021:
	s_mov_b32 s14, 0x3c7fffff
	v_cmp_lt_u32_e32 vcc, s14, v5
                                        ; implicit-def: $vgpr0
	s_and_saveexec_b64 s[14:15], vcc
	s_xor_b64 s[14:15], exec, s[14:15]
; %bb.1022:
	v_bfe_u32 v0, v4, 20, 1
	s_mov_b32 s16, 0x407ffff
	v_add3_u32 v0, v4, v0, s16
	v_lshrrev_b32_e32 v5, 20, v0
	v_and_b32_e32 v0, 0xff00000, v0
	s_mov_b32 s16, 0x7f00000
	v_mov_b32_e32 v7, 0x7e
	v_cmp_ne_u32_e32 vcc, s16, v0
	v_cndmask_b32_e32 v0, v7, v5, vcc
; %bb.1023:
	s_andn2_saveexec_b64 s[14:15], s[14:15]
; %bb.1024:
	s_mov_b32 s16, 0x46800000
	v_add_f32_e64 v0, |v1|, s16
; %bb.1025:
	s_or_b64 exec, exec, s[14:15]
                                        ; implicit-def: $vgpr5
.LBB87_1026:
	s_andn2_saveexec_b64 s[12:13], s[12:13]
; %bb.1027:
	s_mov_b32 s14, 0x7f800000
	v_mov_b32_e32 v0, 0x7e
	v_mov_b32_e32 v7, 0x7f
	v_cmp_lt_u32_e32 vcc, s14, v5
	v_cndmask_b32_e32 v0, v0, v7, vcc
; %bb.1028:
	s_or_b64 exec, exec, s[12:13]
	v_lshrrev_b32_e32 v5, 24, v4
	s_movk_i32 s12, 0x80
	v_and_or_b32 v0, v5, s12, v0
	global_store_byte v[2:3], v0, off
.LBB87_1029:
	s_mov_b64 s[12:13], 0
.LBB87_1030:
	s_andn2_b64 vcc, exec, s[12:13]
	s_cbranch_vccnz .LBB87_1040
; %bb.1031:
	v_and_b32_e32 v5, 0x7fffffff, v1
	s_mov_b32 s12, 0x47800000
	v_cmp_gt_u32_e32 vcc, s12, v5
                                        ; implicit-def: $vgpr0
	s_and_saveexec_b64 s[12:13], vcc
	s_xor_b64 s[12:13], exec, s[12:13]
	s_cbranch_execz .LBB87_1037
; %bb.1032:
	s_mov_b32 s14, 0x387fffff
	v_cmp_lt_u32_e32 vcc, s14, v5
                                        ; implicit-def: $vgpr0
	s_and_saveexec_b64 s[14:15], vcc
	s_xor_b64 s[14:15], exec, s[14:15]
; %bb.1033:
	v_bfe_u32 v0, v4, 21, 1
	s_mov_b32 s16, 0x80fffff
	v_add3_u32 v0, v4, v0, s16
	v_lshrrev_b32_e32 v0, 21, v0
                                        ; implicit-def: $vgpr1
; %bb.1034:
	s_andn2_saveexec_b64 s[14:15], s[14:15]
; %bb.1035:
	s_mov_b32 s16, 0x43000000
	v_add_f32_e64 v0, |v1|, s16
; %bb.1036:
	s_or_b64 exec, exec, s[14:15]
                                        ; implicit-def: $vgpr5
.LBB87_1037:
	s_andn2_saveexec_b64 s[12:13], s[12:13]
; %bb.1038:
	s_mov_b32 s14, 0x7f800000
	v_mov_b32_e32 v0, 0x7c
	v_mov_b32_e32 v1, 0x7f
	v_cmp_lt_u32_e32 vcc, s14, v5
	v_cndmask_b32_e32 v0, v0, v1, vcc
; %bb.1039:
	s_or_b64 exec, exec, s[12:13]
	v_lshrrev_b32_e32 v1, 24, v4
	s_movk_i32 s12, 0x80
	v_and_or_b32 v0, v1, s12, v0
	global_store_byte v[2:3], v0, off
.LBB87_1040:
	s_mov_b64 s[12:13], 0
.LBB87_1041:
	s_andn2_b64 vcc, exec, s[12:13]
	s_mov_b64 s[12:13], 0
	s_cbranch_vccnz .LBB87_1049
; %bb.1042:
	v_cmp_lt_i16_e32 vcc, 14, v6
	s_mov_b64 s[14:15], -1
	s_cbranch_vccz .LBB87_1046
; %bb.1043:
	v_cmp_eq_u16_e32 vcc, 15, v6
	s_mov_b64 s[0:1], -1
	s_cbranch_vccz .LBB87_1045
; %bb.1044:
	v_bfe_u32 v0, v4, 16, 1
	s_movk_i32 s0, 0x7fff
	v_add3_u32 v0, v4, v0, s0
	v_lshrrev_b32_e32 v0, 16, v0
	v_mov_b32_e32 v1, 0x7fc0
	v_cmp_o_f32_e32 vcc, v4, v4
	v_cndmask_b32_e32 v0, v1, v0, vcc
	global_store_short v[2:3], v0, off
	s_mov_b64 s[0:1], 0
.LBB87_1045:
	s_mov_b64 s[14:15], 0
.LBB87_1046:
	s_and_b64 vcc, exec, s[14:15]
	s_cbranch_vccz .LBB87_1049
; %bb.1047:
	v_cmp_ne_u16_e32 vcc, 11, v6
	s_andn2_b64 s[0:1], s[0:1], exec
	s_and_b64 s[14:15], vcc, exec
	s_mov_b64 s[12:13], -1
	s_or_b64 s[0:1], s[0:1], s[14:15]
	s_branch .LBB87_1049
.LBB87_1048:
	s_mov_b64 s[12:13], 0
.LBB87_1049:
	s_andn2_b64 s[14:15], s[54:55], exec
	s_and_b64 s[0:1], s[0:1], exec
	s_and_b64 s[10:11], s[10:11], exec
	;; [unrolled: 1-line block ×3, first 2 shown]
	s_or_b64 s[54:55], s[14:15], s[0:1]
	s_or_b64 exec, exec, s[8:9]
	s_and_saveexec_b64 s[0:1], s[54:55]
	s_cbranch_execz .LBB87_988
.LBB87_1050:
	s_or_b64 s[2:3], s[2:3], exec
	s_andn2_b64 s[12:13], s[12:13], exec
	s_trap 2
	s_or_b64 exec, exec, s[0:1]
	s_and_saveexec_b64 s[0:1], s[12:13]
	s_xor_b64 s[0:1], exec, s[0:1]
	s_cbranch_execnz .LBB87_989
.LBB87_1051:
	s_or_b64 exec, exec, s[0:1]
	s_and_saveexec_b64 s[0:1], s[10:11]
	s_xor_b64 s[0:1], exec, s[0:1]
	s_cbranch_execz .LBB87_1089
.LBB87_1052:
	v_cmp_gt_i16_e32 vcc, 5, v6
	s_mov_b64 s[8:9], -1
	s_cbranch_vccnz .LBB87_1073
; %bb.1053:
	v_cmp_gt_i16_e32 vcc, 8, v6
	s_cbranch_vccnz .LBB87_1063
; %bb.1054:
	v_cmp_gt_i16_e32 vcc, 9, v6
	s_cbranch_vccnz .LBB87_1060
; %bb.1055:
	v_cmp_lt_i16_e32 vcc, 9, v6
	s_cbranch_vccz .LBB87_1057
; %bb.1056:
	v_mov_b32_e32 v10, 0
	v_cvt_f64_f32_e32 v[8:9], v4
	v_mov_b32_e32 v11, v10
	s_mov_b64 s[8:9], 0
	global_store_dwordx4 v[2:3], v[8:11], off
.LBB87_1057:
	s_andn2_b64 vcc, exec, s[8:9]
	s_cbranch_vccnz .LBB87_1059
; %bb.1058:
	s_waitcnt vmcnt(0)
	v_mov_b32_e32 v5, 0
	global_store_dwordx2 v[2:3], v[4:5], off
.LBB87_1059:
	s_mov_b64 s[8:9], 0
.LBB87_1060:
	s_andn2_b64 vcc, exec, s[8:9]
	s_cbranch_vccnz .LBB87_1062
; %bb.1061:
	v_cvt_f16_f32_e32 v0, v4
	global_store_dword v[2:3], v0, off
.LBB87_1062:
	s_mov_b64 s[8:9], 0
.LBB87_1063:
	s_andn2_b64 vcc, exec, s[8:9]
	s_cbranch_vccnz .LBB87_1072
; %bb.1064:
	v_cmp_gt_i16_e32 vcc, 6, v6
	s_mov_b64 s[8:9], -1
	s_cbranch_vccnz .LBB87_1070
; %bb.1065:
	v_cmp_lt_i16_e32 vcc, 6, v6
	s_cbranch_vccz .LBB87_1067
; %bb.1066:
	s_waitcnt vmcnt(0)
	v_cvt_f64_f32_e32 v[0:1], v4
	s_mov_b64 s[8:9], 0
	global_store_dwordx2 v[2:3], v[0:1], off
.LBB87_1067:
	s_andn2_b64 vcc, exec, s[8:9]
	s_cbranch_vccnz .LBB87_1069
; %bb.1068:
	global_store_dword v[2:3], v4, off
.LBB87_1069:
	s_mov_b64 s[8:9], 0
.LBB87_1070:
	s_andn2_b64 vcc, exec, s[8:9]
	s_cbranch_vccnz .LBB87_1072
; %bb.1071:
	v_cvt_f16_f32_e32 v0, v4
	global_store_short v[2:3], v0, off
.LBB87_1072:
	s_mov_b64 s[8:9], 0
.LBB87_1073:
	s_andn2_b64 vcc, exec, s[8:9]
	s_cbranch_vccnz .LBB87_1089
; %bb.1074:
	v_cmp_gt_i16_e32 vcc, 2, v6
	s_mov_b64 s[8:9], -1
	s_cbranch_vccnz .LBB87_1084
; %bb.1075:
	v_cmp_gt_i16_e32 vcc, 3, v6
	s_cbranch_vccnz .LBB87_1081
; %bb.1076:
	v_cmp_lt_i16_e32 vcc, 3, v6
	s_cbranch_vccz .LBB87_1078
; %bb.1077:
	v_trunc_f32_e32 v0, v4
	s_mov_b32 s8, 0x2f800000
	s_waitcnt vmcnt(0)
	v_mul_f32_e64 v1, |v0|, s8
	v_floor_f32_e32 v1, v1
	s_mov_b32 s8, 0xcf800000
	v_cvt_u32_f32_e32 v5, v1
	v_fma_f32 v1, v1, s8, |v0|
	v_cvt_u32_f32_e32 v1, v1
	v_ashrrev_i32_e32 v7, 31, v0
	v_xor_b32_e32 v5, v5, v7
	s_mov_b64 s[8:9], 0
	v_xor_b32_e32 v0, v1, v7
	v_sub_co_u32_e32 v0, vcc, v0, v7
	v_subb_co_u32_e32 v1, vcc, v5, v7, vcc
	global_store_dwordx2 v[2:3], v[0:1], off
.LBB87_1078:
	s_andn2_b64 vcc, exec, s[8:9]
	s_cbranch_vccnz .LBB87_1080
; %bb.1079:
	v_cvt_i32_f32_e32 v0, v4
	global_store_dword v[2:3], v0, off
.LBB87_1080:
	s_mov_b64 s[8:9], 0
.LBB87_1081:
	s_andn2_b64 vcc, exec, s[8:9]
	s_cbranch_vccnz .LBB87_1083
; %bb.1082:
	v_cvt_i32_f32_e32 v0, v4
	global_store_short v[2:3], v0, off
.LBB87_1083:
	s_mov_b64 s[8:9], 0
.LBB87_1084:
	s_andn2_b64 vcc, exec, s[8:9]
	s_cbranch_vccnz .LBB87_1089
; %bb.1085:
	v_cmp_lt_i16_e32 vcc, 0, v6
	s_mov_b64 s[8:9], -1
	s_cbranch_vccz .LBB87_1087
; %bb.1086:
	v_cvt_i32_f32_e32 v0, v4
	s_mov_b64 s[8:9], 0
	global_store_byte v[2:3], v0, off
.LBB87_1087:
	s_andn2_b64 vcc, exec, s[8:9]
	s_cbranch_vccnz .LBB87_1089
; %bb.1088:
	v_trunc_f32_e32 v0, v4
	s_mov_b32 s8, 0x2f800000
	s_waitcnt vmcnt(0)
	v_mul_f32_e64 v1, |v0|, s8
	v_floor_f32_e32 v1, v1
	s_mov_b32 s8, 0xcf800000
	v_fma_f32 v1, v1, s8, |v0|
	v_cvt_u32_f32_e32 v1, v1
	v_ashrrev_i32_e32 v0, 31, v0
	v_xor_b32_e32 v1, v1, v0
	v_sub_u32_e32 v0, v1, v0
	global_store_byte v[2:3], v0, off
.LBB87_1089:
	s_or_b64 exec, exec, s[0:1]
	s_and_b64 s[28:29], s[2:3], exec
                                        ; implicit-def: $vgpr9
                                        ; implicit-def: $vgpr8
.LBB87_1090:
	s_or_saveexec_b64 s[30:31], s[42:43]
	s_mov_b64 s[0:1], 0
                                        ; implicit-def: $vgpr0_vgpr1
                                        ; implicit-def: $sgpr18
                                        ; implicit-def: $vgpr2
	s_xor_b64 exec, exec, s[30:31]
	s_cbranch_execz .LBB87_2046
; %bb.1091:
	v_cndmask_b32_e64 v0, 0, 1, s[40:41]
	v_cmp_ne_u32_e64 s[0:1], 1, v0
	s_andn2_b64 vcc, exec, s[40:41]
	s_cbranch_vccnz .LBB87_1098
; %bb.1092:
	s_mov_b32 s2, 0
	s_cmp_lg_u32 s33, 0
	v_mov_b32_e32 v14, 0
	v_mov_b32_e32 v6, 0
	s_cbranch_scc0 .LBB87_1097
; %bb.1093:
	s_min_u32 s38, s76, 15
	s_add_i32 s38, s38, 1
	s_cmp_eq_u32 s76, 2
	s_cbranch_scc1 .LBB87_1099
; %bb.1094:
	s_add_u32 s6, s34, 0xc4
	s_addc_u32 s7, s35, 0
	s_and_b32 s2, s38, 28
	s_mov_b32 s3, 0
	v_mov_b32_e32 v6, 0
	s_mov_b64 s[36:37], s[34:35]
	v_mov_b32_e32 v0, v8
	v_mov_b32_e32 v14, 0
.LBB87_1095:                            ; =>This Inner Loop Header: Depth=1
	s_load_dwordx8 s[16:23], s[36:37], 0x4
	s_load_dwordx4 s[24:27], s[36:37], 0x24
	s_load_dwordx8 s[8:15], s[6:7], 0x0
	s_add_u32 s36, s36, 48
	s_addc_u32 s37, s37, 0
	s_waitcnt vmcnt(0) lgkmcnt(0)
	v_mul_hi_u32 v1, s17, v0
	v_add_u32_e32 v1, v0, v1
	v_lshrrev_b32_e32 v1, s18, v1
	v_mul_lo_u32 v2, v1, s16
	v_mul_hi_u32 v3, s20, v1
	v_sub_u32_e32 v0, v0, v2
	v_add_u32_e32 v2, v1, v3
	v_lshrrev_b32_e32 v2, s21, v2
	v_mul_lo_u32 v4, v2, s19
	v_mul_hi_u32 v5, s23, v2
	v_sub_u32_e32 v1, v1, v4
	v_add_u32_e32 v4, v2, v5
	v_mul_lo_u32 v3, v0, s9
	v_mul_lo_u32 v0, v0, s8
	;; [unrolled: 1-line block ×4, first 2 shown]
	v_lshrrev_b32_e32 v4, s24, v4
	v_add3_u32 v1, v0, v6, v1
	v_add3_u32 v3, v3, v14, v5
	v_mul_lo_u32 v0, v4, s22
	v_mul_hi_u32 v5, s26, v4
	v_sub_u32_e32 v0, v2, v0
	v_add_u32_e32 v2, v4, v5
	v_mul_lo_u32 v5, v0, s12
	v_mul_lo_u32 v6, v0, s13
	v_lshrrev_b32_e32 v0, s27, v2
	s_add_i32 s3, s3, 4
	v_mul_lo_u32 v2, v0, s25
	s_add_u32 s6, s6, 32
	v_sub_u32_e32 v2, v4, v2
	s_addc_u32 s7, s7, 0
	v_mul_lo_u32 v4, v2, s14
	v_mul_lo_u32 v2, v2, s15
	s_cmp_lg_u32 s2, s3
	v_add3_u32 v14, v6, v3, v2
	v_add3_u32 v6, v5, v1, v4
	s_cbranch_scc1 .LBB87_1095
; %bb.1096:
	v_mov_b32_e32 v7, v14
	s_and_b32 s8, s38, 3
	s_cmp_eq_u32 s8, 0
	s_cbranch_scc0 .LBB87_1100
.LBB87_1097:
	s_cbranch_execz .LBB87_1103
	s_branch .LBB87_1105
.LBB87_1098:
                                        ; implicit-def: $vgpr14
                                        ; implicit-def: $vgpr6
	s_branch .LBB87_1103
.LBB87_1099:
	s_mov_b32 s3, s2
	v_pk_mov_b32 v[6:7], s[2:3], s[2:3] op_sel:[0,1]
                                        ; implicit-def: $vgpr14
	v_mov_b32_e32 v0, v8
	s_and_b32 s8, s38, 3
	s_cmp_eq_u32 s8, 0
	s_cbranch_scc1 .LBB87_1097
.LBB87_1100:
	s_lshl_b32 s3, s2, 3
	s_add_u32 s3, s3, s34
	s_addc_u32 s7, 0, s35
	s_add_u32 s6, s3, 0xc4
	s_addc_u32 s7, s7, 0
	s_mul_i32 s2, s2, 12
	s_add_u32 s2, s34, s2
	s_addc_u32 s3, 0, s35
.LBB87_1101:                            ; =>This Inner Loop Header: Depth=1
	s_load_dwordx2 s[10:11], s[2:3], 0x4
	s_load_dword s9, s[2:3], 0xc
	s_load_dwordx2 s[12:13], s[6:7], 0x0
	s_add_u32 s2, s2, 12
	s_addc_u32 s3, s3, 0
	s_waitcnt vmcnt(0) lgkmcnt(0)
	v_mul_hi_u32 v1, s11, v0
	v_add_u32_e32 v1, v0, v1
	v_lshrrev_b32_e32 v1, s9, v1
	v_mul_lo_u32 v3, v1, s10
	v_mov_b32_e32 v2, v7
	s_add_u32 s6, s6, 8
	v_sub_u32_e32 v4, v0, v3
	s_addc_u32 s7, s7, 0
	s_add_i32 s8, s8, -1
	v_mad_u64_u32 v[2:3], s[10:11], v4, s13, v[2:3]
	v_mad_u64_u32 v[6:7], s[10:11], v4, s12, v[6:7]
	s_cmp_lg_u32 s8, 0
	v_mov_b32_e32 v0, v1
	v_mov_b32_e32 v7, v2
	s_cbranch_scc1 .LBB87_1101
; %bb.1102:
	v_mov_b32_e32 v14, v7
	s_cbranch_execnz .LBB87_1105
.LBB87_1103:
	s_load_dwordx4 s[8:11], s[34:35], 0x4
	s_load_dwordx2 s[2:3], s[34:35], 0xc4
	s_cmp_lt_u32 s33, 2
	s_waitcnt lgkmcnt(0)
	v_mul_hi_u32 v0, s9, v8
	v_add_u32_e32 v0, v8, v0
	v_lshrrev_b32_e32 v0, s10, v0
	s_waitcnt vmcnt(0)
	v_mul_lo_u32 v1, v0, s8
	v_sub_u32_e32 v1, v8, v1
	v_mul_lo_u32 v14, v1, s3
	v_mul_lo_u32 v6, v1, s2
	s_cbranch_scc1 .LBB87_1105
; %bb.1104:
	s_load_dwordx4 s[8:11], s[34:35], 0x10
	s_load_dwordx2 s[2:3], s[34:35], 0xcc
	s_waitcnt lgkmcnt(0)
	v_mul_hi_u32 v1, s9, v0
	v_add_u32_e32 v1, v0, v1
	v_lshrrev_b32_e32 v1, s10, v1
	v_mul_lo_u32 v1, v1, s8
	v_sub_u32_e32 v0, v0, v1
	v_mad_u64_u32 v[6:7], s[6:7], v0, s2, v[6:7]
	v_mad_u64_u32 v[14:15], s[2:3], v0, s3, v[14:15]
.LBB87_1105:
	s_and_b64 vcc, exec, s[0:1]
	v_add_u32_e32 v0, 0x80, v8
	s_cbranch_vccnz .LBB87_1112
; %bb.1106:
	s_mov_b32 s2, 0
	s_cmp_lg_u32 s33, 0
	v_mov_b32_e32 v12, 0
	v_mov_b32_e32 v4, 0
	s_cbranch_scc0 .LBB87_1111
; %bb.1107:
	s_min_u32 s38, s76, 15
	s_add_i32 s38, s38, 1
	s_cmp_eq_u32 s76, 2
	s_cbranch_scc1 .LBB87_1113
; %bb.1108:
	s_add_u32 s6, s34, 0xc4
	s_addc_u32 s7, s35, 0
	s_and_b32 s2, s38, 28
	s_mov_b32 s3, 0
	v_mov_b32_e32 v4, 0
	s_mov_b64 s[36:37], s[34:35]
	s_waitcnt vmcnt(0)
	v_mov_b32_e32 v1, v0
	v_mov_b32_e32 v12, 0
.LBB87_1109:                            ; =>This Inner Loop Header: Depth=1
	s_load_dwordx8 s[16:23], s[36:37], 0x4
	s_load_dwordx4 s[24:27], s[36:37], 0x24
	s_load_dwordx8 s[8:15], s[6:7], 0x0
	s_add_u32 s36, s36, 48
	s_addc_u32 s37, s37, 0
	s_waitcnt lgkmcnt(0)
	v_mul_hi_u32 v2, s17, v1
	v_add_u32_e32 v2, v1, v2
	v_lshrrev_b32_e32 v2, s18, v2
	v_mul_lo_u32 v3, v2, s16
	v_mul_hi_u32 v5, s20, v2
	v_sub_u32_e32 v1, v1, v3
	v_add_u32_e32 v3, v2, v5
	v_lshrrev_b32_e32 v3, s21, v3
	v_mul_lo_u32 v7, v3, s19
	v_mul_hi_u32 v10, s23, v3
	v_sub_u32_e32 v2, v2, v7
	v_add_u32_e32 v7, v3, v10
	v_mul_lo_u32 v5, v1, s9
	v_mul_lo_u32 v1, v1, s8
	;; [unrolled: 1-line block ×4, first 2 shown]
	v_lshrrev_b32_e32 v7, s24, v7
	v_add3_u32 v2, v1, v4, v2
	v_add3_u32 v4, v5, v12, v10
	v_mul_lo_u32 v1, v7, s22
	v_mul_hi_u32 v5, s26, v7
	v_sub_u32_e32 v1, v3, v1
	v_add_u32_e32 v3, v7, v5
	v_mul_lo_u32 v5, v1, s12
	v_mul_lo_u32 v10, v1, s13
	v_lshrrev_b32_e32 v1, s27, v3
	s_add_i32 s3, s3, 4
	v_mul_lo_u32 v3, v1, s25
	s_add_u32 s6, s6, 32
	v_sub_u32_e32 v3, v7, v3
	s_addc_u32 s7, s7, 0
	v_mul_lo_u32 v7, v3, s14
	v_mul_lo_u32 v3, v3, s15
	s_cmp_lg_u32 s2, s3
	v_add3_u32 v12, v10, v4, v3
	v_add3_u32 v4, v5, v2, v7
	s_cbranch_scc1 .LBB87_1109
; %bb.1110:
	v_mov_b32_e32 v5, v12
	s_and_b32 s8, s38, 3
	s_cmp_eq_u32 s8, 0
	s_cbranch_scc0 .LBB87_1114
.LBB87_1111:
	s_cbranch_execz .LBB87_1117
	s_branch .LBB87_1119
.LBB87_1112:
                                        ; implicit-def: $vgpr12
                                        ; implicit-def: $vgpr4
	s_branch .LBB87_1117
.LBB87_1113:
	s_mov_b32 s3, s2
	s_waitcnt vmcnt(0)
	v_pk_mov_b32 v[4:5], s[2:3], s[2:3] op_sel:[0,1]
                                        ; implicit-def: $vgpr12
	v_mov_b32_e32 v1, v0
	s_and_b32 s8, s38, 3
	s_cmp_eq_u32 s8, 0
	s_cbranch_scc1 .LBB87_1111
.LBB87_1114:
	s_lshl_b32 s3, s2, 3
	s_add_u32 s3, s3, s34
	s_addc_u32 s7, 0, s35
	s_add_u32 s6, s3, 0xc4
	s_addc_u32 s7, s7, 0
	s_mul_i32 s2, s2, 12
	s_add_u32 s2, s34, s2
	s_addc_u32 s3, 0, s35
.LBB87_1115:                            ; =>This Inner Loop Header: Depth=1
	s_load_dwordx2 s[10:11], s[2:3], 0x4
	s_load_dword s9, s[2:3], 0xc
	s_load_dwordx2 s[12:13], s[6:7], 0x0
	s_add_u32 s2, s2, 12
	v_mov_b32_e32 v2, v5
	s_waitcnt lgkmcnt(0)
	v_mul_hi_u32 v3, s11, v1
	v_add_u32_e32 v3, v1, v3
	v_lshrrev_b32_e32 v3, s9, v3
	s_addc_u32 s3, s3, 0
	v_mul_lo_u32 v5, v3, s10
	s_add_u32 s6, s6, 8
	v_sub_u32_e32 v5, v1, v5
	s_addc_u32 s7, s7, 0
	s_add_i32 s8, s8, -1
	v_mov_b32_e32 v1, v3
	v_mad_u64_u32 v[2:3], s[10:11], v5, s13, v[2:3]
	v_mad_u64_u32 v[4:5], s[10:11], v5, s12, v[4:5]
	s_cmp_lg_u32 s8, 0
	v_mov_b32_e32 v5, v2
	s_cbranch_scc1 .LBB87_1115
; %bb.1116:
	v_mov_b32_e32 v12, v5
	s_cbranch_execnz .LBB87_1119
.LBB87_1117:
	s_load_dwordx4 s[8:11], s[34:35], 0x4
	s_load_dwordx2 s[2:3], s[34:35], 0xc4
	s_cmp_lt_u32 s33, 2
	s_waitcnt vmcnt(0) lgkmcnt(0)
	v_mul_hi_u32 v1, s9, v0
	v_add_u32_e32 v1, v0, v1
	v_lshrrev_b32_e32 v1, s10, v1
	v_mul_lo_u32 v2, v1, s8
	v_sub_u32_e32 v0, v0, v2
	v_mul_lo_u32 v12, v0, s3
	v_mul_lo_u32 v4, v0, s2
	s_cbranch_scc1 .LBB87_1119
; %bb.1118:
	s_load_dwordx4 s[8:11], s[34:35], 0x10
	s_load_dwordx2 s[2:3], s[34:35], 0xcc
	s_waitcnt lgkmcnt(0)
	v_mul_hi_u32 v0, s9, v1
	v_add_u32_e32 v0, v1, v0
	v_lshrrev_b32_e32 v0, s10, v0
	v_mul_lo_u32 v0, v0, s8
	v_sub_u32_e32 v0, v1, v0
	v_mad_u64_u32 v[4:5], s[6:7], v0, s2, v[4:5]
	v_mad_u64_u32 v[12:13], s[2:3], v0, s3, v[12:13]
.LBB87_1119:
	s_and_b64 vcc, exec, s[0:1]
	v_add_u32_e32 v0, 0x100, v8
	s_cbranch_vccnz .LBB87_1126
; %bb.1120:
	s_mov_b32 s2, 0
	s_cmp_lg_u32 s33, 0
	v_mov_b32_e32 v10, 0
	v_mov_b32_e32 v2, 0
	s_cbranch_scc0 .LBB87_1125
; %bb.1121:
	s_min_u32 s38, s76, 15
	s_add_i32 s38, s38, 1
	s_cmp_eq_u32 s76, 2
	s_cbranch_scc1 .LBB87_1127
; %bb.1122:
	s_add_u32 s6, s34, 0xc4
	s_addc_u32 s7, s35, 0
	s_and_b32 s2, s38, 28
	s_mov_b32 s3, 0
	v_mov_b32_e32 v2, 0
	s_mov_b64 s[36:37], s[34:35]
	s_waitcnt vmcnt(0)
	v_mov_b32_e32 v1, v0
	v_mov_b32_e32 v10, 0
.LBB87_1123:                            ; =>This Inner Loop Header: Depth=1
	s_load_dwordx8 s[16:23], s[36:37], 0x4
	s_load_dwordx4 s[24:27], s[36:37], 0x24
	s_load_dwordx8 s[8:15], s[6:7], 0x0
	s_add_u32 s36, s36, 48
	s_addc_u32 s37, s37, 0
	s_waitcnt lgkmcnt(0)
	v_mul_hi_u32 v3, s17, v1
	v_add_u32_e32 v3, v1, v3
	v_lshrrev_b32_e32 v3, s18, v3
	v_mul_lo_u32 v5, v3, s16
	v_mul_hi_u32 v7, s20, v3
	v_sub_u32_e32 v1, v1, v5
	v_add_u32_e32 v5, v3, v7
	v_lshrrev_b32_e32 v5, s21, v5
	v_mul_lo_u32 v8, v5, s19
	v_mul_hi_u32 v11, s23, v5
	v_sub_u32_e32 v3, v3, v8
	v_add_u32_e32 v8, v5, v11
	v_mul_lo_u32 v7, v1, s9
	v_mul_lo_u32 v1, v1, s8
	;; [unrolled: 1-line block ×4, first 2 shown]
	v_lshrrev_b32_e32 v8, s24, v8
	v_add3_u32 v2, v1, v2, v3
	v_add3_u32 v3, v7, v10, v11
	v_mul_lo_u32 v1, v8, s22
	v_mul_hi_u32 v7, s26, v8
	v_sub_u32_e32 v1, v5, v1
	v_add_u32_e32 v5, v8, v7
	v_mul_lo_u32 v7, v1, s12
	v_mul_lo_u32 v10, v1, s13
	v_lshrrev_b32_e32 v1, s27, v5
	s_add_i32 s3, s3, 4
	v_mul_lo_u32 v5, v1, s25
	s_add_u32 s6, s6, 32
	v_sub_u32_e32 v5, v8, v5
	s_addc_u32 s7, s7, 0
	v_mul_lo_u32 v8, v5, s14
	v_mul_lo_u32 v5, v5, s15
	s_cmp_lg_u32 s2, s3
	v_add3_u32 v10, v10, v3, v5
	v_add3_u32 v2, v7, v2, v8
	s_cbranch_scc1 .LBB87_1123
; %bb.1124:
	v_mov_b32_e32 v3, v10
	s_and_b32 s8, s38, 3
	s_cmp_eq_u32 s8, 0
	s_cbranch_scc0 .LBB87_1128
.LBB87_1125:
	s_cbranch_execz .LBB87_1131
	s_branch .LBB87_1133
.LBB87_1126:
                                        ; implicit-def: $vgpr10
                                        ; implicit-def: $vgpr2
	s_branch .LBB87_1131
.LBB87_1127:
	s_mov_b32 s3, s2
	v_pk_mov_b32 v[2:3], s[2:3], s[2:3] op_sel:[0,1]
                                        ; implicit-def: $vgpr10
	s_waitcnt vmcnt(0)
	v_mov_b32_e32 v1, v0
	s_and_b32 s8, s38, 3
	s_cmp_eq_u32 s8, 0
	s_cbranch_scc1 .LBB87_1125
.LBB87_1128:
	s_lshl_b32 s3, s2, 3
	s_add_u32 s3, s3, s34
	s_addc_u32 s7, 0, s35
	s_add_u32 s6, s3, 0xc4
	s_addc_u32 s7, s7, 0
	s_mul_i32 s2, s2, 12
	s_add_u32 s2, s34, s2
	s_addc_u32 s3, 0, s35
.LBB87_1129:                            ; =>This Inner Loop Header: Depth=1
	s_load_dwordx2 s[10:11], s[2:3], 0x4
	s_load_dword s9, s[2:3], 0xc
	s_load_dwordx2 s[12:13], s[6:7], 0x0
	v_mov_b32_e32 v8, v3
	s_add_u32 s2, s2, 12
	s_waitcnt lgkmcnt(0)
	v_mul_hi_u32 v3, s11, v1
	v_add_u32_e32 v3, v1, v3
	v_lshrrev_b32_e32 v3, s9, v3
	s_addc_u32 s3, s3, 0
	v_mul_lo_u32 v5, v3, s10
	s_add_u32 s6, s6, 8
	v_sub_u32_e32 v5, v1, v5
	s_addc_u32 s7, s7, 0
	s_add_i32 s8, s8, -1
	v_mov_b32_e32 v1, v3
	v_mad_u64_u32 v[10:11], s[10:11], v5, s13, v[8:9]
	v_mad_u64_u32 v[2:3], s[10:11], v5, s12, v[2:3]
	s_cmp_lg_u32 s8, 0
	v_mov_b32_e32 v3, v10
	s_cbranch_scc1 .LBB87_1129
; %bb.1130:
	v_mov_b32_e32 v10, v3
	s_cbranch_execnz .LBB87_1133
.LBB87_1131:
	s_load_dwordx4 s[8:11], s[34:35], 0x4
	s_load_dwordx2 s[2:3], s[34:35], 0xc4
	s_cmp_lt_u32 s33, 2
	s_waitcnt vmcnt(0) lgkmcnt(0)
	v_mul_hi_u32 v1, s9, v0
	v_add_u32_e32 v1, v0, v1
	v_lshrrev_b32_e32 v1, s10, v1
	v_mul_lo_u32 v2, v1, s8
	v_sub_u32_e32 v0, v0, v2
	v_mul_lo_u32 v10, v0, s3
	v_mul_lo_u32 v2, v0, s2
	s_cbranch_scc1 .LBB87_1133
; %bb.1132:
	s_load_dwordx4 s[8:11], s[34:35], 0x10
	s_load_dwordx2 s[2:3], s[34:35], 0xcc
	s_waitcnt lgkmcnt(0)
	v_mul_hi_u32 v0, s9, v1
	v_add_u32_e32 v0, v1, v0
	v_lshrrev_b32_e32 v0, s10, v0
	v_mul_lo_u32 v0, v0, s8
	v_sub_u32_e32 v0, v1, v0
	v_mad_u64_u32 v[2:3], s[6:7], v0, s2, v[2:3]
	v_mad_u64_u32 v[10:11], s[2:3], v0, s3, v[10:11]
.LBB87_1133:
	s_and_b64 vcc, exec, s[0:1]
	s_cbranch_vccnz .LBB87_1140
; %bb.1134:
	s_mov_b32 s6, 0
	s_cmp_lg_u32 s33, 0
	v_mov_b32_e32 v8, 0
	v_mov_b32_e32 v0, 0
	s_cbranch_scc0 .LBB87_1139
; %bb.1135:
	s_min_u32 s36, s76, 15
	s_add_i32 s36, s36, 1
	s_cmp_eq_u32 s76, 2
	s_cbranch_scc1 .LBB87_1141
; %bb.1136:
	s_add_u32 s24, s34, 0xc4
	s_addc_u32 s25, s35, 0
	s_and_b32 s6, s36, 28
	s_mov_b32 s7, 0
	v_mov_b32_e32 v0, 0
	s_mov_b64 s[26:27], s[34:35]
	v_mov_b32_e32 v3, v9
	v_mov_b32_e32 v8, 0
.LBB87_1137:                            ; =>This Inner Loop Header: Depth=1
	s_load_dwordx8 s[16:23], s[26:27], 0x4
	s_load_dwordx4 s[0:3], s[26:27], 0x24
	s_load_dwordx8 s[8:15], s[24:25], 0x0
	s_add_u32 s26, s26, 48
	s_addc_u32 s27, s27, 0
	s_waitcnt vmcnt(0) lgkmcnt(0)
	v_mul_hi_u32 v1, s17, v3
	v_add_u32_e32 v1, v3, v1
	v_lshrrev_b32_e32 v1, s18, v1
	v_mul_lo_u32 v5, v1, s16
	v_mul_hi_u32 v7, s20, v1
	v_sub_u32_e32 v3, v3, v5
	v_add_u32_e32 v5, v1, v7
	v_lshrrev_b32_e32 v5, s21, v5
	v_mul_lo_u32 v11, v5, s19
	v_mul_hi_u32 v13, s23, v5
	v_sub_u32_e32 v1, v1, v11
	v_add_u32_e32 v11, v5, v13
	v_mul_lo_u32 v7, v3, s9
	v_mul_lo_u32 v3, v3, s8
	;; [unrolled: 1-line block ×4, first 2 shown]
	v_lshrrev_b32_e32 v11, s0, v11
	v_add3_u32 v0, v3, v0, v1
	v_add3_u32 v1, v7, v8, v13
	v_mul_lo_u32 v3, v11, s22
	v_mul_hi_u32 v7, s2, v11
	v_sub_u32_e32 v3, v5, v3
	v_add_u32_e32 v5, v11, v7
	v_mul_lo_u32 v7, v3, s12
	v_mul_lo_u32 v8, v3, s13
	v_lshrrev_b32_e32 v3, s3, v5
	s_add_i32 s7, s7, 4
	v_mul_lo_u32 v5, v3, s1
	s_add_u32 s24, s24, 32
	v_sub_u32_e32 v5, v11, v5
	s_addc_u32 s25, s25, 0
	v_mul_lo_u32 v11, v5, s14
	v_mul_lo_u32 v5, v5, s15
	s_cmp_lg_u32 s6, s7
	v_add3_u32 v8, v8, v1, v5
	v_add3_u32 v0, v7, v0, v11
	s_cbranch_scc1 .LBB87_1137
; %bb.1138:
	v_mov_b32_e32 v1, v8
	s_and_b32 s7, s36, 3
	s_cmp_eq_u32 s7, 0
	s_cbranch_scc0 .LBB87_1142
.LBB87_1139:
	s_cbranch_execz .LBB87_1145
	s_branch .LBB87_1147
.LBB87_1140:
                                        ; implicit-def: $vgpr8
                                        ; implicit-def: $vgpr0
	s_branch .LBB87_1145
.LBB87_1141:
	s_mov_b32 s7, s6
	s_waitcnt vmcnt(0)
	v_pk_mov_b32 v[0:1], s[6:7], s[6:7] op_sel:[0,1]
                                        ; implicit-def: $vgpr8
	v_mov_b32_e32 v3, v9
	s_and_b32 s7, s36, 3
	s_cmp_eq_u32 s7, 0
	s_cbranch_scc1 .LBB87_1139
.LBB87_1142:
	s_lshl_b32 s0, s6, 3
	s_add_u32 s0, s0, s34
	s_addc_u32 s1, 0, s35
	s_add_u32 s0, s0, 0xc4
	s_addc_u32 s1, s1, 0
	s_mul_i32 s2, s6, 12
	s_add_u32 s2, s34, s2
	s_addc_u32 s3, 0, s35
.LBB87_1143:                            ; =>This Inner Loop Header: Depth=1
	s_load_dwordx2 s[8:9], s[2:3], 0x4
	s_load_dword s6, s[2:3], 0xc
	s_load_dwordx2 s[10:11], s[0:1], 0x0
	v_mov_b32_e32 v8, v1
	s_add_u32 s2, s2, 12
	s_waitcnt lgkmcnt(0)
	v_mul_hi_u32 v1, s9, v3
	v_add_u32_e32 v1, v3, v1
	v_lshrrev_b32_e32 v1, s6, v1
	s_addc_u32 s3, s3, 0
	v_mul_lo_u32 v5, v1, s8
	s_add_u32 s0, s0, 8
	v_sub_u32_e32 v5, v3, v5
	s_addc_u32 s1, s1, 0
	s_add_i32 s7, s7, -1
	v_mov_b32_e32 v3, v1
	v_mad_u64_u32 v[16:17], s[8:9], v5, s11, v[8:9]
	v_mad_u64_u32 v[0:1], s[8:9], v5, s10, v[0:1]
	s_cmp_lg_u32 s7, 0
	v_mov_b32_e32 v1, v16
	s_cbranch_scc1 .LBB87_1143
; %bb.1144:
	v_mov_b32_e32 v8, v1
	s_cbranch_execnz .LBB87_1147
.LBB87_1145:
	s_load_dwordx4 s[0:3], s[34:35], 0x4
	s_load_dwordx2 s[6:7], s[34:35], 0xc4
	s_cmp_lt_u32 s33, 2
	s_waitcnt lgkmcnt(0)
	v_mul_hi_u32 v0, s1, v9
	v_add_u32_e32 v0, v9, v0
	s_waitcnt vmcnt(0)
	v_lshrrev_b32_e32 v1, s2, v0
	v_mul_lo_u32 v0, v1, s0
	v_sub_u32_e32 v0, v9, v0
	v_mul_lo_u32 v8, v0, s7
	v_mul_lo_u32 v0, v0, s6
	s_cbranch_scc1 .LBB87_1147
; %bb.1146:
	s_load_dwordx4 s[0:3], s[34:35], 0x10
	s_load_dwordx2 s[6:7], s[34:35], 0xcc
	s_waitcnt lgkmcnt(0)
	v_mul_hi_u32 v3, s1, v1
	v_add_u32_e32 v3, v1, v3
	v_lshrrev_b32_e32 v3, s2, v3
	v_mul_lo_u32 v3, v3, s0
	v_sub_u32_e32 v3, v1, v3
	v_mad_u64_u32 v[0:1], s[0:1], v3, s6, v[0:1]
	v_mad_u64_u32 v[8:9], s[0:1], v3, s7, v[8:9]
.LBB87_1147:
	s_load_dword s0, s[4:5], 0x168
	s_load_dwordx4 s[8:11], s[34:35], 0x148
	s_waitcnt lgkmcnt(0)
	s_lshr_b32 s16, s0, 8
	s_waitcnt vmcnt(0)
	v_mov_b32_e32 v1, s11
	v_add_co_u32_e32 v14, vcc, s10, v14
	v_addc_co_u32_e32 v15, vcc, 0, v1, vcc
	v_mov_b32_e32 v1, 11
	v_cmp_lt_i16_sdwa s[0:1], s16, v1 src0_sel:BYTE_0 src1_sel:DWORD
	s_and_b64 vcc, exec, s[0:1]
	s_cbranch_vccnz .LBB87_1154
; %bb.1148:
	v_mov_b32_e32 v1, 25
	v_cmp_gt_i16_sdwa s[0:1], s16, v1 src0_sel:BYTE_0 src1_sel:DWORD
	s_mov_b64 s[4:5], 0
	s_and_b64 vcc, exec, s[0:1]
	s_cbranch_vccz .LBB87_1156
; %bb.1149:
	v_mov_b32_e32 v1, 28
	v_cmp_gt_i16_sdwa s[0:1], s16, v1 src0_sel:BYTE_0 src1_sel:DWORD
	s_and_b64 vcc, exec, s[0:1]
	s_cbranch_vccz .LBB87_1157
; %bb.1150:
	v_mov_b32_e32 v1, 43
	v_cmp_gt_i16_sdwa s[0:1], s16, v1 src0_sel:BYTE_0 src1_sel:DWORD
	;; [unrolled: 5-line block ×3, first 2 shown]
	s_and_b64 vcc, exec, s[0:1]
	s_cbranch_vccz .LBB87_1159
; %bb.1152:
	v_mov_b32_e32 v1, 46
	v_cmp_eq_u16_sdwa s[0:1], s16, v1 src0_sel:BYTE_0 src1_sel:DWORD
	s_mov_b64 s[2:3], 0
	s_and_b64 vcc, exec, s[0:1]
	s_cbranch_vccz .LBB87_1162
; %bb.1153:
	global_load_dword v1, v[14:15], off
	s_mov_b64 s[0:1], 0
	s_mov_b64 s[6:7], -1
	s_waitcnt vmcnt(0)
	v_lshlrev_b32_e32 v1, 16, v1
	s_branch .LBB87_1163
.LBB87_1154:
	s_mov_b64 s[6:7], 0
                                        ; implicit-def: $vgpr1
	s_mov_b64 s[2:3], s[28:29]
	s_cbranch_execnz .LBB87_1226
.LBB87_1155:
	s_andn2_b64 vcc, exec, s[6:7]
	s_cbranch_vccz .LBB87_1271
	s_branch .LBB87_2044
.LBB87_1156:
	s_mov_b64 s[6:7], 0
	s_mov_b64 s[0:1], 0
                                        ; implicit-def: $vgpr1
	s_cbranch_execnz .LBB87_1191
	s_branch .LBB87_1222
.LBB87_1157:
	s_mov_b64 s[2:3], -1
	s_mov_b64 s[6:7], 0
	s_mov_b64 s[0:1], 0
                                        ; implicit-def: $vgpr1
	s_branch .LBB87_1172
.LBB87_1158:
	s_mov_b64 s[6:7], 0
	s_mov_b64 s[0:1], 0
                                        ; implicit-def: $vgpr1
	s_cbranch_execnz .LBB87_1168
	s_branch .LBB87_1171
.LBB87_1159:
	s_mov_b64 s[2:3], -1
	s_mov_b64 s[6:7], 0
	s_mov_b64 s[0:1], 0
                                        ; implicit-def: $vgpr1
	s_branch .LBB87_1163
.LBB87_1160:
	s_or_saveexec_b64 s[14:15], s[14:15]
                                        ; implicit-def: $sgpr16
	s_xor_b64 exec, exec, s[14:15]
	s_cbranch_execz .LBB87_1003
.LBB87_1161:
	s_mov_b32 s16, 0x46000000
	v_add_f32_e64 v0, |v1|, s16
	v_and_b32_e32 v0, 0xff, v0
	v_cmp_ne_u32_e32 vcc, 0, v0
	s_andn2_b64 s[12:13], s[12:13], exec
	s_and_b64 s[18:19], vcc, exec
	s_mov_b32 s16, 0
	s_or_b64 s[12:13], s[12:13], s[18:19]
	s_or_b64 exec, exec, s[14:15]
	v_mov_b32_e32 v5, s16
	s_and_saveexec_b64 s[14:15], s[12:13]
	s_cbranch_execnz .LBB87_1004
	s_branch .LBB87_1005
.LBB87_1162:
	s_mov_b64 s[0:1], -1
                                        ; implicit-def: $vgpr1
	s_mov_b64 s[6:7], 0
.LBB87_1163:
	s_and_b64 vcc, exec, s[2:3]
	s_cbranch_vccz .LBB87_1166
; %bb.1164:
	v_mov_b32_e32 v1, 44
	v_cmp_eq_u16_sdwa s[0:1], s16, v1 src0_sel:BYTE_0 src1_sel:DWORD
	s_and_b64 vcc, exec, s[0:1]
	s_cbranch_vccz .LBB87_1167
; %bb.1165:
	global_load_ubyte v1, v[14:15], off
	s_movk_i32 s2, 0xff
	v_mov_b32_e32 v3, 0x7f800001
	v_mov_b32_e32 v5, 0x400000
	s_mov_b64 s[0:1], 0
	s_mov_b64 s[6:7], -1
	s_waitcnt vmcnt(0)
	v_lshlrev_b32_e32 v7, 23, v1
	v_cmp_ne_u32_e32 vcc, s2, v1
	v_cndmask_b32_e32 v3, v3, v7, vcc
	v_cmp_ne_u32_e32 vcc, 0, v1
	v_cndmask_b32_e32 v1, v5, v3, vcc
.LBB87_1166:
	s_branch .LBB87_1171
.LBB87_1167:
	s_mov_b64 s[0:1], -1
                                        ; implicit-def: $vgpr1
	s_branch .LBB87_1171
.LBB87_1168:
	v_mov_b32_e32 v1, 29
	v_cmp_eq_u16_sdwa s[0:1], s16, v1 src0_sel:BYTE_0 src1_sel:DWORD
	s_and_b64 vcc, exec, s[0:1]
	s_cbranch_vccz .LBB87_1170
; %bb.1169:
	global_load_dwordx2 v[16:17], v[14:15], off
	s_mov_b64 s[0:1], 0
	s_mov_b64 s[6:7], -1
	s_mov_b64 s[2:3], 0
	s_waitcnt vmcnt(0)
	v_ffbh_u32_e32 v1, v17
	v_min_u32_e32 v1, 32, v1
	v_lshlrev_b64 v[16:17], v1, v[16:17]
	v_min_u32_e32 v3, 1, v16
	v_or_b32_e32 v3, v17, v3
	v_cvt_f32_u32_e32 v3, v3
	v_sub_u32_e32 v1, 32, v1
	v_ldexp_f32 v1, v3, v1
	s_branch .LBB87_1172
.LBB87_1170:
	s_mov_b64 s[0:1], -1
                                        ; implicit-def: $vgpr1
.LBB87_1171:
	s_mov_b64 s[2:3], 0
.LBB87_1172:
	s_and_b64 vcc, exec, s[2:3]
	s_cbranch_vccz .LBB87_1190
; %bb.1173:
	v_mov_b32_e32 v1, 27
	v_cmp_lt_i16_sdwa s[2:3], s16, v1 src0_sel:BYTE_0 src1_sel:DWORD
	s_and_b64 vcc, exec, s[2:3]
	s_cbranch_vccnz .LBB87_1176
; %bb.1174:
	v_cmp_gt_i16_sdwa s[2:3], s16, v1 src0_sel:BYTE_0 src1_sel:DWORD
	s_and_b64 vcc, exec, s[2:3]
	s_cbranch_vccz .LBB87_1177
; %bb.1175:
	global_load_dword v1, v[14:15], off
	s_mov_b64 s[2:3], 0
	s_waitcnt vmcnt(0)
	v_cvt_f32_u32_e32 v1, v1
	s_branch .LBB87_1178
.LBB87_1176:
	s_mov_b64 s[2:3], -1
                                        ; implicit-def: $vgpr1
	s_branch .LBB87_1181
.LBB87_1177:
	s_mov_b64 s[2:3], -1
                                        ; implicit-def: $vgpr1
.LBB87_1178:
	s_andn2_b64 vcc, exec, s[2:3]
	s_cbranch_vccnz .LBB87_1180
; %bb.1179:
	global_load_ushort v1, v[14:15], off
	s_waitcnt vmcnt(0)
	v_cvt_f32_u32_e32 v1, v1
.LBB87_1180:
	s_mov_b64 s[2:3], 0
.LBB87_1181:
	s_andn2_b64 vcc, exec, s[2:3]
	s_cbranch_vccnz .LBB87_1189
; %bb.1182:
	global_load_ubyte v3, v[14:15], off
	s_movk_i32 s2, 0x7f
                                        ; implicit-def: $sgpr14
	s_waitcnt vmcnt(0)
	v_cmp_lt_i16_e32 vcc, s2, v3
	s_mov_b64 s[2:3], 0
	s_and_saveexec_b64 s[6:7], vcc
	s_xor_b64 s[6:7], exec, s[6:7]
	s_cbranch_execz .LBB87_1202
; %bb.1183:
	s_movk_i32 s2, 0x80
	v_cmp_eq_u16_e32 vcc, s2, v3
	s_mov_b64 s[2:3], -1
                                        ; implicit-def: $sgpr14
	s_and_saveexec_b64 s[12:13], vcc
; %bb.1184:
	s_mov_b32 s14, 0x7f800001
	s_xor_b64 s[2:3], exec, -1
; %bb.1185:
	s_or_b64 exec, exec, s[12:13]
	s_and_b64 s[2:3], s[2:3], exec
	s_or_saveexec_b64 s[6:7], s[6:7]
	v_mov_b32_e32 v1, s14
	s_xor_b64 exec, exec, s[6:7]
	s_cbranch_execnz .LBB87_1203
.LBB87_1186:
	s_or_b64 exec, exec, s[6:7]
	s_and_saveexec_b64 s[6:7], s[2:3]
	s_cbranch_execz .LBB87_1188
.LBB87_1187:
	v_lshlrev_b32_e32 v1, 24, v3
	v_and_b32_e32 v3, 0xffff, v3
	v_and_b32_e32 v5, 7, v3
	v_ffbh_u32_e32 v9, v5
	v_min_u32_e32 v9, 32, v9
	v_subrev_u32_e32 v11, 28, v9
	v_bfe_u32 v7, v3, 3, 4
	v_lshlrev_b32_e32 v3, v11, v3
	v_sub_u32_e32 v9, 29, v9
	v_and_b32_e32 v3, 7, v3
	v_cmp_eq_u32_e32 vcc, 0, v7
	v_cndmask_b32_e32 v7, v7, v9, vcc
	v_cndmask_b32_e32 v3, v5, v3, vcc
	v_mov_b32_e32 v5, 0x3b800000
	v_lshlrev_b32_e32 v3, 20, v3
	v_and_b32_e32 v1, 0x80000000, v1
	v_lshl_add_u32 v5, v7, 23, v5
	v_or3_b32 v1, v1, v5, v3
.LBB87_1188:
	s_or_b64 exec, exec, s[6:7]
.LBB87_1189:
	s_mov_b64 s[6:7], -1
.LBB87_1190:
	s_branch .LBB87_1222
.LBB87_1191:
	v_mov_b32_e32 v1, 22
	v_cmp_gt_i16_sdwa s[2:3], s16, v1 src0_sel:BYTE_0 src1_sel:DWORD
	s_and_b64 vcc, exec, s[2:3]
	s_cbranch_vccz .LBB87_1201
; %bb.1192:
	v_mov_b32_e32 v1, 24
	v_cmp_lt_i16_sdwa s[2:3], s16, v1 src0_sel:BYTE_0 src1_sel:DWORD
	s_and_b64 vcc, exec, s[2:3]
	s_cbranch_vccnz .LBB87_1204
; %bb.1193:
	v_cmp_gt_i16_sdwa s[2:3], s16, v1 src0_sel:BYTE_0 src1_sel:DWORD
	s_and_b64 vcc, exec, s[2:3]
	s_cbranch_vccz .LBB87_1205
; %bb.1194:
	global_load_ubyte v3, v[14:15], off
	s_movk_i32 s2, 0x7f
                                        ; implicit-def: $sgpr12
	s_waitcnt vmcnt(0)
	v_cmp_lt_i16_e32 vcc, s2, v3
	s_mov_b64 s[2:3], 0
	s_and_saveexec_b64 s[4:5], vcc
	s_xor_b64 s[4:5], exec, s[4:5]
	s_cbranch_execz .LBB87_1216
; %bb.1195:
	s_movk_i32 s2, 0x80
	v_cmp_eq_u16_e32 vcc, s2, v3
	s_mov_b64 s[2:3], -1
                                        ; implicit-def: $sgpr12
	s_and_saveexec_b64 s[6:7], vcc
; %bb.1196:
	s_mov_b32 s12, 0x7f800001
	s_xor_b64 s[2:3], exec, -1
; %bb.1197:
	s_or_b64 exec, exec, s[6:7]
	s_and_b64 s[2:3], s[2:3], exec
	s_or_saveexec_b64 s[4:5], s[4:5]
	v_mov_b32_e32 v1, s12
	s_xor_b64 exec, exec, s[4:5]
	s_cbranch_execnz .LBB87_1217
.LBB87_1198:
	s_or_b64 exec, exec, s[4:5]
	s_and_saveexec_b64 s[4:5], s[2:3]
	s_cbranch_execz .LBB87_1200
.LBB87_1199:
	v_lshlrev_b32_e32 v1, 24, v3
	v_and_b32_e32 v3, 0xffff, v3
	v_and_b32_e32 v5, 3, v3
	v_ffbh_u32_e32 v9, v5
	v_min_u32_e32 v9, 32, v9
	v_subrev_u32_e32 v11, 29, v9
	v_bfe_u32 v7, v3, 2, 5
	v_lshlrev_b32_e32 v3, v11, v3
	v_sub_u32_e32 v9, 30, v9
	v_and_b32_e32 v3, 3, v3
	v_cmp_eq_u32_e32 vcc, 0, v7
	v_cndmask_b32_e32 v7, v7, v9, vcc
	v_cndmask_b32_e32 v3, v5, v3, vcc
	v_mov_b32_e32 v5, 0x37800000
	v_lshlrev_b32_e32 v3, 21, v3
	v_and_b32_e32 v1, 0x80000000, v1
	v_lshl_add_u32 v5, v7, 23, v5
	v_or3_b32 v1, v1, v5, v3
.LBB87_1200:
	s_or_b64 exec, exec, s[4:5]
	s_mov_b64 s[2:3], 0
	s_branch .LBB87_1206
.LBB87_1201:
                                        ; implicit-def: $vgpr1
	s_mov_b64 s[4:5], 0
	s_branch .LBB87_1212
.LBB87_1202:
	s_or_saveexec_b64 s[6:7], s[6:7]
	v_mov_b32_e32 v1, s14
	s_xor_b64 exec, exec, s[6:7]
	s_cbranch_execz .LBB87_1186
.LBB87_1203:
	v_cmp_ne_u16_e32 vcc, 0, v3
	s_andn2_b64 s[2:3], s[2:3], exec
	s_and_b64 s[12:13], vcc, exec
	v_mov_b32_e32 v1, 0
	s_or_b64 s[2:3], s[2:3], s[12:13]
	s_or_b64 exec, exec, s[6:7]
	s_and_saveexec_b64 s[6:7], s[2:3]
	s_cbranch_execnz .LBB87_1187
	s_branch .LBB87_1188
.LBB87_1204:
	s_mov_b64 s[2:3], -1
                                        ; implicit-def: $vgpr1
	s_branch .LBB87_1209
.LBB87_1205:
	s_mov_b64 s[2:3], -1
                                        ; implicit-def: $vgpr1
.LBB87_1206:
	s_and_b64 vcc, exec, s[2:3]
	s_cbranch_vccz .LBB87_1208
; %bb.1207:
	global_load_ubyte v1, v[14:15], off
	s_mov_b32 s2, 0x7f800000
	s_waitcnt vmcnt(0)
	v_lshlrev_b32_e32 v1, 24, v1
	v_and_b32_e32 v3, 0x7f000000, v1
	v_ffbh_u32_e32 v5, v3
	v_min_u32_e32 v5, 32, v5
	v_sub_u32_e64 v5, v5, 4 clamp
	v_lshlrev_b32_e32 v9, v5, v3
	v_lshlrev_b32_e32 v5, 23, v5
	v_lshrrev_b32_e32 v9, 4, v9
	v_add_u32_e32 v7, 0x1000000, v3
	v_sub_u32_e32 v5, v9, v5
	v_ashrrev_i32_e32 v7, 8, v7
	v_add_u32_e32 v5, 0x3c000000, v5
	v_and_or_b32 v5, v7, s2, v5
	v_cmp_ne_u32_e32 vcc, 0, v3
	v_cndmask_b32_e32 v3, 0, v5, vcc
	s_brev_b32 s2, 1
	v_and_or_b32 v1, v1, s2, v3
.LBB87_1208:
	s_mov_b64 s[2:3], 0
.LBB87_1209:
	s_andn2_b64 vcc, exec, s[2:3]
	s_cbranch_vccnz .LBB87_1211
; %bb.1210:
	global_load_ubyte v1, v[14:15], off
	s_movk_i32 s2, 0x7f00
	s_brev_b32 s3, 16
	s_waitcnt vmcnt(0)
	v_lshlrev_b16_e32 v3, 8, v1
	v_lshlrev_b32_e32 v1, 25, v1
	v_lshrrev_b32_e32 v5, 4, v1
	v_and_or_b32 v7, v3, s2, 0.5
	v_or_b32_e32 v5, 0x70000000, v5
	v_add_f32_e32 v7, -0.5, v7
	v_mul_f32_e32 v5, 0x7800000, v5
	v_cmp_gt_u32_e32 vcc, s3, v1
	v_bfe_i32 v3, v3, 0, 16
	v_cndmask_b32_e32 v1, v5, v7, vcc
	s_brev_b32 s2, 1
	v_and_or_b32 v1, v3, s2, v1
.LBB87_1211:
	s_mov_b64 s[6:7], -1
	s_mov_b64 s[4:5], 0
	s_cbranch_execnz .LBB87_1222
.LBB87_1212:
	v_mov_b32_e32 v1, 14
	v_cmp_gt_i16_sdwa s[2:3], s16, v1 src0_sel:BYTE_0 src1_sel:DWORD
	s_and_b64 vcc, exec, s[2:3]
	s_cbranch_vccz .LBB87_1215
; %bb.1213:
	v_mov_b32_e32 v1, 15
	v_cmp_eq_u16_sdwa s[0:1], s16, v1 src0_sel:BYTE_0 src1_sel:DWORD
	s_and_b64 vcc, exec, s[0:1]
	s_cbranch_vccz .LBB87_1218
; %bb.1214:
	global_load_ushort v1, v[14:15], off
	s_mov_b64 s[0:1], 0
	s_mov_b64 s[6:7], -1
	s_waitcnt vmcnt(0)
	v_lshlrev_b32_e32 v1, 16, v1
	s_branch .LBB87_1219
.LBB87_1215:
	s_mov_b64 s[2:3], -1
                                        ; implicit-def: $vgpr1
	s_branch .LBB87_1220
.LBB87_1216:
	s_or_saveexec_b64 s[4:5], s[4:5]
	v_mov_b32_e32 v1, s12
	s_xor_b64 exec, exec, s[4:5]
	s_cbranch_execz .LBB87_1198
.LBB87_1217:
	v_cmp_ne_u16_e32 vcc, 0, v3
	s_andn2_b64 s[2:3], s[2:3], exec
	s_and_b64 s[6:7], vcc, exec
	v_mov_b32_e32 v1, 0
	s_or_b64 s[2:3], s[2:3], s[6:7]
	s_or_b64 exec, exec, s[4:5]
	s_and_saveexec_b64 s[4:5], s[2:3]
	s_cbranch_execnz .LBB87_1199
	s_branch .LBB87_1200
.LBB87_1218:
	s_mov_b64 s[0:1], -1
                                        ; implicit-def: $vgpr1
.LBB87_1219:
	s_mov_b64 s[2:3], 0
.LBB87_1220:
	s_and_b64 vcc, exec, s[2:3]
	s_cbranch_vccz .LBB87_1222
; %bb.1221:
	v_mov_b32_e32 v1, 11
	v_cmp_ne_u16_sdwa s[0:1], s16, v1 src0_sel:BYTE_0 src1_sel:DWORD
	s_mov_b64 s[4:5], -1
                                        ; implicit-def: $vgpr1
.LBB87_1222:
	s_and_b64 vcc, exec, s[0:1]
	s_mov_b64 s[2:3], s[28:29]
	s_cbranch_vccnz .LBB87_1283
; %bb.1223:
	s_andn2_b64 vcc, exec, s[4:5]
	s_cbranch_vccnz .LBB87_1225
.LBB87_1224:
	global_load_ubyte v1, v[14:15], off
	s_mov_b64 s[6:7], -1
	s_waitcnt vmcnt(0)
	v_cmp_ne_u16_e32 vcc, 0, v1
	v_cndmask_b32_e64 v1, 0, 1.0, vcc
.LBB87_1225:
	s_branch .LBB87_1155
.LBB87_1226:
	v_mov_b32_e32 v1, 5
	v_cmp_lt_i16_sdwa s[0:1], s16, v1 src0_sel:BYTE_0 src1_sel:DWORD
	s_and_b64 vcc, exec, s[0:1]
	s_cbranch_vccnz .LBB87_1231
; %bb.1227:
	v_mov_b32_e32 v1, 8
	v_cmp_lt_i16_sdwa s[0:1], s16, v1 src0_sel:BYTE_0 src1_sel:DWORD
	s_and_b64 vcc, exec, s[0:1]
	s_cbranch_vccnz .LBB87_1232
; %bb.1228:
	;; [unrolled: 5-line block ×3, first 2 shown]
	v_cmp_gt_i16_sdwa s[0:1], s16, v1 src0_sel:BYTE_0 src1_sel:DWORD
	s_and_b64 vcc, exec, s[0:1]
	s_cbranch_vccz .LBB87_1234
; %bb.1230:
	global_load_dwordx2 v[16:17], v[14:15], off
	s_mov_b64 s[0:1], 0
	s_waitcnt vmcnt(0)
	v_cvt_f32_f64_e32 v1, v[16:17]
	s_branch .LBB87_1235
.LBB87_1231:
                                        ; implicit-def: $vgpr1
	s_branch .LBB87_1252
.LBB87_1232:
                                        ; implicit-def: $vgpr1
	s_branch .LBB87_1241
.LBB87_1233:
	s_mov_b64 s[0:1], -1
                                        ; implicit-def: $vgpr1
	s_branch .LBB87_1238
.LBB87_1234:
	s_mov_b64 s[0:1], -1
                                        ; implicit-def: $vgpr1
.LBB87_1235:
	s_andn2_b64 vcc, exec, s[0:1]
	s_cbranch_vccnz .LBB87_1237
; %bb.1236:
	global_load_dword v1, v[14:15], off
.LBB87_1237:
	s_mov_b64 s[0:1], 0
.LBB87_1238:
	s_andn2_b64 vcc, exec, s[0:1]
	s_cbranch_vccnz .LBB87_1240
; %bb.1239:
	global_load_dword v1, v[14:15], off
	s_waitcnt vmcnt(0)
	v_cvt_f32_f16_e32 v1, v1
.LBB87_1240:
	s_cbranch_execnz .LBB87_1251
.LBB87_1241:
	s_waitcnt vmcnt(0)
	v_mov_b32_e32 v1, 6
	v_cmp_lt_i16_sdwa s[0:1], s16, v1 src0_sel:BYTE_0 src1_sel:DWORD
	s_and_b64 vcc, exec, s[0:1]
	s_cbranch_vccnz .LBB87_1244
; %bb.1242:
	v_cmp_gt_i16_sdwa s[0:1], s16, v1 src0_sel:BYTE_0 src1_sel:DWORD
	s_and_b64 vcc, exec, s[0:1]
	s_cbranch_vccz .LBB87_1245
; %bb.1243:
	global_load_dwordx2 v[16:17], v[14:15], off
	s_mov_b64 s[0:1], 0
	s_waitcnt vmcnt(0)
	v_cvt_f32_f64_e32 v1, v[16:17]
	s_branch .LBB87_1246
.LBB87_1244:
	s_mov_b64 s[0:1], -1
                                        ; implicit-def: $vgpr1
	s_branch .LBB87_1249
.LBB87_1245:
	s_mov_b64 s[0:1], -1
                                        ; implicit-def: $vgpr1
.LBB87_1246:
	s_andn2_b64 vcc, exec, s[0:1]
	s_cbranch_vccnz .LBB87_1248
; %bb.1247:
	global_load_dword v1, v[14:15], off
.LBB87_1248:
	s_mov_b64 s[0:1], 0
.LBB87_1249:
	s_andn2_b64 vcc, exec, s[0:1]
	s_cbranch_vccnz .LBB87_1251
; %bb.1250:
	global_load_ushort v1, v[14:15], off
	s_waitcnt vmcnt(0)
	v_cvt_f32_f16_e32 v1, v1
.LBB87_1251:
	s_cbranch_execnz .LBB87_1270
.LBB87_1252:
	s_waitcnt vmcnt(0)
	v_mov_b32_e32 v1, 2
	v_cmp_lt_i16_sdwa s[0:1], s16, v1 src0_sel:BYTE_0 src1_sel:DWORD
	s_and_b64 vcc, exec, s[0:1]
	s_cbranch_vccnz .LBB87_1256
; %bb.1253:
	v_mov_b32_e32 v1, 3
	v_cmp_lt_i16_sdwa s[0:1], s16, v1 src0_sel:BYTE_0 src1_sel:DWORD
	s_and_b64 vcc, exec, s[0:1]
	s_cbranch_vccnz .LBB87_1257
; %bb.1254:
	v_cmp_gt_i16_sdwa s[0:1], s16, v1 src0_sel:BYTE_0 src1_sel:DWORD
	s_and_b64 vcc, exec, s[0:1]
	s_cbranch_vccz .LBB87_1258
; %bb.1255:
	global_load_dwordx2 v[16:17], v[14:15], off
	s_mov_b64 s[0:1], 0
	s_waitcnt vmcnt(0)
	v_xor_b32_e32 v3, v16, v17
	v_ffbh_i32_e32 v1, v17
	v_ashrrev_i32_e32 v3, 31, v3
	v_add_u32_e32 v1, -1, v1
	v_add_u32_e32 v3, 32, v3
	v_min_u32_e32 v1, v1, v3
	v_lshlrev_b64 v[16:17], v1, v[16:17]
	v_min_u32_e32 v3, 1, v16
	v_or_b32_e32 v3, v17, v3
	v_cvt_f32_i32_e32 v3, v3
	v_sub_u32_e32 v1, 32, v1
	v_ldexp_f32 v1, v3, v1
	s_branch .LBB87_1259
.LBB87_1256:
                                        ; implicit-def: $vgpr1
	s_branch .LBB87_1265
.LBB87_1257:
	s_mov_b64 s[0:1], -1
                                        ; implicit-def: $vgpr1
	s_branch .LBB87_1262
.LBB87_1258:
	s_mov_b64 s[0:1], -1
                                        ; implicit-def: $vgpr1
.LBB87_1259:
	s_andn2_b64 vcc, exec, s[0:1]
	s_cbranch_vccnz .LBB87_1261
; %bb.1260:
	global_load_dword v1, v[14:15], off
	s_waitcnt vmcnt(0)
	v_cvt_f32_i32_e32 v1, v1
.LBB87_1261:
	s_mov_b64 s[0:1], 0
.LBB87_1262:
	s_andn2_b64 vcc, exec, s[0:1]
	s_cbranch_vccnz .LBB87_1264
; %bb.1263:
	global_load_sshort v1, v[14:15], off
	s_waitcnt vmcnt(0)
	v_cvt_f32_i32_e32 v1, v1
.LBB87_1264:
	s_cbranch_execnz .LBB87_1270
.LBB87_1265:
	v_mov_b32_e32 v1, 0
	v_cmp_gt_i16_sdwa s[0:1], s16, v1 src0_sel:BYTE_0 src1_sel:DWORD
	s_and_b64 vcc, exec, s[0:1]
	s_cbranch_vccz .LBB87_1267
; %bb.1266:
	global_load_sbyte v1, v[14:15], off
	s_mov_b64 s[0:1], 0
	s_waitcnt vmcnt(0)
	v_cvt_f32_i32_e32 v1, v1
	s_branch .LBB87_1268
.LBB87_1267:
	s_mov_b64 s[0:1], -1
                                        ; implicit-def: $vgpr1
.LBB87_1268:
	s_andn2_b64 vcc, exec, s[0:1]
	s_cbranch_vccnz .LBB87_1270
; %bb.1269:
	global_load_ubyte v1, v[14:15], off
	s_waitcnt vmcnt(0)
	v_cvt_f32_ubyte0_e32 v1, v1
.LBB87_1270:
.LBB87_1271:
	v_mov_b32_e32 v3, s11
	v_add_co_u32_e32 v12, vcc, s10, v12
	v_addc_co_u32_e32 v13, vcc, 0, v3, vcc
	v_mov_b32_e32 v3, 11
	v_cmp_lt_i16_sdwa s[0:1], s16, v3 src0_sel:BYTE_0 src1_sel:DWORD
	s_and_b64 vcc, exec, s[0:1]
	s_cbranch_vccnz .LBB87_1278
; %bb.1272:
	v_mov_b32_e32 v3, 25
	v_cmp_gt_i16_sdwa s[0:1], s16, v3 src0_sel:BYTE_0 src1_sel:DWORD
	s_mov_b64 s[4:5], 0
	s_and_b64 vcc, exec, s[0:1]
	s_cbranch_vccz .LBB87_1280
; %bb.1273:
	v_mov_b32_e32 v3, 28
	v_cmp_gt_i16_sdwa s[0:1], s16, v3 src0_sel:BYTE_0 src1_sel:DWORD
	s_and_b64 vcc, exec, s[0:1]
	s_cbranch_vccz .LBB87_1281
; %bb.1274:
	v_mov_b32_e32 v3, 43
	v_cmp_gt_i16_sdwa s[0:1], s16, v3 src0_sel:BYTE_0 src1_sel:DWORD
	;; [unrolled: 5-line block ×3, first 2 shown]
	s_and_b64 vcc, exec, s[0:1]
	s_cbranch_vccz .LBB87_1284
; %bb.1276:
	v_mov_b32_e32 v3, 46
	v_cmp_eq_u16_sdwa s[0:1], s16, v3 src0_sel:BYTE_0 src1_sel:DWORD
	s_mov_b64 s[12:13], 0
	s_and_b64 vcc, exec, s[0:1]
	s_cbranch_vccz .LBB87_1287
; %bb.1277:
	global_load_dword v3, v[12:13], off
	s_mov_b64 s[0:1], 0
	s_mov_b64 s[6:7], -1
	s_waitcnt vmcnt(0)
	v_lshlrev_b32_e32 v3, 16, v3
	s_branch .LBB87_1288
.LBB87_1278:
	s_mov_b64 s[6:7], 0
                                        ; implicit-def: $vgpr3
	s_cbranch_execnz .LBB87_1353
.LBB87_1279:
	s_andn2_b64 vcc, exec, s[6:7]
	s_cbranch_vccnz .LBB87_2044
	s_branch .LBB87_1400
.LBB87_1280:
	s_mov_b64 s[6:7], 0
	s_mov_b64 s[0:1], 0
                                        ; implicit-def: $vgpr3
	s_cbranch_execnz .LBB87_1317
	s_branch .LBB87_1349
.LBB87_1281:
	s_mov_b64 s[12:13], -1
	s_mov_b64 s[6:7], 0
	s_mov_b64 s[0:1], 0
                                        ; implicit-def: $vgpr3
	s_branch .LBB87_1298
.LBB87_1282:
	s_mov_b64 s[12:13], -1
	s_mov_b64 s[6:7], 0
	s_mov_b64 s[0:1], 0
                                        ; implicit-def: $vgpr3
	s_branch .LBB87_1293
.LBB87_1283:
	s_or_b64 s[2:3], s[28:29], exec
	s_trap 2
                                        ; implicit-def: $vgpr1
	s_cbranch_execz .LBB87_1224
	s_branch .LBB87_1225
.LBB87_1284:
	s_mov_b64 s[12:13], -1
	s_mov_b64 s[6:7], 0
	s_mov_b64 s[0:1], 0
                                        ; implicit-def: $vgpr3
	s_branch .LBB87_1288
.LBB87_1285:
	s_or_saveexec_b64 s[16:17], s[16:17]
                                        ; implicit-def: $sgpr18
	s_xor_b64 exec, exec, s[16:17]
	s_cbranch_execz .LBB87_1015
.LBB87_1286:
	s_mov_b32 s18, 0x42800000
	v_add_f32_e64 v0, |v1|, s18
	v_and_b32_e32 v0, 0xff, v0
	v_cmp_ne_u32_e32 vcc, 0, v0
	s_andn2_b64 s[14:15], s[14:15], exec
	s_and_b64 s[20:21], vcc, exec
	s_mov_b32 s18, 0
	s_or_b64 s[14:15], s[14:15], s[20:21]
	s_or_b64 exec, exec, s[16:17]
	v_mov_b32_e32 v5, s18
	s_and_saveexec_b64 s[16:17], s[14:15]
	s_cbranch_execnz .LBB87_1016
	s_branch .LBB87_1017
.LBB87_1287:
	s_mov_b64 s[0:1], -1
                                        ; implicit-def: $vgpr3
	s_mov_b64 s[6:7], 0
.LBB87_1288:
	s_and_b64 vcc, exec, s[12:13]
	s_cbranch_vccz .LBB87_1292
; %bb.1289:
	v_mov_b32_e32 v3, 44
	v_cmp_eq_u16_sdwa s[0:1], s16, v3 src0_sel:BYTE_0 src1_sel:DWORD
	s_and_b64 vcc, exec, s[0:1]
	s_cbranch_vccz .LBB87_1291
; %bb.1290:
	global_load_ubyte v3, v[12:13], off
	s_movk_i32 s6, 0xff
	v_mov_b32_e32 v5, 0x7f800001
	v_mov_b32_e32 v7, 0x400000
	s_mov_b64 s[0:1], 0
	s_waitcnt vmcnt(0)
	v_lshlrev_b32_e32 v9, 23, v3
	v_cmp_ne_u32_e32 vcc, s6, v3
	v_cndmask_b32_e32 v5, v5, v9, vcc
	v_cmp_ne_u32_e32 vcc, 0, v3
	v_cndmask_b32_e32 v3, v7, v5, vcc
	s_mov_b64 s[6:7], -1
	s_branch .LBB87_1292
.LBB87_1291:
	s_mov_b64 s[0:1], -1
                                        ; implicit-def: $vgpr3
.LBB87_1292:
	s_mov_b64 s[12:13], 0
.LBB87_1293:
	s_and_b64 vcc, exec, s[12:13]
	s_cbranch_vccz .LBB87_1297
; %bb.1294:
	v_mov_b32_e32 v3, 29
	v_cmp_eq_u16_sdwa s[0:1], s16, v3 src0_sel:BYTE_0 src1_sel:DWORD
	s_and_b64 vcc, exec, s[0:1]
	s_cbranch_vccz .LBB87_1296
; %bb.1295:
	global_load_dwordx2 v[14:15], v[12:13], off
	s_mov_b64 s[0:1], 0
	s_mov_b64 s[6:7], -1
	s_mov_b64 s[12:13], 0
	s_waitcnt vmcnt(0)
	v_ffbh_u32_e32 v3, v15
	v_min_u32_e32 v3, 32, v3
	v_lshlrev_b64 v[14:15], v3, v[14:15]
	v_min_u32_e32 v5, 1, v14
	v_or_b32_e32 v5, v15, v5
	v_cvt_f32_u32_e32 v5, v5
	v_sub_u32_e32 v3, 32, v3
	v_ldexp_f32 v3, v5, v3
	s_branch .LBB87_1298
.LBB87_1296:
	s_mov_b64 s[0:1], -1
                                        ; implicit-def: $vgpr3
.LBB87_1297:
	s_mov_b64 s[12:13], 0
.LBB87_1298:
	s_and_b64 vcc, exec, s[12:13]
	s_cbranch_vccz .LBB87_1316
; %bb.1299:
	v_mov_b32_e32 v3, 27
	v_cmp_lt_i16_sdwa s[6:7], s16, v3 src0_sel:BYTE_0 src1_sel:DWORD
	s_and_b64 vcc, exec, s[6:7]
	s_cbranch_vccnz .LBB87_1302
; %bb.1300:
	v_cmp_gt_i16_sdwa s[6:7], s16, v3 src0_sel:BYTE_0 src1_sel:DWORD
	s_and_b64 vcc, exec, s[6:7]
	s_cbranch_vccz .LBB87_1303
; %bb.1301:
	global_load_dword v3, v[12:13], off
	s_mov_b64 s[6:7], 0
	s_waitcnt vmcnt(0)
	v_cvt_f32_u32_e32 v3, v3
	s_branch .LBB87_1304
.LBB87_1302:
	s_mov_b64 s[6:7], -1
                                        ; implicit-def: $vgpr3
	s_branch .LBB87_1307
.LBB87_1303:
	s_mov_b64 s[6:7], -1
                                        ; implicit-def: $vgpr3
.LBB87_1304:
	s_andn2_b64 vcc, exec, s[6:7]
	s_cbranch_vccnz .LBB87_1306
; %bb.1305:
	global_load_ushort v3, v[12:13], off
	s_waitcnt vmcnt(0)
	v_cvt_f32_u32_e32 v3, v3
.LBB87_1306:
	s_mov_b64 s[6:7], 0
.LBB87_1307:
	s_andn2_b64 vcc, exec, s[6:7]
	s_cbranch_vccnz .LBB87_1315
; %bb.1308:
	global_load_ubyte v5, v[12:13], off
	s_movk_i32 s6, 0x7f
                                        ; implicit-def: $sgpr17
	s_waitcnt vmcnt(0)
	v_cmp_lt_i16_e32 vcc, s6, v5
	s_mov_b64 s[6:7], 0
	s_and_saveexec_b64 s[12:13], vcc
	s_xor_b64 s[12:13], exec, s[12:13]
	s_cbranch_execz .LBB87_1328
; %bb.1309:
	s_movk_i32 s6, 0x80
	v_cmp_eq_u16_e32 vcc, s6, v5
	s_mov_b64 s[6:7], -1
                                        ; implicit-def: $sgpr17
	s_and_saveexec_b64 s[14:15], vcc
; %bb.1310:
	s_mov_b32 s17, 0x7f800001
	s_xor_b64 s[6:7], exec, -1
; %bb.1311:
	s_or_b64 exec, exec, s[14:15]
	s_and_b64 s[6:7], s[6:7], exec
	s_or_saveexec_b64 s[12:13], s[12:13]
	v_mov_b32_e32 v3, s17
	s_xor_b64 exec, exec, s[12:13]
	s_cbranch_execnz .LBB87_1329
.LBB87_1312:
	s_or_b64 exec, exec, s[12:13]
	s_and_saveexec_b64 s[12:13], s[6:7]
	s_cbranch_execz .LBB87_1314
.LBB87_1313:
	v_lshlrev_b32_e32 v3, 24, v5
	v_and_b32_e32 v5, 0xffff, v5
	v_and_b32_e32 v7, 7, v5
	v_ffbh_u32_e32 v11, v7
	v_min_u32_e32 v11, 32, v11
	v_subrev_u32_e32 v14, 28, v11
	v_bfe_u32 v9, v5, 3, 4
	v_lshlrev_b32_e32 v5, v14, v5
	v_sub_u32_e32 v11, 29, v11
	v_and_b32_e32 v5, 7, v5
	v_cmp_eq_u32_e32 vcc, 0, v9
	v_cndmask_b32_e32 v9, v9, v11, vcc
	v_cndmask_b32_e32 v5, v7, v5, vcc
	v_mov_b32_e32 v7, 0x3b800000
	v_lshlrev_b32_e32 v5, 20, v5
	v_and_b32_e32 v3, 0x80000000, v3
	v_lshl_add_u32 v7, v9, 23, v7
	v_or3_b32 v3, v3, v7, v5
.LBB87_1314:
	s_or_b64 exec, exec, s[12:13]
.LBB87_1315:
	s_mov_b64 s[6:7], -1
.LBB87_1316:
	s_branch .LBB87_1349
.LBB87_1317:
	v_mov_b32_e32 v3, 22
	v_cmp_gt_i16_sdwa s[4:5], s16, v3 src0_sel:BYTE_0 src1_sel:DWORD
	s_and_b64 vcc, exec, s[4:5]
	s_cbranch_vccz .LBB87_1327
; %bb.1318:
	v_mov_b32_e32 v3, 24
	v_cmp_lt_i16_sdwa s[4:5], s16, v3 src0_sel:BYTE_0 src1_sel:DWORD
	s_and_b64 vcc, exec, s[4:5]
	s_cbranch_vccnz .LBB87_1330
; %bb.1319:
	v_cmp_gt_i16_sdwa s[4:5], s16, v3 src0_sel:BYTE_0 src1_sel:DWORD
	s_and_b64 vcc, exec, s[4:5]
	s_cbranch_vccz .LBB87_1331
; %bb.1320:
	global_load_ubyte v5, v[12:13], off
	s_movk_i32 s4, 0x7f
                                        ; implicit-def: $sgpr14
	s_waitcnt vmcnt(0)
	v_cmp_lt_i16_e32 vcc, s4, v5
	s_mov_b64 s[4:5], 0
	s_and_saveexec_b64 s[6:7], vcc
	s_xor_b64 s[6:7], exec, s[6:7]
	s_cbranch_execz .LBB87_1343
; %bb.1321:
	s_movk_i32 s4, 0x80
	v_cmp_eq_u16_e32 vcc, s4, v5
	s_mov_b64 s[4:5], -1
                                        ; implicit-def: $sgpr14
	s_and_saveexec_b64 s[12:13], vcc
; %bb.1322:
	s_mov_b32 s14, 0x7f800001
	s_xor_b64 s[4:5], exec, -1
; %bb.1323:
	s_or_b64 exec, exec, s[12:13]
	s_and_b64 s[4:5], s[4:5], exec
	s_or_saveexec_b64 s[6:7], s[6:7]
	v_mov_b32_e32 v3, s14
	s_xor_b64 exec, exec, s[6:7]
	s_cbranch_execnz .LBB87_1344
.LBB87_1324:
	s_or_b64 exec, exec, s[6:7]
	s_and_saveexec_b64 s[6:7], s[4:5]
	s_cbranch_execz .LBB87_1326
.LBB87_1325:
	v_lshlrev_b32_e32 v3, 24, v5
	v_and_b32_e32 v5, 0xffff, v5
	v_and_b32_e32 v7, 3, v5
	v_ffbh_u32_e32 v11, v7
	v_min_u32_e32 v11, 32, v11
	v_subrev_u32_e32 v14, 29, v11
	v_bfe_u32 v9, v5, 2, 5
	v_lshlrev_b32_e32 v5, v14, v5
	v_sub_u32_e32 v11, 30, v11
	v_and_b32_e32 v5, 3, v5
	v_cmp_eq_u32_e32 vcc, 0, v9
	v_cndmask_b32_e32 v9, v9, v11, vcc
	v_cndmask_b32_e32 v5, v7, v5, vcc
	v_mov_b32_e32 v7, 0x37800000
	v_lshlrev_b32_e32 v5, 21, v5
	v_and_b32_e32 v3, 0x80000000, v3
	v_lshl_add_u32 v7, v9, 23, v7
	v_or3_b32 v3, v3, v7, v5
.LBB87_1326:
	s_or_b64 exec, exec, s[6:7]
	s_mov_b64 s[4:5], 0
	s_branch .LBB87_1332
.LBB87_1327:
	s_mov_b64 s[4:5], -1
                                        ; implicit-def: $vgpr3
	s_branch .LBB87_1338
.LBB87_1328:
	s_or_saveexec_b64 s[12:13], s[12:13]
	v_mov_b32_e32 v3, s17
	s_xor_b64 exec, exec, s[12:13]
	s_cbranch_execz .LBB87_1312
.LBB87_1329:
	v_cmp_ne_u16_e32 vcc, 0, v5
	s_andn2_b64 s[6:7], s[6:7], exec
	s_and_b64 s[14:15], vcc, exec
	v_mov_b32_e32 v3, 0
	s_or_b64 s[6:7], s[6:7], s[14:15]
	s_or_b64 exec, exec, s[12:13]
	s_and_saveexec_b64 s[12:13], s[6:7]
	s_cbranch_execnz .LBB87_1313
	s_branch .LBB87_1314
.LBB87_1330:
	s_mov_b64 s[4:5], -1
                                        ; implicit-def: $vgpr3
	s_branch .LBB87_1335
.LBB87_1331:
	s_mov_b64 s[4:5], -1
                                        ; implicit-def: $vgpr3
.LBB87_1332:
	s_and_b64 vcc, exec, s[4:5]
	s_cbranch_vccz .LBB87_1334
; %bb.1333:
	global_load_ubyte v3, v[12:13], off
	s_mov_b32 s4, 0x7f800000
	s_waitcnt vmcnt(0)
	v_lshlrev_b32_e32 v3, 24, v3
	v_and_b32_e32 v5, 0x7f000000, v3
	v_ffbh_u32_e32 v7, v5
	v_min_u32_e32 v7, 32, v7
	v_sub_u32_e64 v7, v7, 4 clamp
	v_lshlrev_b32_e32 v11, v7, v5
	v_lshlrev_b32_e32 v7, 23, v7
	v_lshrrev_b32_e32 v11, 4, v11
	v_add_u32_e32 v9, 0x1000000, v5
	v_sub_u32_e32 v7, v11, v7
	v_ashrrev_i32_e32 v9, 8, v9
	v_add_u32_e32 v7, 0x3c000000, v7
	v_and_or_b32 v7, v9, s4, v7
	v_cmp_ne_u32_e32 vcc, 0, v5
	v_cndmask_b32_e32 v5, 0, v7, vcc
	s_brev_b32 s4, 1
	v_and_or_b32 v3, v3, s4, v5
.LBB87_1334:
	s_mov_b64 s[4:5], 0
.LBB87_1335:
	s_andn2_b64 vcc, exec, s[4:5]
	s_cbranch_vccnz .LBB87_1337
; %bb.1336:
	global_load_ubyte v3, v[12:13], off
	s_movk_i32 s4, 0x7f00
	s_brev_b32 s5, 16
	s_waitcnt vmcnt(0)
	v_lshlrev_b16_e32 v5, 8, v3
	v_lshlrev_b32_e32 v3, 25, v3
	v_lshrrev_b32_e32 v7, 4, v3
	v_and_or_b32 v9, v5, s4, 0.5
	v_or_b32_e32 v7, 0x70000000, v7
	v_add_f32_e32 v9, -0.5, v9
	v_mul_f32_e32 v7, 0x7800000, v7
	v_cmp_gt_u32_e32 vcc, s5, v3
	v_bfe_i32 v5, v5, 0, 16
	v_cndmask_b32_e32 v3, v7, v9, vcc
	s_brev_b32 s4, 1
	v_and_or_b32 v3, v5, s4, v3
.LBB87_1337:
	s_mov_b64 s[4:5], 0
	s_mov_b64 s[6:7], -1
.LBB87_1338:
	s_andn2_b64 vcc, exec, s[4:5]
	s_mov_b64 s[4:5], 0
	s_cbranch_vccnz .LBB87_1349
; %bb.1339:
	v_mov_b32_e32 v3, 14
	v_cmp_gt_i16_sdwa s[4:5], s16, v3 src0_sel:BYTE_0 src1_sel:DWORD
	s_and_b64 vcc, exec, s[4:5]
	s_cbranch_vccz .LBB87_1342
; %bb.1340:
	v_mov_b32_e32 v3, 15
	v_cmp_eq_u16_sdwa s[0:1], s16, v3 src0_sel:BYTE_0 src1_sel:DWORD
	s_and_b64 vcc, exec, s[0:1]
	s_cbranch_vccz .LBB87_1345
; %bb.1341:
	global_load_ushort v3, v[12:13], off
	s_mov_b64 s[0:1], 0
	s_mov_b64 s[6:7], -1
	s_waitcnt vmcnt(0)
	v_lshlrev_b32_e32 v3, 16, v3
	s_branch .LBB87_1346
.LBB87_1342:
	s_mov_b64 s[12:13], -1
                                        ; implicit-def: $vgpr3
	s_branch .LBB87_1347
.LBB87_1343:
	s_or_saveexec_b64 s[6:7], s[6:7]
	v_mov_b32_e32 v3, s14
	s_xor_b64 exec, exec, s[6:7]
	s_cbranch_execz .LBB87_1324
.LBB87_1344:
	v_cmp_ne_u16_e32 vcc, 0, v5
	s_andn2_b64 s[4:5], s[4:5], exec
	s_and_b64 s[12:13], vcc, exec
	v_mov_b32_e32 v3, 0
	s_or_b64 s[4:5], s[4:5], s[12:13]
	s_or_b64 exec, exec, s[6:7]
	s_and_saveexec_b64 s[6:7], s[4:5]
	s_cbranch_execnz .LBB87_1325
	s_branch .LBB87_1326
.LBB87_1345:
	s_mov_b64 s[0:1], -1
                                        ; implicit-def: $vgpr3
.LBB87_1346:
	s_mov_b64 s[12:13], 0
.LBB87_1347:
	s_mov_b64 s[4:5], 0
	s_and_b64 vcc, exec, s[12:13]
	s_cbranch_vccz .LBB87_1349
; %bb.1348:
	v_mov_b32_e32 v3, 11
	v_cmp_ne_u16_sdwa s[0:1], s16, v3 src0_sel:BYTE_0 src1_sel:DWORD
	s_mov_b64 s[4:5], -1
                                        ; implicit-def: $vgpr3
.LBB87_1349:
	s_and_b64 vcc, exec, s[0:1]
	s_cbranch_vccnz .LBB87_1412
; %bb.1350:
	s_andn2_b64 vcc, exec, s[4:5]
	s_cbranch_vccnz .LBB87_1352
.LBB87_1351:
	global_load_ubyte v3, v[12:13], off
	s_mov_b64 s[6:7], -1
	s_waitcnt vmcnt(0)
	v_cmp_ne_u16_e32 vcc, 0, v3
	v_cndmask_b32_e64 v3, 0, 1.0, vcc
.LBB87_1352:
	s_branch .LBB87_1279
.LBB87_1353:
	v_mov_b32_e32 v3, 5
	v_cmp_lt_i16_sdwa s[0:1], s16, v3 src0_sel:BYTE_0 src1_sel:DWORD
	s_and_b64 vcc, exec, s[0:1]
	s_cbranch_vccnz .LBB87_1358
; %bb.1354:
	v_mov_b32_e32 v3, 8
	v_cmp_lt_i16_sdwa s[0:1], s16, v3 src0_sel:BYTE_0 src1_sel:DWORD
	s_and_b64 vcc, exec, s[0:1]
	s_cbranch_vccnz .LBB87_1359
; %bb.1355:
	;; [unrolled: 5-line block ×3, first 2 shown]
	v_cmp_gt_i16_sdwa s[0:1], s16, v3 src0_sel:BYTE_0 src1_sel:DWORD
	s_and_b64 vcc, exec, s[0:1]
	s_cbranch_vccz .LBB87_1361
; %bb.1357:
	global_load_dwordx2 v[14:15], v[12:13], off
	s_mov_b64 s[0:1], 0
	s_waitcnt vmcnt(0)
	v_cvt_f32_f64_e32 v3, v[14:15]
	s_branch .LBB87_1362
.LBB87_1358:
                                        ; implicit-def: $vgpr3
	s_branch .LBB87_1380
.LBB87_1359:
	s_mov_b64 s[0:1], -1
                                        ; implicit-def: $vgpr3
	s_branch .LBB87_1368
.LBB87_1360:
	s_mov_b64 s[0:1], -1
                                        ; implicit-def: $vgpr3
	s_branch .LBB87_1365
.LBB87_1361:
	s_mov_b64 s[0:1], -1
                                        ; implicit-def: $vgpr3
.LBB87_1362:
	s_andn2_b64 vcc, exec, s[0:1]
	s_cbranch_vccnz .LBB87_1364
; %bb.1363:
	global_load_dword v3, v[12:13], off
.LBB87_1364:
	s_mov_b64 s[0:1], 0
.LBB87_1365:
	s_andn2_b64 vcc, exec, s[0:1]
	s_cbranch_vccnz .LBB87_1367
; %bb.1366:
	global_load_dword v3, v[12:13], off
	s_waitcnt vmcnt(0)
	v_cvt_f32_f16_e32 v3, v3
.LBB87_1367:
	s_mov_b64 s[0:1], 0
.LBB87_1368:
	s_andn2_b64 vcc, exec, s[0:1]
	s_cbranch_vccnz .LBB87_1379
; %bb.1369:
	s_waitcnt vmcnt(0)
	v_mov_b32_e32 v3, 6
	v_cmp_lt_i16_sdwa s[0:1], s16, v3 src0_sel:BYTE_0 src1_sel:DWORD
	s_and_b64 vcc, exec, s[0:1]
	s_cbranch_vccnz .LBB87_1372
; %bb.1370:
	v_cmp_gt_i16_sdwa s[0:1], s16, v3 src0_sel:BYTE_0 src1_sel:DWORD
	s_and_b64 vcc, exec, s[0:1]
	s_cbranch_vccz .LBB87_1373
; %bb.1371:
	global_load_dwordx2 v[14:15], v[12:13], off
	s_mov_b64 s[0:1], 0
	s_waitcnt vmcnt(0)
	v_cvt_f32_f64_e32 v3, v[14:15]
	s_branch .LBB87_1374
.LBB87_1372:
	s_mov_b64 s[0:1], -1
                                        ; implicit-def: $vgpr3
	s_branch .LBB87_1377
.LBB87_1373:
	s_mov_b64 s[0:1], -1
                                        ; implicit-def: $vgpr3
.LBB87_1374:
	s_andn2_b64 vcc, exec, s[0:1]
	s_cbranch_vccnz .LBB87_1376
; %bb.1375:
	global_load_dword v3, v[12:13], off
.LBB87_1376:
	s_mov_b64 s[0:1], 0
.LBB87_1377:
	s_andn2_b64 vcc, exec, s[0:1]
	s_cbranch_vccnz .LBB87_1379
; %bb.1378:
	global_load_ushort v3, v[12:13], off
	s_waitcnt vmcnt(0)
	v_cvt_f32_f16_e32 v3, v3
.LBB87_1379:
	s_cbranch_execnz .LBB87_1399
.LBB87_1380:
	s_waitcnt vmcnt(0)
	v_mov_b32_e32 v3, 2
	v_cmp_lt_i16_sdwa s[0:1], s16, v3 src0_sel:BYTE_0 src1_sel:DWORD
	s_and_b64 vcc, exec, s[0:1]
	s_cbranch_vccnz .LBB87_1384
; %bb.1381:
	v_mov_b32_e32 v3, 3
	v_cmp_lt_i16_sdwa s[0:1], s16, v3 src0_sel:BYTE_0 src1_sel:DWORD
	s_and_b64 vcc, exec, s[0:1]
	s_cbranch_vccnz .LBB87_1385
; %bb.1382:
	v_cmp_gt_i16_sdwa s[0:1], s16, v3 src0_sel:BYTE_0 src1_sel:DWORD
	s_and_b64 vcc, exec, s[0:1]
	s_cbranch_vccz .LBB87_1386
; %bb.1383:
	global_load_dwordx2 v[14:15], v[12:13], off
	s_mov_b64 s[0:1], 0
	s_waitcnt vmcnt(0)
	v_xor_b32_e32 v5, v14, v15
	v_ffbh_i32_e32 v3, v15
	v_ashrrev_i32_e32 v5, 31, v5
	v_add_u32_e32 v3, -1, v3
	v_add_u32_e32 v5, 32, v5
	v_min_u32_e32 v3, v3, v5
	v_lshlrev_b64 v[14:15], v3, v[14:15]
	v_min_u32_e32 v5, 1, v14
	v_or_b32_e32 v5, v15, v5
	v_cvt_f32_i32_e32 v5, v5
	v_sub_u32_e32 v3, 32, v3
	v_ldexp_f32 v3, v5, v3
	s_branch .LBB87_1387
.LBB87_1384:
	s_mov_b64 s[0:1], -1
                                        ; implicit-def: $vgpr3
	s_branch .LBB87_1393
.LBB87_1385:
	s_mov_b64 s[0:1], -1
                                        ; implicit-def: $vgpr3
	s_branch .LBB87_1390
.LBB87_1386:
	s_mov_b64 s[0:1], -1
                                        ; implicit-def: $vgpr3
.LBB87_1387:
	s_andn2_b64 vcc, exec, s[0:1]
	s_cbranch_vccnz .LBB87_1389
; %bb.1388:
	global_load_dword v3, v[12:13], off
	s_waitcnt vmcnt(0)
	v_cvt_f32_i32_e32 v3, v3
.LBB87_1389:
	s_mov_b64 s[0:1], 0
.LBB87_1390:
	s_andn2_b64 vcc, exec, s[0:1]
	s_cbranch_vccnz .LBB87_1392
; %bb.1391:
	global_load_sshort v3, v[12:13], off
	s_waitcnt vmcnt(0)
	v_cvt_f32_i32_e32 v3, v3
.LBB87_1392:
	s_mov_b64 s[0:1], 0
.LBB87_1393:
	s_andn2_b64 vcc, exec, s[0:1]
	s_cbranch_vccnz .LBB87_1399
; %bb.1394:
	v_mov_b32_e32 v3, 0
	v_cmp_gt_i16_sdwa s[0:1], s16, v3 src0_sel:BYTE_0 src1_sel:DWORD
	s_and_b64 vcc, exec, s[0:1]
	s_cbranch_vccz .LBB87_1396
; %bb.1395:
	global_load_sbyte v3, v[12:13], off
	s_mov_b64 s[0:1], 0
	s_waitcnt vmcnt(0)
	v_cvt_f32_i32_e32 v3, v3
	s_branch .LBB87_1397
.LBB87_1396:
	s_mov_b64 s[0:1], -1
                                        ; implicit-def: $vgpr3
.LBB87_1397:
	s_andn2_b64 vcc, exec, s[0:1]
	s_cbranch_vccnz .LBB87_1399
; %bb.1398:
	global_load_ubyte v3, v[12:13], off
	s_waitcnt vmcnt(0)
	v_cvt_f32_ubyte0_e32 v3, v3
.LBB87_1399:
.LBB87_1400:
	v_mov_b32_e32 v5, s11
	v_add_co_u32_e32 v10, vcc, s10, v10
	v_addc_co_u32_e32 v11, vcc, 0, v5, vcc
	v_mov_b32_e32 v5, 11
	v_cmp_lt_i16_sdwa s[0:1], s16, v5 src0_sel:BYTE_0 src1_sel:DWORD
	s_and_b64 vcc, exec, s[0:1]
	s_cbranch_vccnz .LBB87_1407
; %bb.1401:
	v_mov_b32_e32 v5, 25
	v_cmp_gt_i16_sdwa s[0:1], s16, v5 src0_sel:BYTE_0 src1_sel:DWORD
	s_mov_b64 s[4:5], 0
	s_and_b64 vcc, exec, s[0:1]
	s_cbranch_vccz .LBB87_1409
; %bb.1402:
	v_mov_b32_e32 v5, 28
	v_cmp_gt_i16_sdwa s[0:1], s16, v5 src0_sel:BYTE_0 src1_sel:DWORD
	s_and_b64 vcc, exec, s[0:1]
	s_cbranch_vccz .LBB87_1410
; %bb.1403:
	v_mov_b32_e32 v5, 43
	v_cmp_gt_i16_sdwa s[0:1], s16, v5 src0_sel:BYTE_0 src1_sel:DWORD
	;; [unrolled: 5-line block ×3, first 2 shown]
	s_and_b64 vcc, exec, s[0:1]
	s_cbranch_vccz .LBB87_1413
; %bb.1405:
	v_mov_b32_e32 v5, 46
	v_cmp_eq_u16_sdwa s[0:1], s16, v5 src0_sel:BYTE_0 src1_sel:DWORD
	s_mov_b64 s[12:13], 0
	s_and_b64 vcc, exec, s[0:1]
	s_cbranch_vccz .LBB87_1414
; %bb.1406:
	global_load_dword v5, v[10:11], off
	s_mov_b64 s[0:1], 0
	s_mov_b64 s[6:7], -1
	s_waitcnt vmcnt(0)
	v_lshlrev_b32_e32 v12, 16, v5
	s_branch .LBB87_1415
.LBB87_1407:
	s_mov_b64 s[6:7], 0
                                        ; implicit-def: $vgpr12
	s_cbranch_execnz .LBB87_1481
.LBB87_1408:
	s_andn2_b64 vcc, exec, s[6:7]
	s_cbranch_vccnz .LBB87_2044
	s_branch .LBB87_1529
.LBB87_1409:
	s_mov_b64 s[12:13], -1
	s_mov_b64 s[6:7], 0
	s_mov_b64 s[0:1], 0
                                        ; implicit-def: $vgpr12
	s_branch .LBB87_1444
.LBB87_1410:
	s_mov_b64 s[12:13], -1
	s_mov_b64 s[6:7], 0
	s_mov_b64 s[0:1], 0
                                        ; implicit-def: $vgpr12
	s_branch .LBB87_1425
.LBB87_1411:
	s_mov_b64 s[12:13], -1
	s_mov_b64 s[6:7], 0
	s_mov_b64 s[0:1], 0
                                        ; implicit-def: $vgpr12
	s_branch .LBB87_1420
.LBB87_1412:
	s_trap 2
	s_or_b64 s[2:3], s[2:3], exec
                                        ; implicit-def: $vgpr3
	s_cbranch_execz .LBB87_1351
	s_branch .LBB87_1352
.LBB87_1413:
	s_mov_b64 s[12:13], -1
	s_mov_b64 s[6:7], 0
	s_mov_b64 s[0:1], 0
                                        ; implicit-def: $vgpr12
	s_branch .LBB87_1415
.LBB87_1414:
	s_mov_b64 s[0:1], -1
                                        ; implicit-def: $vgpr12
	s_mov_b64 s[6:7], 0
.LBB87_1415:
	s_and_b64 vcc, exec, s[12:13]
	s_cbranch_vccz .LBB87_1419
; %bb.1416:
	v_mov_b32_e32 v5, 44
	v_cmp_eq_u16_sdwa s[0:1], s16, v5 src0_sel:BYTE_0 src1_sel:DWORD
	s_and_b64 vcc, exec, s[0:1]
	s_cbranch_vccz .LBB87_1418
; %bb.1417:
	global_load_ubyte v5, v[10:11], off
	s_movk_i32 s6, 0xff
	v_mov_b32_e32 v7, 0x7f800001
	v_mov_b32_e32 v9, 0x400000
	s_mov_b64 s[0:1], 0
	s_waitcnt vmcnt(0)
	v_lshlrev_b32_e32 v12, 23, v5
	v_cmp_ne_u32_e32 vcc, s6, v5
	v_cndmask_b32_e32 v7, v7, v12, vcc
	v_cmp_ne_u32_e32 vcc, 0, v5
	v_cndmask_b32_e32 v12, v9, v7, vcc
	s_mov_b64 s[6:7], -1
	s_branch .LBB87_1419
.LBB87_1418:
	s_mov_b64 s[0:1], -1
                                        ; implicit-def: $vgpr12
.LBB87_1419:
	s_mov_b64 s[12:13], 0
.LBB87_1420:
	s_and_b64 vcc, exec, s[12:13]
	s_cbranch_vccz .LBB87_1424
; %bb.1421:
	v_mov_b32_e32 v5, 29
	v_cmp_eq_u16_sdwa s[0:1], s16, v5 src0_sel:BYTE_0 src1_sel:DWORD
	s_and_b64 vcc, exec, s[0:1]
	s_cbranch_vccz .LBB87_1423
; %bb.1422:
	global_load_dwordx2 v[12:13], v[10:11], off
	s_mov_b64 s[0:1], 0
	s_mov_b64 s[6:7], -1
	s_mov_b64 s[12:13], 0
	s_waitcnt vmcnt(0)
	v_ffbh_u32_e32 v5, v13
	v_min_u32_e32 v5, 32, v5
	v_lshlrev_b64 v[12:13], v5, v[12:13]
	v_min_u32_e32 v7, 1, v12
	v_or_b32_e32 v7, v13, v7
	v_cvt_f32_u32_e32 v7, v7
	v_sub_u32_e32 v5, 32, v5
	v_ldexp_f32 v12, v7, v5
	s_branch .LBB87_1425
.LBB87_1423:
	s_mov_b64 s[0:1], -1
                                        ; implicit-def: $vgpr12
.LBB87_1424:
	s_mov_b64 s[12:13], 0
.LBB87_1425:
	s_and_b64 vcc, exec, s[12:13]
	s_cbranch_vccz .LBB87_1443
; %bb.1426:
	v_mov_b32_e32 v5, 27
	v_cmp_lt_i16_sdwa s[6:7], s16, v5 src0_sel:BYTE_0 src1_sel:DWORD
	s_and_b64 vcc, exec, s[6:7]
	s_cbranch_vccnz .LBB87_1429
; %bb.1427:
	v_cmp_gt_i16_sdwa s[6:7], s16, v5 src0_sel:BYTE_0 src1_sel:DWORD
	s_and_b64 vcc, exec, s[6:7]
	s_cbranch_vccz .LBB87_1430
; %bb.1428:
	global_load_dword v5, v[10:11], off
	s_mov_b64 s[6:7], 0
	s_waitcnt vmcnt(0)
	v_cvt_f32_u32_e32 v12, v5
	s_branch .LBB87_1431
.LBB87_1429:
	s_mov_b64 s[6:7], -1
                                        ; implicit-def: $vgpr12
	s_branch .LBB87_1434
.LBB87_1430:
	s_mov_b64 s[6:7], -1
                                        ; implicit-def: $vgpr12
.LBB87_1431:
	s_andn2_b64 vcc, exec, s[6:7]
	s_cbranch_vccnz .LBB87_1433
; %bb.1432:
	global_load_ushort v5, v[10:11], off
	s_waitcnt vmcnt(0)
	v_cvt_f32_u32_e32 v12, v5
.LBB87_1433:
	s_mov_b64 s[6:7], 0
.LBB87_1434:
	s_andn2_b64 vcc, exec, s[6:7]
	s_cbranch_vccnz .LBB87_1442
; %bb.1435:
	global_load_ubyte v5, v[10:11], off
	s_movk_i32 s6, 0x7f
                                        ; implicit-def: $sgpr17
	s_waitcnt vmcnt(0)
	v_cmp_lt_i16_e32 vcc, s6, v5
	s_mov_b64 s[6:7], 0
	s_and_saveexec_b64 s[12:13], vcc
	s_xor_b64 s[12:13], exec, s[12:13]
	s_cbranch_execz .LBB87_1456
; %bb.1436:
	s_movk_i32 s6, 0x80
	v_cmp_eq_u16_e32 vcc, s6, v5
	s_mov_b64 s[6:7], -1
                                        ; implicit-def: $sgpr17
	s_and_saveexec_b64 s[14:15], vcc
; %bb.1437:
	s_mov_b32 s17, 0x7f800001
	s_xor_b64 s[6:7], exec, -1
; %bb.1438:
	s_or_b64 exec, exec, s[14:15]
	s_and_b64 s[6:7], s[6:7], exec
	s_or_saveexec_b64 s[12:13], s[12:13]
	v_mov_b32_e32 v12, s17
	s_xor_b64 exec, exec, s[12:13]
	s_cbranch_execnz .LBB87_1457
.LBB87_1439:
	s_or_b64 exec, exec, s[12:13]
	s_and_saveexec_b64 s[12:13], s[6:7]
	s_cbranch_execz .LBB87_1441
.LBB87_1440:
	v_lshlrev_b32_e32 v7, 24, v5
	v_and_b32_e32 v5, 0xffff, v5
	v_and_b32_e32 v9, 7, v5
	v_ffbh_u32_e32 v13, v9
	v_min_u32_e32 v13, 32, v13
	v_subrev_u32_e32 v14, 28, v13
	v_bfe_u32 v12, v5, 3, 4
	v_lshlrev_b32_e32 v5, v14, v5
	v_sub_u32_e32 v13, 29, v13
	v_and_b32_e32 v5, 7, v5
	v_cmp_eq_u32_e32 vcc, 0, v12
	v_cndmask_b32_e32 v12, v12, v13, vcc
	v_cndmask_b32_e32 v5, v9, v5, vcc
	v_mov_b32_e32 v9, 0x3b800000
	v_lshlrev_b32_e32 v5, 20, v5
	v_and_b32_e32 v7, 0x80000000, v7
	v_lshl_add_u32 v9, v12, 23, v9
	v_or3_b32 v12, v7, v9, v5
.LBB87_1441:
	s_or_b64 exec, exec, s[12:13]
.LBB87_1442:
	s_mov_b64 s[6:7], -1
.LBB87_1443:
	s_mov_b64 s[12:13], 0
.LBB87_1444:
	s_and_b64 vcc, exec, s[12:13]
	s_cbranch_vccz .LBB87_1477
; %bb.1445:
	v_mov_b32_e32 v5, 22
	v_cmp_gt_i16_sdwa s[4:5], s16, v5 src0_sel:BYTE_0 src1_sel:DWORD
	s_and_b64 vcc, exec, s[4:5]
	s_cbranch_vccz .LBB87_1455
; %bb.1446:
	v_mov_b32_e32 v5, 24
	v_cmp_lt_i16_sdwa s[4:5], s16, v5 src0_sel:BYTE_0 src1_sel:DWORD
	s_and_b64 vcc, exec, s[4:5]
	s_cbranch_vccnz .LBB87_1458
; %bb.1447:
	v_cmp_gt_i16_sdwa s[4:5], s16, v5 src0_sel:BYTE_0 src1_sel:DWORD
	s_and_b64 vcc, exec, s[4:5]
	s_cbranch_vccz .LBB87_1459
; %bb.1448:
	global_load_ubyte v5, v[10:11], off
	s_movk_i32 s4, 0x7f
                                        ; implicit-def: $sgpr14
	s_waitcnt vmcnt(0)
	v_cmp_lt_i16_e32 vcc, s4, v5
	s_mov_b64 s[4:5], 0
	s_and_saveexec_b64 s[6:7], vcc
	s_xor_b64 s[6:7], exec, s[6:7]
	s_cbranch_execz .LBB87_1471
; %bb.1449:
	s_movk_i32 s4, 0x80
	v_cmp_eq_u16_e32 vcc, s4, v5
	s_mov_b64 s[4:5], -1
                                        ; implicit-def: $sgpr14
	s_and_saveexec_b64 s[12:13], vcc
; %bb.1450:
	s_mov_b32 s14, 0x7f800001
	s_xor_b64 s[4:5], exec, -1
; %bb.1451:
	s_or_b64 exec, exec, s[12:13]
	s_and_b64 s[4:5], s[4:5], exec
	s_or_saveexec_b64 s[6:7], s[6:7]
	v_mov_b32_e32 v12, s14
	s_xor_b64 exec, exec, s[6:7]
	s_cbranch_execnz .LBB87_1472
.LBB87_1452:
	s_or_b64 exec, exec, s[6:7]
	s_and_saveexec_b64 s[6:7], s[4:5]
	s_cbranch_execz .LBB87_1454
.LBB87_1453:
	v_lshlrev_b32_e32 v7, 24, v5
	v_and_b32_e32 v5, 0xffff, v5
	v_and_b32_e32 v9, 3, v5
	v_ffbh_u32_e32 v13, v9
	v_min_u32_e32 v13, 32, v13
	v_subrev_u32_e32 v14, 29, v13
	v_bfe_u32 v12, v5, 2, 5
	v_lshlrev_b32_e32 v5, v14, v5
	v_sub_u32_e32 v13, 30, v13
	v_and_b32_e32 v5, 3, v5
	v_cmp_eq_u32_e32 vcc, 0, v12
	v_cndmask_b32_e32 v12, v12, v13, vcc
	v_cndmask_b32_e32 v5, v9, v5, vcc
	v_mov_b32_e32 v9, 0x37800000
	v_lshlrev_b32_e32 v5, 21, v5
	v_and_b32_e32 v7, 0x80000000, v7
	v_lshl_add_u32 v9, v12, 23, v9
	v_or3_b32 v12, v7, v9, v5
.LBB87_1454:
	s_or_b64 exec, exec, s[6:7]
	s_mov_b64 s[4:5], 0
	s_branch .LBB87_1460
.LBB87_1455:
	s_mov_b64 s[4:5], -1
                                        ; implicit-def: $vgpr12
	s_branch .LBB87_1466
.LBB87_1456:
	s_or_saveexec_b64 s[12:13], s[12:13]
	v_mov_b32_e32 v12, s17
	s_xor_b64 exec, exec, s[12:13]
	s_cbranch_execz .LBB87_1439
.LBB87_1457:
	v_cmp_ne_u16_e32 vcc, 0, v5
	s_andn2_b64 s[6:7], s[6:7], exec
	s_and_b64 s[14:15], vcc, exec
	v_mov_b32_e32 v12, 0
	s_or_b64 s[6:7], s[6:7], s[14:15]
	s_or_b64 exec, exec, s[12:13]
	s_and_saveexec_b64 s[12:13], s[6:7]
	s_cbranch_execnz .LBB87_1440
	s_branch .LBB87_1441
.LBB87_1458:
	s_mov_b64 s[4:5], -1
                                        ; implicit-def: $vgpr12
	s_branch .LBB87_1463
.LBB87_1459:
	s_mov_b64 s[4:5], -1
                                        ; implicit-def: $vgpr12
.LBB87_1460:
	s_and_b64 vcc, exec, s[4:5]
	s_cbranch_vccz .LBB87_1462
; %bb.1461:
	global_load_ubyte v5, v[10:11], off
	s_mov_b32 s4, 0x7f800000
	s_waitcnt vmcnt(0)
	v_lshlrev_b32_e32 v5, 24, v5
	v_and_b32_e32 v7, 0x7f000000, v5
	v_ffbh_u32_e32 v9, v7
	v_min_u32_e32 v9, 32, v9
	v_sub_u32_e64 v9, v9, 4 clamp
	v_lshlrev_b32_e32 v13, v9, v7
	v_lshlrev_b32_e32 v9, 23, v9
	v_lshrrev_b32_e32 v13, 4, v13
	v_add_u32_e32 v12, 0x1000000, v7
	v_sub_u32_e32 v9, v13, v9
	v_ashrrev_i32_e32 v12, 8, v12
	v_add_u32_e32 v9, 0x3c000000, v9
	v_and_or_b32 v9, v12, s4, v9
	v_cmp_ne_u32_e32 vcc, 0, v7
	v_cndmask_b32_e32 v7, 0, v9, vcc
	s_brev_b32 s4, 1
	v_and_or_b32 v12, v5, s4, v7
.LBB87_1462:
	s_mov_b64 s[4:5], 0
.LBB87_1463:
	s_andn2_b64 vcc, exec, s[4:5]
	s_cbranch_vccnz .LBB87_1465
; %bb.1464:
	global_load_ubyte v5, v[10:11], off
	s_movk_i32 s4, 0x7f00
	s_brev_b32 s5, 16
	s_waitcnt vmcnt(0)
	v_lshlrev_b16_e32 v7, 8, v5
	v_lshlrev_b32_e32 v5, 25, v5
	v_lshrrev_b32_e32 v9, 4, v5
	v_and_or_b32 v12, v7, s4, 0.5
	v_or_b32_e32 v9, 0x70000000, v9
	v_add_f32_e32 v12, -0.5, v12
	v_mul_f32_e32 v9, 0x7800000, v9
	v_cmp_gt_u32_e32 vcc, s5, v5
	v_bfe_i32 v7, v7, 0, 16
	v_cndmask_b32_e32 v5, v9, v12, vcc
	s_brev_b32 s4, 1
	v_and_or_b32 v12, v7, s4, v5
.LBB87_1465:
	s_mov_b64 s[4:5], 0
	s_mov_b64 s[6:7], -1
.LBB87_1466:
	s_andn2_b64 vcc, exec, s[4:5]
	s_mov_b64 s[4:5], 0
	s_cbranch_vccnz .LBB87_1477
; %bb.1467:
	v_mov_b32_e32 v5, 14
	v_cmp_gt_i16_sdwa s[4:5], s16, v5 src0_sel:BYTE_0 src1_sel:DWORD
	s_and_b64 vcc, exec, s[4:5]
	s_cbranch_vccz .LBB87_1470
; %bb.1468:
	v_mov_b32_e32 v5, 15
	v_cmp_eq_u16_sdwa s[0:1], s16, v5 src0_sel:BYTE_0 src1_sel:DWORD
	s_and_b64 vcc, exec, s[0:1]
	s_cbranch_vccz .LBB87_1473
; %bb.1469:
	global_load_ushort v5, v[10:11], off
	s_mov_b64 s[0:1], 0
	s_mov_b64 s[6:7], -1
	s_waitcnt vmcnt(0)
	v_lshlrev_b32_e32 v12, 16, v5
	s_branch .LBB87_1474
.LBB87_1470:
	s_mov_b64 s[12:13], -1
                                        ; implicit-def: $vgpr12
	s_branch .LBB87_1475
.LBB87_1471:
	s_or_saveexec_b64 s[6:7], s[6:7]
	v_mov_b32_e32 v12, s14
	s_xor_b64 exec, exec, s[6:7]
	s_cbranch_execz .LBB87_1452
.LBB87_1472:
	v_cmp_ne_u16_e32 vcc, 0, v5
	s_andn2_b64 s[4:5], s[4:5], exec
	s_and_b64 s[12:13], vcc, exec
	v_mov_b32_e32 v12, 0
	s_or_b64 s[4:5], s[4:5], s[12:13]
	s_or_b64 exec, exec, s[6:7]
	s_and_saveexec_b64 s[6:7], s[4:5]
	s_cbranch_execnz .LBB87_1453
	s_branch .LBB87_1454
.LBB87_1473:
	s_mov_b64 s[0:1], -1
                                        ; implicit-def: $vgpr12
.LBB87_1474:
	s_mov_b64 s[12:13], 0
.LBB87_1475:
	s_mov_b64 s[4:5], 0
	s_and_b64 vcc, exec, s[12:13]
	s_cbranch_vccz .LBB87_1477
; %bb.1476:
	v_mov_b32_e32 v5, 11
	v_cmp_ne_u16_sdwa s[0:1], s16, v5 src0_sel:BYTE_0 src1_sel:DWORD
	s_mov_b64 s[4:5], -1
                                        ; implicit-def: $vgpr12
.LBB87_1477:
	s_and_b64 vcc, exec, s[0:1]
	s_cbranch_vccnz .LBB87_1540
; %bb.1478:
	s_andn2_b64 vcc, exec, s[4:5]
	s_cbranch_vccnz .LBB87_1480
.LBB87_1479:
	global_load_ubyte v5, v[10:11], off
	s_mov_b64 s[6:7], -1
	s_waitcnt vmcnt(0)
	v_cmp_ne_u16_e32 vcc, 0, v5
	v_cndmask_b32_e64 v12, 0, 1.0, vcc
.LBB87_1480:
	s_branch .LBB87_1408
.LBB87_1481:
	v_mov_b32_e32 v5, 5
	v_cmp_lt_i16_sdwa s[0:1], s16, v5 src0_sel:BYTE_0 src1_sel:DWORD
	s_and_b64 vcc, exec, s[0:1]
	s_cbranch_vccnz .LBB87_1486
; %bb.1482:
	v_mov_b32_e32 v5, 8
	v_cmp_lt_i16_sdwa s[0:1], s16, v5 src0_sel:BYTE_0 src1_sel:DWORD
	s_and_b64 vcc, exec, s[0:1]
	s_cbranch_vccnz .LBB87_1487
; %bb.1483:
	;; [unrolled: 5-line block ×3, first 2 shown]
	v_cmp_gt_i16_sdwa s[0:1], s16, v5 src0_sel:BYTE_0 src1_sel:DWORD
	s_and_b64 vcc, exec, s[0:1]
	s_cbranch_vccz .LBB87_1489
; %bb.1485:
	global_load_dwordx2 v[12:13], v[10:11], off
	s_mov_b64 s[0:1], 0
	s_waitcnt vmcnt(0)
	v_cvt_f32_f64_e32 v12, v[12:13]
	s_branch .LBB87_1490
.LBB87_1486:
	s_mov_b64 s[0:1], -1
                                        ; implicit-def: $vgpr12
	s_branch .LBB87_1508
.LBB87_1487:
	s_mov_b64 s[0:1], -1
                                        ; implicit-def: $vgpr12
	s_branch .LBB87_1496
.LBB87_1488:
	s_mov_b64 s[0:1], -1
                                        ; implicit-def: $vgpr12
	s_branch .LBB87_1493
.LBB87_1489:
	s_mov_b64 s[0:1], -1
                                        ; implicit-def: $vgpr12
.LBB87_1490:
	s_andn2_b64 vcc, exec, s[0:1]
	s_cbranch_vccnz .LBB87_1492
; %bb.1491:
	global_load_dword v12, v[10:11], off
.LBB87_1492:
	s_mov_b64 s[0:1], 0
.LBB87_1493:
	s_andn2_b64 vcc, exec, s[0:1]
	s_cbranch_vccnz .LBB87_1495
; %bb.1494:
	global_load_dword v5, v[10:11], off
	s_waitcnt vmcnt(0)
	v_cvt_f32_f16_e32 v12, v5
.LBB87_1495:
	s_mov_b64 s[0:1], 0
.LBB87_1496:
	s_andn2_b64 vcc, exec, s[0:1]
	s_cbranch_vccnz .LBB87_1507
; %bb.1497:
	v_mov_b32_e32 v5, 6
	v_cmp_lt_i16_sdwa s[0:1], s16, v5 src0_sel:BYTE_0 src1_sel:DWORD
	s_and_b64 vcc, exec, s[0:1]
	s_cbranch_vccnz .LBB87_1500
; %bb.1498:
	v_cmp_gt_i16_sdwa s[0:1], s16, v5 src0_sel:BYTE_0 src1_sel:DWORD
	s_and_b64 vcc, exec, s[0:1]
	s_cbranch_vccz .LBB87_1501
; %bb.1499:
	global_load_dwordx2 v[12:13], v[10:11], off
	s_mov_b64 s[0:1], 0
	s_waitcnt vmcnt(0)
	v_cvt_f32_f64_e32 v12, v[12:13]
	s_branch .LBB87_1502
.LBB87_1500:
	s_mov_b64 s[0:1], -1
                                        ; implicit-def: $vgpr12
	s_branch .LBB87_1505
.LBB87_1501:
	s_mov_b64 s[0:1], -1
                                        ; implicit-def: $vgpr12
.LBB87_1502:
	s_andn2_b64 vcc, exec, s[0:1]
	s_cbranch_vccnz .LBB87_1504
; %bb.1503:
	global_load_dword v12, v[10:11], off
.LBB87_1504:
	s_mov_b64 s[0:1], 0
.LBB87_1505:
	s_andn2_b64 vcc, exec, s[0:1]
	s_cbranch_vccnz .LBB87_1507
; %bb.1506:
	global_load_ushort v5, v[10:11], off
	s_waitcnt vmcnt(0)
	v_cvt_f32_f16_e32 v12, v5
.LBB87_1507:
	s_mov_b64 s[0:1], 0
.LBB87_1508:
	s_andn2_b64 vcc, exec, s[0:1]
	s_cbranch_vccnz .LBB87_1528
; %bb.1509:
	v_mov_b32_e32 v5, 2
	v_cmp_lt_i16_sdwa s[0:1], s16, v5 src0_sel:BYTE_0 src1_sel:DWORD
	s_and_b64 vcc, exec, s[0:1]
	s_cbranch_vccnz .LBB87_1513
; %bb.1510:
	v_mov_b32_e32 v5, 3
	v_cmp_lt_i16_sdwa s[0:1], s16, v5 src0_sel:BYTE_0 src1_sel:DWORD
	s_and_b64 vcc, exec, s[0:1]
	s_cbranch_vccnz .LBB87_1514
; %bb.1511:
	v_cmp_gt_i16_sdwa s[0:1], s16, v5 src0_sel:BYTE_0 src1_sel:DWORD
	s_and_b64 vcc, exec, s[0:1]
	s_cbranch_vccz .LBB87_1515
; %bb.1512:
	global_load_dwordx2 v[12:13], v[10:11], off
	s_mov_b64 s[0:1], 0
	s_waitcnt vmcnt(0)
	v_xor_b32_e32 v7, v12, v13
	v_ffbh_i32_e32 v5, v13
	v_ashrrev_i32_e32 v7, 31, v7
	v_add_u32_e32 v5, -1, v5
	v_add_u32_e32 v7, 32, v7
	v_min_u32_e32 v5, v5, v7
	v_lshlrev_b64 v[12:13], v5, v[12:13]
	v_min_u32_e32 v7, 1, v12
	v_or_b32_e32 v7, v13, v7
	v_cvt_f32_i32_e32 v7, v7
	v_sub_u32_e32 v5, 32, v5
	v_ldexp_f32 v12, v7, v5
	s_branch .LBB87_1516
.LBB87_1513:
	s_mov_b64 s[0:1], -1
                                        ; implicit-def: $vgpr12
	s_branch .LBB87_1522
.LBB87_1514:
	s_mov_b64 s[0:1], -1
                                        ; implicit-def: $vgpr12
	s_branch .LBB87_1519
.LBB87_1515:
	s_mov_b64 s[0:1], -1
                                        ; implicit-def: $vgpr12
.LBB87_1516:
	s_andn2_b64 vcc, exec, s[0:1]
	s_cbranch_vccnz .LBB87_1518
; %bb.1517:
	global_load_dword v5, v[10:11], off
	s_waitcnt vmcnt(0)
	v_cvt_f32_i32_e32 v12, v5
.LBB87_1518:
	s_mov_b64 s[0:1], 0
.LBB87_1519:
	s_andn2_b64 vcc, exec, s[0:1]
	s_cbranch_vccnz .LBB87_1521
; %bb.1520:
	global_load_sshort v5, v[10:11], off
	s_waitcnt vmcnt(0)
	v_cvt_f32_i32_e32 v12, v5
.LBB87_1521:
	s_mov_b64 s[0:1], 0
.LBB87_1522:
	s_andn2_b64 vcc, exec, s[0:1]
	s_cbranch_vccnz .LBB87_1528
; %bb.1523:
	v_mov_b32_e32 v5, 0
	v_cmp_gt_i16_sdwa s[0:1], s16, v5 src0_sel:BYTE_0 src1_sel:DWORD
	s_and_b64 vcc, exec, s[0:1]
	s_cbranch_vccz .LBB87_1525
; %bb.1524:
	global_load_sbyte v5, v[10:11], off
	s_mov_b64 s[0:1], 0
	s_waitcnt vmcnt(0)
	v_cvt_f32_i32_e32 v12, v5
	s_branch .LBB87_1526
.LBB87_1525:
	s_mov_b64 s[0:1], -1
                                        ; implicit-def: $vgpr12
.LBB87_1526:
	s_andn2_b64 vcc, exec, s[0:1]
	s_cbranch_vccnz .LBB87_1528
; %bb.1527:
	global_load_ubyte v5, v[10:11], off
	s_waitcnt vmcnt(0)
	v_cvt_f32_ubyte0_e32 v12, v5
.LBB87_1528:
.LBB87_1529:
	v_mov_b32_e32 v5, s11
	v_add_co_u32_e32 v8, vcc, s10, v8
	v_addc_co_u32_e32 v9, vcc, 0, v5, vcc
	v_mov_b32_e32 v5, 11
	v_cmp_lt_i16_sdwa s[0:1], s16, v5 src0_sel:BYTE_0 src1_sel:DWORD
	s_and_b64 vcc, exec, s[0:1]
	s_cbranch_vccnz .LBB87_1536
; %bb.1530:
	v_mov_b32_e32 v5, 25
	v_cmp_gt_i16_sdwa s[0:1], s16, v5 src0_sel:BYTE_0 src1_sel:DWORD
	s_mov_b64 s[4:5], 0
	s_and_b64 vcc, exec, s[0:1]
	s_cbranch_vccz .LBB87_1537
; %bb.1531:
	v_mov_b32_e32 v5, 28
	v_cmp_gt_i16_sdwa s[0:1], s16, v5 src0_sel:BYTE_0 src1_sel:DWORD
	s_and_b64 vcc, exec, s[0:1]
	s_cbranch_vccz .LBB87_1538
; %bb.1532:
	v_mov_b32_e32 v5, 43
	v_cmp_gt_i16_sdwa s[0:1], s16, v5 src0_sel:BYTE_0 src1_sel:DWORD
	s_and_b64 vcc, exec, s[0:1]
	s_cbranch_vccz .LBB87_1539
; %bb.1533:
	v_mov_b32_e32 v5, 45
	v_cmp_gt_i16_sdwa s[0:1], s16, v5 src0_sel:BYTE_0 src1_sel:DWORD
	s_and_b64 vcc, exec, s[0:1]
	s_cbranch_vccz .LBB87_1541
; %bb.1534:
	v_mov_b32_e32 v5, 46
	v_cmp_eq_u16_sdwa s[0:1], s16, v5 src0_sel:BYTE_0 src1_sel:DWORD
	s_mov_b64 s[10:11], 0
	s_and_b64 vcc, exec, s[0:1]
	s_cbranch_vccz .LBB87_1542
; %bb.1535:
	global_load_dword v5, v[8:9], off
	s_mov_b64 s[0:1], 0
	s_mov_b64 s[6:7], -1
	s_waitcnt vmcnt(0)
	v_lshlrev_b32_e32 v10, 16, v5
	s_branch .LBB87_1543
.LBB87_1536:
	s_mov_b64 s[0:1], -1
	s_mov_b64 s[6:7], 0
                                        ; implicit-def: $vgpr10
	s_branch .LBB87_1609
.LBB87_1537:
	s_mov_b64 s[10:11], -1
	s_mov_b64 s[6:7], 0
	s_mov_b64 s[0:1], 0
                                        ; implicit-def: $vgpr10
	s_branch .LBB87_1572
.LBB87_1538:
	s_mov_b64 s[10:11], -1
	s_mov_b64 s[6:7], 0
	s_mov_b64 s[0:1], 0
                                        ; implicit-def: $vgpr10
	s_branch .LBB87_1553
.LBB87_1539:
	s_mov_b64 s[10:11], -1
	s_mov_b64 s[6:7], 0
	s_mov_b64 s[0:1], 0
                                        ; implicit-def: $vgpr10
	s_branch .LBB87_1548
.LBB87_1540:
	s_trap 2
	s_or_b64 s[2:3], s[2:3], exec
                                        ; implicit-def: $vgpr12
	s_cbranch_execz .LBB87_1479
	s_branch .LBB87_1480
.LBB87_1541:
	s_mov_b64 s[10:11], -1
	s_mov_b64 s[6:7], 0
	s_mov_b64 s[0:1], 0
                                        ; implicit-def: $vgpr10
	s_branch .LBB87_1543
.LBB87_1542:
	s_mov_b64 s[0:1], -1
                                        ; implicit-def: $vgpr10
	s_mov_b64 s[6:7], 0
.LBB87_1543:
	s_and_b64 vcc, exec, s[10:11]
	s_cbranch_vccz .LBB87_1547
; %bb.1544:
	v_mov_b32_e32 v5, 44
	v_cmp_eq_u16_sdwa s[0:1], s16, v5 src0_sel:BYTE_0 src1_sel:DWORD
	s_and_b64 vcc, exec, s[0:1]
	s_cbranch_vccz .LBB87_1546
; %bb.1545:
	global_load_ubyte v5, v[8:9], off
	s_movk_i32 s6, 0xff
	v_mov_b32_e32 v7, 0x7f800001
	v_mov_b32_e32 v10, 0x400000
	s_mov_b64 s[0:1], 0
	s_waitcnt vmcnt(0)
	v_lshlrev_b32_e32 v11, 23, v5
	v_cmp_ne_u32_e32 vcc, s6, v5
	v_cndmask_b32_e32 v7, v7, v11, vcc
	v_cmp_ne_u32_e32 vcc, 0, v5
	v_cndmask_b32_e32 v10, v10, v7, vcc
	s_mov_b64 s[6:7], -1
	s_branch .LBB87_1547
.LBB87_1546:
	s_mov_b64 s[0:1], -1
                                        ; implicit-def: $vgpr10
.LBB87_1547:
	s_mov_b64 s[10:11], 0
.LBB87_1548:
	s_and_b64 vcc, exec, s[10:11]
	s_cbranch_vccz .LBB87_1552
; %bb.1549:
	v_mov_b32_e32 v5, 29
	v_cmp_eq_u16_sdwa s[0:1], s16, v5 src0_sel:BYTE_0 src1_sel:DWORD
	s_and_b64 vcc, exec, s[0:1]
	s_cbranch_vccz .LBB87_1551
; %bb.1550:
	global_load_dwordx2 v[10:11], v[8:9], off
	s_mov_b64 s[0:1], 0
	s_mov_b64 s[6:7], -1
	s_mov_b64 s[10:11], 0
	s_waitcnt vmcnt(0)
	v_ffbh_u32_e32 v5, v11
	v_min_u32_e32 v5, 32, v5
	v_lshlrev_b64 v[10:11], v5, v[10:11]
	v_min_u32_e32 v7, 1, v10
	v_or_b32_e32 v7, v11, v7
	v_cvt_f32_u32_e32 v7, v7
	v_sub_u32_e32 v5, 32, v5
	v_ldexp_f32 v10, v7, v5
	s_branch .LBB87_1553
.LBB87_1551:
	s_mov_b64 s[0:1], -1
                                        ; implicit-def: $vgpr10
.LBB87_1552:
	s_mov_b64 s[10:11], 0
.LBB87_1553:
	s_and_b64 vcc, exec, s[10:11]
	s_cbranch_vccz .LBB87_1571
; %bb.1554:
	v_mov_b32_e32 v5, 27
	v_cmp_lt_i16_sdwa s[6:7], s16, v5 src0_sel:BYTE_0 src1_sel:DWORD
	s_and_b64 vcc, exec, s[6:7]
	s_cbranch_vccnz .LBB87_1557
; %bb.1555:
	v_cmp_gt_i16_sdwa s[6:7], s16, v5 src0_sel:BYTE_0 src1_sel:DWORD
	s_and_b64 vcc, exec, s[6:7]
	s_cbranch_vccz .LBB87_1558
; %bb.1556:
	global_load_dword v5, v[8:9], off
	s_mov_b64 s[6:7], 0
	s_waitcnt vmcnt(0)
	v_cvt_f32_u32_e32 v10, v5
	s_branch .LBB87_1559
.LBB87_1557:
	s_mov_b64 s[6:7], -1
                                        ; implicit-def: $vgpr10
	s_branch .LBB87_1562
.LBB87_1558:
	s_mov_b64 s[6:7], -1
                                        ; implicit-def: $vgpr10
.LBB87_1559:
	s_andn2_b64 vcc, exec, s[6:7]
	s_cbranch_vccnz .LBB87_1561
; %bb.1560:
	global_load_ushort v5, v[8:9], off
	s_waitcnt vmcnt(0)
	v_cvt_f32_u32_e32 v10, v5
.LBB87_1561:
	s_mov_b64 s[6:7], 0
.LBB87_1562:
	s_andn2_b64 vcc, exec, s[6:7]
	s_cbranch_vccnz .LBB87_1570
; %bb.1563:
	global_load_ubyte v5, v[8:9], off
	s_movk_i32 s6, 0x7f
                                        ; implicit-def: $sgpr14
	s_waitcnt vmcnt(0)
	v_cmp_lt_i16_e32 vcc, s6, v5
	s_mov_b64 s[6:7], 0
	s_and_saveexec_b64 s[10:11], vcc
	s_xor_b64 s[10:11], exec, s[10:11]
	s_cbranch_execz .LBB87_1584
; %bb.1564:
	s_movk_i32 s6, 0x80
	v_cmp_eq_u16_e32 vcc, s6, v5
	s_mov_b64 s[6:7], -1
                                        ; implicit-def: $sgpr14
	s_and_saveexec_b64 s[12:13], vcc
; %bb.1565:
	s_mov_b32 s14, 0x7f800001
	s_xor_b64 s[6:7], exec, -1
; %bb.1566:
	s_or_b64 exec, exec, s[12:13]
	s_and_b64 s[6:7], s[6:7], exec
	s_or_saveexec_b64 s[10:11], s[10:11]
	v_mov_b32_e32 v10, s14
	s_xor_b64 exec, exec, s[10:11]
	s_cbranch_execnz .LBB87_1585
.LBB87_1567:
	s_or_b64 exec, exec, s[10:11]
	s_and_saveexec_b64 s[10:11], s[6:7]
	s_cbranch_execz .LBB87_1569
.LBB87_1568:
	v_lshlrev_b32_e32 v7, 24, v5
	v_and_b32_e32 v5, 0xffff, v5
	v_and_b32_e32 v10, 7, v5
	v_ffbh_u32_e32 v13, v10
	v_min_u32_e32 v13, 32, v13
	v_subrev_u32_e32 v14, 28, v13
	v_bfe_u32 v11, v5, 3, 4
	v_lshlrev_b32_e32 v5, v14, v5
	v_sub_u32_e32 v13, 29, v13
	v_and_b32_e32 v5, 7, v5
	v_cmp_eq_u32_e32 vcc, 0, v11
	v_cndmask_b32_e32 v11, v11, v13, vcc
	v_cndmask_b32_e32 v5, v10, v5, vcc
	v_mov_b32_e32 v10, 0x3b800000
	v_lshlrev_b32_e32 v5, 20, v5
	v_and_b32_e32 v7, 0x80000000, v7
	v_lshl_add_u32 v10, v11, 23, v10
	v_or3_b32 v10, v7, v10, v5
.LBB87_1569:
	s_or_b64 exec, exec, s[10:11]
.LBB87_1570:
	s_mov_b64 s[6:7], -1
.LBB87_1571:
	s_mov_b64 s[10:11], 0
.LBB87_1572:
	s_and_b64 vcc, exec, s[10:11]
	s_cbranch_vccz .LBB87_1605
; %bb.1573:
	v_mov_b32_e32 v5, 22
	v_cmp_gt_i16_sdwa s[4:5], s16, v5 src0_sel:BYTE_0 src1_sel:DWORD
	s_and_b64 vcc, exec, s[4:5]
	s_cbranch_vccz .LBB87_1583
; %bb.1574:
	v_mov_b32_e32 v5, 24
	v_cmp_lt_i16_sdwa s[4:5], s16, v5 src0_sel:BYTE_0 src1_sel:DWORD
	s_and_b64 vcc, exec, s[4:5]
	s_cbranch_vccnz .LBB87_1586
; %bb.1575:
	v_cmp_gt_i16_sdwa s[4:5], s16, v5 src0_sel:BYTE_0 src1_sel:DWORD
	s_and_b64 vcc, exec, s[4:5]
	s_cbranch_vccz .LBB87_1587
; %bb.1576:
	global_load_ubyte v5, v[8:9], off
	s_movk_i32 s4, 0x7f
                                        ; implicit-def: $sgpr12
	s_waitcnt vmcnt(0)
	v_cmp_lt_i16_e32 vcc, s4, v5
	s_mov_b64 s[4:5], 0
	s_and_saveexec_b64 s[6:7], vcc
	s_xor_b64 s[6:7], exec, s[6:7]
	s_cbranch_execz .LBB87_1599
; %bb.1577:
	s_movk_i32 s4, 0x80
	v_cmp_eq_u16_e32 vcc, s4, v5
	s_mov_b64 s[4:5], -1
                                        ; implicit-def: $sgpr12
	s_and_saveexec_b64 s[10:11], vcc
; %bb.1578:
	s_mov_b32 s12, 0x7f800001
	s_xor_b64 s[4:5], exec, -1
; %bb.1579:
	s_or_b64 exec, exec, s[10:11]
	s_and_b64 s[4:5], s[4:5], exec
	s_or_saveexec_b64 s[6:7], s[6:7]
	v_mov_b32_e32 v10, s12
	s_xor_b64 exec, exec, s[6:7]
	s_cbranch_execnz .LBB87_1600
.LBB87_1580:
	s_or_b64 exec, exec, s[6:7]
	s_and_saveexec_b64 s[6:7], s[4:5]
	s_cbranch_execz .LBB87_1582
.LBB87_1581:
	v_lshlrev_b32_e32 v7, 24, v5
	v_and_b32_e32 v5, 0xffff, v5
	v_and_b32_e32 v10, 3, v5
	v_ffbh_u32_e32 v13, v10
	v_min_u32_e32 v13, 32, v13
	v_subrev_u32_e32 v14, 29, v13
	v_bfe_u32 v11, v5, 2, 5
	v_lshlrev_b32_e32 v5, v14, v5
	v_sub_u32_e32 v13, 30, v13
	v_and_b32_e32 v5, 3, v5
	v_cmp_eq_u32_e32 vcc, 0, v11
	v_cndmask_b32_e32 v11, v11, v13, vcc
	v_cndmask_b32_e32 v5, v10, v5, vcc
	v_mov_b32_e32 v10, 0x37800000
	v_lshlrev_b32_e32 v5, 21, v5
	v_and_b32_e32 v7, 0x80000000, v7
	v_lshl_add_u32 v10, v11, 23, v10
	v_or3_b32 v10, v7, v10, v5
.LBB87_1582:
	s_or_b64 exec, exec, s[6:7]
	s_mov_b64 s[4:5], 0
	s_branch .LBB87_1588
.LBB87_1583:
	s_mov_b64 s[4:5], -1
                                        ; implicit-def: $vgpr10
	s_branch .LBB87_1594
.LBB87_1584:
	s_or_saveexec_b64 s[10:11], s[10:11]
	v_mov_b32_e32 v10, s14
	s_xor_b64 exec, exec, s[10:11]
	s_cbranch_execz .LBB87_1567
.LBB87_1585:
	v_cmp_ne_u16_e32 vcc, 0, v5
	s_andn2_b64 s[6:7], s[6:7], exec
	s_and_b64 s[12:13], vcc, exec
	v_mov_b32_e32 v10, 0
	s_or_b64 s[6:7], s[6:7], s[12:13]
	s_or_b64 exec, exec, s[10:11]
	s_and_saveexec_b64 s[10:11], s[6:7]
	s_cbranch_execnz .LBB87_1568
	s_branch .LBB87_1569
.LBB87_1586:
	s_mov_b64 s[4:5], -1
                                        ; implicit-def: $vgpr10
	s_branch .LBB87_1591
.LBB87_1587:
	s_mov_b64 s[4:5], -1
                                        ; implicit-def: $vgpr10
.LBB87_1588:
	s_and_b64 vcc, exec, s[4:5]
	s_cbranch_vccz .LBB87_1590
; %bb.1589:
	global_load_ubyte v5, v[8:9], off
	s_mov_b32 s4, 0x7f800000
	s_waitcnt vmcnt(0)
	v_lshlrev_b32_e32 v5, 24, v5
	v_and_b32_e32 v7, 0x7f000000, v5
	v_ffbh_u32_e32 v10, v7
	v_min_u32_e32 v10, 32, v10
	v_sub_u32_e64 v10, v10, 4 clamp
	v_lshlrev_b32_e32 v13, v10, v7
	v_lshlrev_b32_e32 v10, 23, v10
	v_lshrrev_b32_e32 v13, 4, v13
	v_add_u32_e32 v11, 0x1000000, v7
	v_sub_u32_e32 v10, v13, v10
	v_ashrrev_i32_e32 v11, 8, v11
	v_add_u32_e32 v10, 0x3c000000, v10
	v_and_or_b32 v10, v11, s4, v10
	v_cmp_ne_u32_e32 vcc, 0, v7
	v_cndmask_b32_e32 v7, 0, v10, vcc
	s_brev_b32 s4, 1
	v_and_or_b32 v10, v5, s4, v7
.LBB87_1590:
	s_mov_b64 s[4:5], 0
.LBB87_1591:
	s_andn2_b64 vcc, exec, s[4:5]
	s_cbranch_vccnz .LBB87_1593
; %bb.1592:
	global_load_ubyte v5, v[8:9], off
	s_movk_i32 s4, 0x7f00
	s_brev_b32 s5, 16
	s_waitcnt vmcnt(0)
	v_lshlrev_b16_e32 v7, 8, v5
	v_lshlrev_b32_e32 v5, 25, v5
	v_lshrrev_b32_e32 v10, 4, v5
	v_and_or_b32 v11, v7, s4, 0.5
	v_or_b32_e32 v10, 0x70000000, v10
	v_add_f32_e32 v11, -0.5, v11
	v_mul_f32_e32 v10, 0x7800000, v10
	v_cmp_gt_u32_e32 vcc, s5, v5
	v_bfe_i32 v7, v7, 0, 16
	v_cndmask_b32_e32 v5, v10, v11, vcc
	s_brev_b32 s4, 1
	v_and_or_b32 v10, v7, s4, v5
.LBB87_1593:
	s_mov_b64 s[4:5], 0
	s_mov_b64 s[6:7], -1
.LBB87_1594:
	s_andn2_b64 vcc, exec, s[4:5]
	s_mov_b64 s[4:5], 0
	s_cbranch_vccnz .LBB87_1605
; %bb.1595:
	v_mov_b32_e32 v5, 14
	v_cmp_gt_i16_sdwa s[4:5], s16, v5 src0_sel:BYTE_0 src1_sel:DWORD
	s_and_b64 vcc, exec, s[4:5]
	s_cbranch_vccz .LBB87_1598
; %bb.1596:
	v_mov_b32_e32 v5, 15
	v_cmp_eq_u16_sdwa s[0:1], s16, v5 src0_sel:BYTE_0 src1_sel:DWORD
	s_and_b64 vcc, exec, s[0:1]
	s_cbranch_vccz .LBB87_1601
; %bb.1597:
	global_load_ushort v5, v[8:9], off
	s_mov_b64 s[0:1], 0
	s_mov_b64 s[6:7], -1
	s_waitcnt vmcnt(0)
	v_lshlrev_b32_e32 v10, 16, v5
	s_branch .LBB87_1602
.LBB87_1598:
	s_mov_b64 s[10:11], -1
                                        ; implicit-def: $vgpr10
	s_branch .LBB87_1603
.LBB87_1599:
	s_or_saveexec_b64 s[6:7], s[6:7]
	v_mov_b32_e32 v10, s12
	s_xor_b64 exec, exec, s[6:7]
	s_cbranch_execz .LBB87_1580
.LBB87_1600:
	v_cmp_ne_u16_e32 vcc, 0, v5
	s_andn2_b64 s[4:5], s[4:5], exec
	s_and_b64 s[10:11], vcc, exec
	v_mov_b32_e32 v10, 0
	s_or_b64 s[4:5], s[4:5], s[10:11]
	s_or_b64 exec, exec, s[6:7]
	s_and_saveexec_b64 s[6:7], s[4:5]
	s_cbranch_execnz .LBB87_1581
	s_branch .LBB87_1582
.LBB87_1601:
	s_mov_b64 s[0:1], -1
                                        ; implicit-def: $vgpr10
.LBB87_1602:
	s_mov_b64 s[10:11], 0
.LBB87_1603:
	s_mov_b64 s[4:5], 0
	s_and_b64 vcc, exec, s[10:11]
	s_cbranch_vccz .LBB87_1605
; %bb.1604:
	v_mov_b32_e32 v5, 11
	v_cmp_ne_u16_sdwa s[0:1], s16, v5 src0_sel:BYTE_0 src1_sel:DWORD
	s_mov_b64 s[4:5], -1
                                        ; implicit-def: $vgpr10
.LBB87_1605:
	s_and_b64 vcc, exec, s[0:1]
	s_cbranch_vccnz .LBB87_1669
; %bb.1606:
	s_andn2_b64 vcc, exec, s[4:5]
	s_cbranch_vccnz .LBB87_1608
.LBB87_1607:
	global_load_ubyte v5, v[8:9], off
	s_mov_b64 s[6:7], -1
	s_waitcnt vmcnt(0)
	v_cmp_ne_u16_e32 vcc, 0, v5
	v_cndmask_b32_e64 v10, 0, 1.0, vcc
.LBB87_1608:
	s_mov_b64 s[0:1], 0
.LBB87_1609:
	s_and_b64 vcc, exec, s[0:1]
	s_cbranch_vccz .LBB87_1658
; %bb.1610:
	v_mov_b32_e32 v5, 5
	v_cmp_lt_i16_sdwa s[0:1], s16, v5 src0_sel:BYTE_0 src1_sel:DWORD
	s_and_b64 vcc, exec, s[0:1]
	s_cbranch_vccnz .LBB87_1615
; %bb.1611:
	v_mov_b32_e32 v5, 8
	v_cmp_lt_i16_sdwa s[0:1], s16, v5 src0_sel:BYTE_0 src1_sel:DWORD
	s_and_b64 vcc, exec, s[0:1]
	s_cbranch_vccnz .LBB87_1616
	;; [unrolled: 5-line block ×3, first 2 shown]
; %bb.1613:
	v_cmp_gt_i16_sdwa s[0:1], s16, v5 src0_sel:BYTE_0 src1_sel:DWORD
	s_and_b64 vcc, exec, s[0:1]
	s_cbranch_vccz .LBB87_1618
; %bb.1614:
	global_load_dwordx2 v[10:11], v[8:9], off
	s_mov_b64 s[0:1], 0
	s_waitcnt vmcnt(0)
	v_cvt_f32_f64_e32 v10, v[10:11]
	s_branch .LBB87_1619
.LBB87_1615:
	s_mov_b64 s[0:1], -1
                                        ; implicit-def: $vgpr10
	s_branch .LBB87_1637
.LBB87_1616:
	s_mov_b64 s[0:1], -1
                                        ; implicit-def: $vgpr10
	s_branch .LBB87_1625
.LBB87_1617:
	s_mov_b64 s[0:1], -1
                                        ; implicit-def: $vgpr10
	s_branch .LBB87_1622
.LBB87_1618:
	s_mov_b64 s[0:1], -1
                                        ; implicit-def: $vgpr10
.LBB87_1619:
	s_andn2_b64 vcc, exec, s[0:1]
	s_cbranch_vccnz .LBB87_1621
; %bb.1620:
	global_load_dword v10, v[8:9], off
.LBB87_1621:
	s_mov_b64 s[0:1], 0
.LBB87_1622:
	s_andn2_b64 vcc, exec, s[0:1]
	s_cbranch_vccnz .LBB87_1624
; %bb.1623:
	global_load_dword v5, v[8:9], off
	s_waitcnt vmcnt(0)
	v_cvt_f32_f16_e32 v10, v5
.LBB87_1624:
	s_mov_b64 s[0:1], 0
.LBB87_1625:
	s_andn2_b64 vcc, exec, s[0:1]
	s_cbranch_vccnz .LBB87_1636
; %bb.1626:
	v_mov_b32_e32 v5, 6
	v_cmp_lt_i16_sdwa s[0:1], s16, v5 src0_sel:BYTE_0 src1_sel:DWORD
	s_and_b64 vcc, exec, s[0:1]
	s_cbranch_vccnz .LBB87_1629
; %bb.1627:
	v_cmp_gt_i16_sdwa s[0:1], s16, v5 src0_sel:BYTE_0 src1_sel:DWORD
	s_and_b64 vcc, exec, s[0:1]
	s_cbranch_vccz .LBB87_1630
; %bb.1628:
	global_load_dwordx2 v[10:11], v[8:9], off
	s_mov_b64 s[0:1], 0
	s_waitcnt vmcnt(0)
	v_cvt_f32_f64_e32 v10, v[10:11]
	s_branch .LBB87_1631
.LBB87_1629:
	s_mov_b64 s[0:1], -1
                                        ; implicit-def: $vgpr10
	s_branch .LBB87_1634
.LBB87_1630:
	s_mov_b64 s[0:1], -1
                                        ; implicit-def: $vgpr10
.LBB87_1631:
	s_andn2_b64 vcc, exec, s[0:1]
	s_cbranch_vccnz .LBB87_1633
; %bb.1632:
	global_load_dword v10, v[8:9], off
.LBB87_1633:
	s_mov_b64 s[0:1], 0
.LBB87_1634:
	s_andn2_b64 vcc, exec, s[0:1]
	s_cbranch_vccnz .LBB87_1636
; %bb.1635:
	global_load_ushort v5, v[8:9], off
	s_waitcnt vmcnt(0)
	v_cvt_f32_f16_e32 v10, v5
.LBB87_1636:
	s_mov_b64 s[0:1], 0
.LBB87_1637:
	s_andn2_b64 vcc, exec, s[0:1]
	s_cbranch_vccnz .LBB87_1657
; %bb.1638:
	v_mov_b32_e32 v5, 2
	v_cmp_lt_i16_sdwa s[0:1], s16, v5 src0_sel:BYTE_0 src1_sel:DWORD
	s_and_b64 vcc, exec, s[0:1]
	s_cbranch_vccnz .LBB87_1642
; %bb.1639:
	v_mov_b32_e32 v5, 3
	v_cmp_lt_i16_sdwa s[0:1], s16, v5 src0_sel:BYTE_0 src1_sel:DWORD
	s_and_b64 vcc, exec, s[0:1]
	s_cbranch_vccnz .LBB87_1643
; %bb.1640:
	v_cmp_gt_i16_sdwa s[0:1], s16, v5 src0_sel:BYTE_0 src1_sel:DWORD
	s_and_b64 vcc, exec, s[0:1]
	s_cbranch_vccz .LBB87_1644
; %bb.1641:
	global_load_dwordx2 v[10:11], v[8:9], off
	s_mov_b64 s[0:1], 0
	s_waitcnt vmcnt(0)
	v_xor_b32_e32 v7, v10, v11
	v_ffbh_i32_e32 v5, v11
	v_ashrrev_i32_e32 v7, 31, v7
	v_add_u32_e32 v5, -1, v5
	v_add_u32_e32 v7, 32, v7
	v_min_u32_e32 v5, v5, v7
	v_lshlrev_b64 v[10:11], v5, v[10:11]
	v_min_u32_e32 v7, 1, v10
	v_or_b32_e32 v7, v11, v7
	v_cvt_f32_i32_e32 v7, v7
	v_sub_u32_e32 v5, 32, v5
	v_ldexp_f32 v10, v7, v5
	s_branch .LBB87_1645
.LBB87_1642:
	s_mov_b64 s[0:1], -1
                                        ; implicit-def: $vgpr10
	s_branch .LBB87_1651
.LBB87_1643:
	s_mov_b64 s[0:1], -1
                                        ; implicit-def: $vgpr10
	s_branch .LBB87_1648
.LBB87_1644:
	s_mov_b64 s[0:1], -1
                                        ; implicit-def: $vgpr10
.LBB87_1645:
	s_andn2_b64 vcc, exec, s[0:1]
	s_cbranch_vccnz .LBB87_1647
; %bb.1646:
	global_load_dword v5, v[8:9], off
	s_waitcnt vmcnt(0)
	v_cvt_f32_i32_e32 v10, v5
.LBB87_1647:
	s_mov_b64 s[0:1], 0
.LBB87_1648:
	s_andn2_b64 vcc, exec, s[0:1]
	s_cbranch_vccnz .LBB87_1650
; %bb.1649:
	global_load_sshort v5, v[8:9], off
	s_waitcnt vmcnt(0)
	v_cvt_f32_i32_e32 v10, v5
.LBB87_1650:
	s_mov_b64 s[0:1], 0
.LBB87_1651:
	s_andn2_b64 vcc, exec, s[0:1]
	s_cbranch_vccnz .LBB87_1657
; %bb.1652:
	v_mov_b32_e32 v5, 0
	v_cmp_gt_i16_sdwa s[0:1], s16, v5 src0_sel:BYTE_0 src1_sel:DWORD
	s_and_b64 vcc, exec, s[0:1]
	s_cbranch_vccz .LBB87_1654
; %bb.1653:
	global_load_sbyte v5, v[8:9], off
	s_mov_b64 s[0:1], 0
	s_waitcnt vmcnt(0)
	v_cvt_f32_i32_e32 v10, v5
	s_branch .LBB87_1655
.LBB87_1654:
	s_mov_b64 s[0:1], -1
                                        ; implicit-def: $vgpr10
.LBB87_1655:
	s_andn2_b64 vcc, exec, s[0:1]
	s_cbranch_vccnz .LBB87_1657
; %bb.1656:
	global_load_ubyte v5, v[8:9], off
	s_waitcnt vmcnt(0)
	v_cvt_f32_ubyte0_e32 v10, v5
.LBB87_1657:
	s_mov_b64 s[6:7], -1
.LBB87_1658:
	s_andn2_b64 vcc, exec, s[6:7]
	s_cbranch_vccnz .LBB87_2044
; %bb.1659:
	s_load_dwordx2 s[4:5], s[34:35], 0x15c
	s_brev_b32 s0, -2
	v_mov_b32_e32 v5, s9
	v_add_co_u32_e32 v6, vcc, s8, v6
	s_waitcnt lgkmcnt(0)
	s_and_b32 s18, s5, 0xff
	v_mov_b32_e32 v7, s4
	s_waitcnt vmcnt(0)
	v_bfi_b32 v8, s0, v1, v7
	v_addc_co_u32_e32 v7, vcc, 0, v5, vcc
	v_cmp_lt_i16_e64 s[6:7], s18, 11
	s_and_b64 vcc, exec, s[6:7]
	s_cbranch_vccnz .LBB87_1666
; %bb.1660:
	v_cmp_gt_i16_e64 s[0:1], s18, 25
	s_mov_b64 s[14:15], -1
	s_mov_b64 s[10:11], 0
	s_and_b64 vcc, exec, s[0:1]
	s_mov_b64 s[12:13], 0
	s_mov_b64 s[0:1], 0
	s_cbranch_vccz .LBB87_1698
; %bb.1661:
	v_cmp_gt_i16_e64 s[0:1], s18, 28
	s_and_b64 vcc, exec, s[0:1]
	s_cbranch_vccz .LBB87_1667
; %bb.1662:
	v_cmp_gt_i16_e64 s[0:1], s18, 43
	s_and_b64 vcc, exec, s[0:1]
	s_cbranch_vccz .LBB87_1668
; %bb.1663:
	v_cmp_gt_i16_e64 s[0:1], s18, 45
	s_and_b64 vcc, exec, s[0:1]
	s_cbranch_vccz .LBB87_1670
; %bb.1664:
	v_cmp_eq_u16_e64 s[12:13], s18, 46
	s_mov_b64 s[0:1], -1
	s_mov_b64 s[14:15], 0
	s_and_b64 vcc, exec, s[12:13]
	s_mov_b64 s[12:13], 0
	s_cbranch_vccz .LBB87_1671
; %bb.1665:
	v_bfe_u32 v5, v8, 16, 1
	s_movk_i32 s0, 0x7fff
	v_add3_u32 v5, v8, v5, s0
	v_lshrrev_b32_e32 v5, 16, v5
	v_mov_b32_e32 v9, 0x7fc0
	v_cmp_o_f32_e32 vcc, v8, v8
	v_cndmask_b32_e32 v5, v9, v5, vcc
	global_store_dword v[6:7], v5, off
	s_mov_b64 s[0:1], 0
	s_mov_b64 s[12:13], -1
	s_branch .LBB87_1671
.LBB87_1666:
	s_mov_b64 s[0:1], -1
	s_mov_b64 s[12:13], 0
	s_branch .LBB87_1742
.LBB87_1667:
	s_mov_b64 s[0:1], 0
	s_branch .LBB87_1681
.LBB87_1668:
	s_mov_b64 s[0:1], 0
	s_branch .LBB87_1677
.LBB87_1669:
	s_trap 2
	s_or_b64 s[2:3], s[2:3], exec
                                        ; implicit-def: $vgpr10
	s_cbranch_execz .LBB87_1607
	s_branch .LBB87_1608
.LBB87_1670:
	s_mov_b64 s[0:1], 0
.LBB87_1671:
	s_and_b64 vcc, exec, s[14:15]
	s_cbranch_vccz .LBB87_1676
; %bb.1672:
	v_cmp_eq_u16_e64 s[14:15], s18, 44
	s_mov_b64 s[0:1], -1
	s_and_b64 vcc, exec, s[14:15]
	s_cbranch_vccz .LBB87_1676
; %bb.1673:
	v_bfe_u32 v5, v8, 23, 8
	s_movk_i32 s0, 0xff
	v_cmp_ne_u32_e32 vcc, s0, v5
	v_mov_b32_e32 v9, 0xff
	s_and_saveexec_b64 s[12:13], vcc
; %bb.1674:
	s_mov_b32 s0, 0x3fffff
	v_and_b32_e32 v11, 0x400000, v8
	v_and_or_b32 v5, v8, s0, v5
	v_cmp_ne_u32_e32 vcc, 0, v11
	v_cmp_ne_u32_e64 s[0:1], 0, v5
	s_and_b64 s[0:1], vcc, s[0:1]
	v_lshrrev_b32_e32 v9, 23, v8
	v_cndmask_b32_e64 v5, 0, 1, s[0:1]
	v_add_u32_e32 v9, v9, v5
; %bb.1675:
	s_or_b64 exec, exec, s[12:13]
	s_mov_b64 s[0:1], 0
	s_mov_b64 s[12:13], -1
	global_store_byte v[6:7], v9, off
.LBB87_1676:
	s_mov_b64 s[14:15], 0
.LBB87_1677:
	s_and_b64 vcc, exec, s[14:15]
	s_cbranch_vccz .LBB87_1680
; %bb.1678:
	v_cmp_eq_u16_e64 s[14:15], s18, 29
	s_mov_b64 s[0:1], -1
	s_and_b64 vcc, exec, s[14:15]
	s_cbranch_vccz .LBB87_1680
; %bb.1679:
	v_trunc_f32_e32 v5, v8
	v_mul_f32_e32 v9, 0x2f800000, v5
	v_floor_f32_e32 v9, v9
	v_fmac_f32_e32 v5, 0xcf800000, v9
	v_cvt_u32_f32_e32 v15, v9
	v_cvt_u32_f32_e32 v14, v5
	s_mov_b64 s[0:1], 0
	s_mov_b64 s[12:13], -1
	s_mov_b64 s[14:15], 0
	global_store_dwordx2 v[6:7], v[14:15], off
	s_branch .LBB87_1681
.LBB87_1680:
	s_mov_b64 s[14:15], 0
.LBB87_1681:
	s_and_b64 vcc, exec, s[14:15]
	s_cbranch_vccz .LBB87_1697
; %bb.1682:
	v_cmp_lt_i16_e64 s[14:15], s18, 27
	s_mov_b64 s[12:13], -1
	s_and_b64 vcc, exec, s[14:15]
	s_cbranch_vccnz .LBB87_1688
; %bb.1683:
	v_cvt_u32_f32_e32 v5, v8
	v_cmp_gt_i16_e64 s[14:15], s18, 27
	s_and_b64 vcc, exec, s[14:15]
	s_cbranch_vccz .LBB87_1685
; %bb.1684:
	s_mov_b64 s[12:13], 0
	global_store_dword v[6:7], v5, off
.LBB87_1685:
	s_andn2_b64 vcc, exec, s[12:13]
	s_cbranch_vccnz .LBB87_1687
; %bb.1686:
	global_store_short v[6:7], v5, off
.LBB87_1687:
	s_mov_b64 s[12:13], 0
.LBB87_1688:
	s_andn2_b64 vcc, exec, s[12:13]
	s_cbranch_vccnz .LBB87_1696
; %bb.1689:
	v_and_b32_e32 v5, 0x7fffffff, v1
	s_mov_b32 s5, 0x43800000
	v_cmp_gt_u32_e32 vcc, s5, v5
	v_mov_b32_e32 v9, 0x80
	s_and_saveexec_b64 s[12:13], vcc
	s_cbranch_execz .LBB87_1695
; %bb.1690:
	s_mov_b32 s5, 0x3bffffff
	v_cmp_lt_u32_e32 vcc, s5, v5
	s_mov_b64 s[14:15], 0
                                        ; implicit-def: $vgpr5
	s_and_saveexec_b64 s[16:17], vcc
	s_xor_b64 s[16:17], exec, s[16:17]
	s_cbranch_execz .LBB87_1791
; %bb.1691:
	v_bfe_u32 v5, v8, 20, 1
	s_mov_b32 s5, 0x487ffff
	v_add3_u32 v5, v8, v5, s5
	s_mov_b64 s[14:15], exec
	v_lshrrev_b32_e32 v5, 20, v5
	s_or_saveexec_b64 s[16:17], s[16:17]
                                        ; implicit-def: $sgpr5
	s_xor_b64 exec, exec, s[16:17]
	s_cbranch_execnz .LBB87_1792
.LBB87_1692:
	s_or_b64 exec, exec, s[16:17]
	v_mov_b32_e32 v9, s5
	s_and_saveexec_b64 s[16:17], s[14:15]
.LBB87_1693:
	v_lshrrev_b32_e32 v9, 24, v8
	s_movk_i32 s5, 0x80
	v_and_or_b32 v9, v9, s5, v5
.LBB87_1694:
	s_or_b64 exec, exec, s[16:17]
.LBB87_1695:
	s_or_b64 exec, exec, s[12:13]
	global_store_byte v[6:7], v9, off
.LBB87_1696:
	s_mov_b64 s[12:13], -1
.LBB87_1697:
	s_mov_b64 s[14:15], 0
.LBB87_1698:
	s_and_b64 vcc, exec, s[14:15]
	s_cbranch_vccz .LBB87_1738
; %bb.1699:
	v_cmp_gt_i16_e64 s[14:15], s18, 22
	s_mov_b64 s[10:11], -1
	s_and_b64 vcc, exec, s[14:15]
	s_cbranch_vccz .LBB87_1731
; %bb.1700:
	v_cmp_lt_i16_e64 s[12:13], s18, 24
	s_and_b64 vcc, exec, s[12:13]
	s_cbranch_vccnz .LBB87_1720
; %bb.1701:
	v_cmp_gt_i16_e64 s[12:13], s18, 24
	s_and_b64 vcc, exec, s[12:13]
	s_cbranch_vccz .LBB87_1709
; %bb.1702:
	v_and_b32_e32 v5, 0x7fffffff, v1
	s_mov_b32 s5, 0x47800000
	v_cmp_gt_u32_e32 vcc, s5, v5
	v_mov_b32_e32 v9, 0x80
	s_and_saveexec_b64 s[10:11], vcc
	s_cbranch_execz .LBB87_1708
; %bb.1703:
	s_mov_b32 s5, 0x37ffffff
	v_cmp_lt_u32_e32 vcc, s5, v5
	s_mov_b64 s[12:13], 0
                                        ; implicit-def: $vgpr5
	s_and_saveexec_b64 s[14:15], vcc
	s_xor_b64 s[14:15], exec, s[14:15]
	s_cbranch_execz .LBB87_1795
; %bb.1704:
	v_bfe_u32 v5, v8, 21, 1
	s_mov_b32 s5, 0x88fffff
	v_add3_u32 v5, v8, v5, s5
	s_mov_b64 s[12:13], exec
	v_lshrrev_b32_e32 v5, 21, v5
	s_or_saveexec_b64 s[14:15], s[14:15]
                                        ; implicit-def: $sgpr5
	s_xor_b64 exec, exec, s[14:15]
	s_cbranch_execnz .LBB87_1796
.LBB87_1705:
	s_or_b64 exec, exec, s[14:15]
	v_mov_b32_e32 v9, s5
	s_and_saveexec_b64 s[14:15], s[12:13]
.LBB87_1706:
	v_lshrrev_b32_e32 v9, 24, v8
	s_movk_i32 s5, 0x80
	v_and_or_b32 v9, v9, s5, v5
.LBB87_1707:
	s_or_b64 exec, exec, s[14:15]
.LBB87_1708:
	s_or_b64 exec, exec, s[10:11]
	s_mov_b64 s[10:11], 0
	global_store_byte v[6:7], v9, off
.LBB87_1709:
	s_and_b64 vcc, exec, s[10:11]
	s_cbranch_vccz .LBB87_1719
; %bb.1710:
	v_and_b32_e32 v9, 0x7fffffff, v1
	s_mov_b32 s5, 0x43f00000
	v_cmp_gt_u32_e32 vcc, s5, v9
                                        ; implicit-def: $vgpr5
	s_and_saveexec_b64 s[10:11], vcc
	s_xor_b64 s[10:11], exec, s[10:11]
	s_cbranch_execz .LBB87_1716
; %bb.1711:
	s_mov_b32 s5, 0x3c7fffff
	v_cmp_lt_u32_e32 vcc, s5, v9
                                        ; implicit-def: $vgpr5
	s_and_saveexec_b64 s[12:13], vcc
	s_xor_b64 s[12:13], exec, s[12:13]
; %bb.1712:
	v_bfe_u32 v5, v8, 20, 1
	s_mov_b32 s5, 0x407ffff
	v_add3_u32 v5, v8, v5, s5
	v_lshrrev_b32_e32 v9, 20, v5
	v_and_b32_e32 v5, 0xff00000, v5
	s_mov_b32 s5, 0x7f00000
	v_mov_b32_e32 v11, 0x7e
	v_cmp_ne_u32_e32 vcc, s5, v5
	v_cndmask_b32_e32 v5, v11, v9, vcc
; %bb.1713:
	s_andn2_saveexec_b64 s[12:13], s[12:13]
; %bb.1714:
	s_mov_b32 s5, 0x46800000
	v_add_f32_e64 v5, |v1|, s5
; %bb.1715:
	s_or_b64 exec, exec, s[12:13]
                                        ; implicit-def: $vgpr9
.LBB87_1716:
	s_andn2_saveexec_b64 s[10:11], s[10:11]
; %bb.1717:
	s_mov_b32 s5, 0x7f800000
	v_mov_b32_e32 v5, 0x7e
	v_mov_b32_e32 v11, 0x7f
	v_cmp_lt_u32_e32 vcc, s5, v9
	v_cndmask_b32_e32 v5, v5, v11, vcc
; %bb.1718:
	s_or_b64 exec, exec, s[10:11]
	v_lshrrev_b32_e32 v9, 24, v8
	s_movk_i32 s5, 0x80
	v_and_or_b32 v5, v9, s5, v5
	global_store_byte v[6:7], v5, off
.LBB87_1719:
	s_mov_b64 s[10:11], 0
.LBB87_1720:
	s_andn2_b64 vcc, exec, s[10:11]
	s_cbranch_vccnz .LBB87_1730
; %bb.1721:
	v_and_b32_e32 v9, 0x7fffffff, v1
	s_mov_b32 s5, 0x47800000
	v_cmp_gt_u32_e32 vcc, s5, v9
                                        ; implicit-def: $vgpr5
	s_and_saveexec_b64 s[10:11], vcc
	s_xor_b64 s[10:11], exec, s[10:11]
	s_cbranch_execz .LBB87_1727
; %bb.1722:
	s_mov_b32 s5, 0x387fffff
	v_cmp_lt_u32_e32 vcc, s5, v9
                                        ; implicit-def: $vgpr5
	s_and_saveexec_b64 s[12:13], vcc
	s_xor_b64 s[12:13], exec, s[12:13]
; %bb.1723:
	v_bfe_u32 v1, v8, 21, 1
	s_mov_b32 s5, 0x80fffff
	v_add3_u32 v1, v8, v1, s5
	v_lshrrev_b32_e32 v5, 21, v1
                                        ; implicit-def: $vgpr1
; %bb.1724:
	s_andn2_saveexec_b64 s[12:13], s[12:13]
; %bb.1725:
	s_mov_b32 s5, 0x43000000
	v_add_f32_e64 v5, |v1|, s5
; %bb.1726:
	s_or_b64 exec, exec, s[12:13]
                                        ; implicit-def: $vgpr9
.LBB87_1727:
	s_andn2_saveexec_b64 s[10:11], s[10:11]
; %bb.1728:
	s_mov_b32 s5, 0x7f800000
	v_mov_b32_e32 v1, 0x7c
	v_mov_b32_e32 v5, 0x7f
	v_cmp_lt_u32_e32 vcc, s5, v9
	v_cndmask_b32_e32 v5, v1, v5, vcc
; %bb.1729:
	s_or_b64 exec, exec, s[10:11]
	v_lshrrev_b32_e32 v1, 24, v8
	s_movk_i32 s5, 0x80
	v_and_or_b32 v1, v1, s5, v5
	global_store_byte v[6:7], v1, off
.LBB87_1730:
	s_mov_b64 s[10:11], 0
	s_mov_b64 s[12:13], -1
.LBB87_1731:
	s_andn2_b64 vcc, exec, s[10:11]
	s_mov_b64 s[10:11], 0
	s_cbranch_vccnz .LBB87_1738
; %bb.1732:
	v_cmp_gt_i16_e64 s[10:11], s18, 14
	s_mov_b64 s[14:15], -1
	s_and_b64 vcc, exec, s[10:11]
	s_cbranch_vccz .LBB87_1736
; %bb.1733:
	v_cmp_eq_u16_e64 s[10:11], s18, 15
	s_mov_b64 s[0:1], -1
	s_and_b64 vcc, exec, s[10:11]
	s_cbranch_vccz .LBB87_1735
; %bb.1734:
	v_bfe_u32 v1, v8, 16, 1
	s_movk_i32 s0, 0x7fff
	v_add3_u32 v1, v8, v1, s0
	v_lshrrev_b32_e32 v1, 16, v1
	v_mov_b32_e32 v5, 0x7fc0
	v_cmp_o_f32_e32 vcc, v8, v8
	v_cndmask_b32_e32 v1, v5, v1, vcc
	global_store_short v[6:7], v1, off
	s_mov_b64 s[0:1], 0
	s_mov_b64 s[12:13], -1
.LBB87_1735:
	s_mov_b64 s[14:15], 0
.LBB87_1736:
	s_mov_b64 s[10:11], 0
	s_and_b64 vcc, exec, s[14:15]
	s_cbranch_vccz .LBB87_1738
; %bb.1737:
	v_cmp_ne_u16_e64 s[0:1], s18, 11
	s_mov_b64 s[10:11], -1
.LBB87_1738:
	s_and_b64 vcc, exec, s[0:1]
	s_cbranch_vccnz .LBB87_1794
; %bb.1739:
	s_andn2_b64 vcc, exec, s[10:11]
	s_cbranch_vccnz .LBB87_1741
.LBB87_1740:
	v_cmp_neq_f32_e32 vcc, 0, v8
	v_cndmask_b32_e64 v1, 0, 1, vcc
	s_mov_b64 s[12:13], -1
	global_store_byte v[6:7], v1, off
.LBB87_1741:
	s_mov_b64 s[0:1], 0
.LBB87_1742:
	s_and_b64 vcc, exec, s[0:1]
	s_cbranch_vccz .LBB87_1781
; %bb.1743:
	v_cmp_lt_i16_e64 s[10:11], s18, 5
	s_mov_b64 s[0:1], -1
	s_and_b64 vcc, exec, s[10:11]
	s_cbranch_vccnz .LBB87_1764
; %bb.1744:
	v_cmp_lt_i16_e64 s[10:11], s18, 8
	s_and_b64 vcc, exec, s[10:11]
	s_cbranch_vccnz .LBB87_1754
; %bb.1745:
	v_cmp_lt_i16_e64 s[10:11], s18, 9
	s_and_b64 vcc, exec, s[10:11]
	s_cbranch_vccnz .LBB87_1751
; %bb.1746:
	v_cmp_gt_i16_e64 s[10:11], s18, 9
	s_and_b64 vcc, exec, s[10:11]
	s_cbranch_vccz .LBB87_1748
; %bb.1747:
	v_mov_b32_e32 v16, 0
	v_cvt_f64_f32_e32 v[14:15], v8
	v_mov_b32_e32 v17, v16
	global_store_dwordx4 v[6:7], v[14:17], off
	s_mov_b64 s[0:1], 0
.LBB87_1748:
	s_andn2_b64 vcc, exec, s[0:1]
	s_cbranch_vccnz .LBB87_1750
; %bb.1749:
	v_mov_b32_e32 v9, 0
	global_store_dwordx2 v[6:7], v[8:9], off
.LBB87_1750:
	s_mov_b64 s[0:1], 0
.LBB87_1751:
	s_andn2_b64 vcc, exec, s[0:1]
	s_cbranch_vccnz .LBB87_1753
; %bb.1752:
	v_cvt_f16_f32_e32 v1, v8
	global_store_dword v[6:7], v1, off
.LBB87_1753:
	s_mov_b64 s[0:1], 0
.LBB87_1754:
	s_andn2_b64 vcc, exec, s[0:1]
	s_cbranch_vccnz .LBB87_1763
; %bb.1755:
	v_cmp_lt_i16_e64 s[10:11], s18, 6
	s_mov_b64 s[0:1], -1
	s_and_b64 vcc, exec, s[10:11]
	s_cbranch_vccnz .LBB87_1761
; %bb.1756:
	v_cmp_gt_i16_e64 s[10:11], s18, 6
	s_and_b64 vcc, exec, s[10:11]
	s_cbranch_vccz .LBB87_1758
; %bb.1757:
	v_cvt_f64_f32_e32 v[14:15], v8
	global_store_dwordx2 v[6:7], v[14:15], off
	s_mov_b64 s[0:1], 0
.LBB87_1758:
	s_andn2_b64 vcc, exec, s[0:1]
	s_cbranch_vccnz .LBB87_1760
; %bb.1759:
	global_store_dword v[6:7], v8, off
.LBB87_1760:
	s_mov_b64 s[0:1], 0
.LBB87_1761:
	s_andn2_b64 vcc, exec, s[0:1]
	s_cbranch_vccnz .LBB87_1763
; %bb.1762:
	v_cvt_f16_f32_e32 v1, v8
	global_store_short v[6:7], v1, off
.LBB87_1763:
	s_mov_b64 s[0:1], 0
.LBB87_1764:
	s_andn2_b64 vcc, exec, s[0:1]
	s_cbranch_vccnz .LBB87_1780
; %bb.1765:
	v_cmp_lt_i16_e64 s[10:11], s18, 2
	s_mov_b64 s[0:1], -1
	s_and_b64 vcc, exec, s[10:11]
	s_cbranch_vccnz .LBB87_1775
; %bb.1766:
	v_cmp_lt_i16_e64 s[10:11], s18, 3
	s_and_b64 vcc, exec, s[10:11]
	s_cbranch_vccnz .LBB87_1772
; %bb.1767:
	v_cmp_gt_i16_e64 s[10:11], s18, 3
	s_and_b64 vcc, exec, s[10:11]
	s_cbranch_vccz .LBB87_1769
; %bb.1768:
	v_trunc_f32_e32 v1, v8
	s_mov_b32 s0, 0x2f800000
	v_mul_f32_e64 v5, |v1|, s0
	v_floor_f32_e32 v5, v5
	s_mov_b32 s0, 0xcf800000
	v_cvt_u32_f32_e32 v9, v5
	v_fma_f32 v5, v5, s0, |v1|
	v_cvt_u32_f32_e32 v5, v5
	v_ashrrev_i32_e32 v1, 31, v1
	v_xor_b32_e32 v9, v9, v1
	s_mov_b64 s[0:1], 0
	v_xor_b32_e32 v5, v5, v1
	v_sub_co_u32_e32 v14, vcc, v5, v1
	v_subb_co_u32_e32 v15, vcc, v9, v1, vcc
	global_store_dwordx2 v[6:7], v[14:15], off
.LBB87_1769:
	s_andn2_b64 vcc, exec, s[0:1]
	s_cbranch_vccnz .LBB87_1771
; %bb.1770:
	v_cvt_i32_f32_e32 v1, v8
	global_store_dword v[6:7], v1, off
.LBB87_1771:
	s_mov_b64 s[0:1], 0
.LBB87_1772:
	s_andn2_b64 vcc, exec, s[0:1]
	s_cbranch_vccnz .LBB87_1774
; %bb.1773:
	v_cvt_i32_f32_e32 v1, v8
	global_store_short v[6:7], v1, off
.LBB87_1774:
	s_mov_b64 s[0:1], 0
.LBB87_1775:
	s_andn2_b64 vcc, exec, s[0:1]
	s_cbranch_vccnz .LBB87_1780
; %bb.1776:
	v_cmp_gt_i16_e64 s[10:11], s18, 0
	s_mov_b64 s[0:1], -1
	s_and_b64 vcc, exec, s[10:11]
	s_cbranch_vccz .LBB87_1778
; %bb.1777:
	v_cvt_i32_f32_e32 v1, v8
	s_mov_b64 s[0:1], 0
	global_store_byte v[6:7], v1, off
.LBB87_1778:
	s_andn2_b64 vcc, exec, s[0:1]
	s_cbranch_vccnz .LBB87_1780
; %bb.1779:
	v_trunc_f32_e32 v1, v8
	s_mov_b32 s0, 0x2f800000
	v_mul_f32_e64 v5, |v1|, s0
	v_floor_f32_e32 v5, v5
	s_mov_b32 s0, 0xcf800000
	v_fma_f32 v5, v5, s0, |v1|
	v_cvt_u32_f32_e32 v5, v5
	v_ashrrev_i32_e32 v1, 31, v1
	v_xor_b32_e32 v5, v5, v1
	v_sub_u32_e32 v1, v5, v1
	global_store_byte v[6:7], v1, off
.LBB87_1780:
	s_mov_b64 s[12:13], -1
.LBB87_1781:
	s_andn2_b64 vcc, exec, s[12:13]
	s_cbranch_vccnz .LBB87_2044
; %bb.1782:
	s_brev_b32 s0, -2
	v_mov_b32_e32 v1, s4
	v_bfi_b32 v6, s0, v3, v1
	v_mov_b32_e32 v1, s9
	v_add_co_u32_e32 v4, vcc, s8, v4
	v_addc_co_u32_e32 v5, vcc, 0, v1, vcc
	s_and_b64 vcc, exec, s[6:7]
	s_cbranch_vccnz .LBB87_1789
; %bb.1783:
	v_cmp_gt_i16_e64 s[0:1], s18, 25
	s_mov_b64 s[14:15], -1
	s_mov_b64 s[10:11], 0
	s_and_b64 vcc, exec, s[0:1]
	s_mov_b64 s[12:13], 0
	s_mov_b64 s[0:1], 0
	s_cbranch_vccz .LBB87_1825
; %bb.1784:
	v_cmp_gt_i16_e64 s[0:1], s18, 28
	s_and_b64 vcc, exec, s[0:1]
	s_cbranch_vccz .LBB87_1790
; %bb.1785:
	v_cmp_gt_i16_e64 s[0:1], s18, 43
	s_and_b64 vcc, exec, s[0:1]
	;; [unrolled: 4-line block ×3, first 2 shown]
	s_cbranch_vccz .LBB87_1797
; %bb.1787:
	v_cmp_eq_u16_e64 s[12:13], s18, 46
	s_mov_b64 s[0:1], -1
	s_mov_b64 s[14:15], 0
	s_and_b64 vcc, exec, s[12:13]
	s_mov_b64 s[12:13], 0
	s_cbranch_vccz .LBB87_1798
; %bb.1788:
	v_bfe_u32 v1, v6, 16, 1
	s_movk_i32 s0, 0x7fff
	v_add3_u32 v1, v6, v1, s0
	v_lshrrev_b32_e32 v1, 16, v1
	v_mov_b32_e32 v7, 0x7fc0
	v_cmp_o_f32_e32 vcc, v6, v6
	v_cndmask_b32_e32 v1, v7, v1, vcc
	global_store_dword v[4:5], v1, off
	s_mov_b64 s[0:1], 0
	s_mov_b64 s[12:13], -1
	s_branch .LBB87_1798
.LBB87_1789:
	s_mov_b64 s[0:1], -1
	s_mov_b64 s[12:13], 0
	s_branch .LBB87_1869
.LBB87_1790:
	s_mov_b64 s[0:1], 0
	s_branch .LBB87_1808
.LBB87_1791:
	s_or_saveexec_b64 s[16:17], s[16:17]
                                        ; implicit-def: $sgpr5
	s_xor_b64 exec, exec, s[16:17]
	s_cbranch_execz .LBB87_1692
.LBB87_1792:
	s_mov_b32 s5, 0x46000000
	v_add_f32_e64 v5, |v1|, s5
	v_and_b32_e32 v5, 0xff, v5
	v_cmp_ne_u32_e32 vcc, 0, v5
	s_andn2_b64 s[14:15], s[14:15], exec
	s_and_b64 s[20:21], vcc, exec
	s_mov_b32 s5, 0
	s_or_b64 s[14:15], s[14:15], s[20:21]
	s_or_b64 exec, exec, s[16:17]
	v_mov_b32_e32 v9, s5
	s_and_saveexec_b64 s[16:17], s[14:15]
	s_cbranch_execnz .LBB87_1693
	s_branch .LBB87_1694
.LBB87_1793:
	s_mov_b64 s[0:1], 0
	s_branch .LBB87_1804
.LBB87_1794:
	s_trap 2
	s_or_b64 s[2:3], s[2:3], exec
	s_cbranch_execz .LBB87_1740
	s_branch .LBB87_1741
.LBB87_1795:
	s_or_saveexec_b64 s[14:15], s[14:15]
                                        ; implicit-def: $sgpr5
	s_xor_b64 exec, exec, s[14:15]
	s_cbranch_execz .LBB87_1705
.LBB87_1796:
	s_mov_b32 s5, 0x42800000
	v_add_f32_e64 v5, |v1|, s5
	v_and_b32_e32 v5, 0xff, v5
	v_cmp_ne_u32_e32 vcc, 0, v5
	s_andn2_b64 s[12:13], s[12:13], exec
	s_and_b64 s[16:17], vcc, exec
	s_mov_b32 s5, 0
	s_or_b64 s[12:13], s[12:13], s[16:17]
	s_or_b64 exec, exec, s[14:15]
	v_mov_b32_e32 v9, s5
	s_and_saveexec_b64 s[14:15], s[12:13]
	s_cbranch_execnz .LBB87_1706
	s_branch .LBB87_1707
.LBB87_1797:
	s_mov_b64 s[0:1], 0
.LBB87_1798:
	s_and_b64 vcc, exec, s[14:15]
	s_cbranch_vccz .LBB87_1803
; %bb.1799:
	v_cmp_eq_u16_e64 s[14:15], s18, 44
	s_mov_b64 s[0:1], -1
	s_and_b64 vcc, exec, s[14:15]
	s_cbranch_vccz .LBB87_1803
; %bb.1800:
	v_bfe_u32 v1, v6, 23, 8
	s_movk_i32 s0, 0xff
	v_cmp_ne_u32_e32 vcc, s0, v1
	v_mov_b32_e32 v7, 0xff
	s_and_saveexec_b64 s[12:13], vcc
; %bb.1801:
	s_mov_b32 s0, 0x3fffff
	v_and_b32_e32 v8, 0x400000, v6
	v_and_or_b32 v1, v6, s0, v1
	v_cmp_ne_u32_e32 vcc, 0, v8
	v_cmp_ne_u32_e64 s[0:1], 0, v1
	s_and_b64 s[0:1], vcc, s[0:1]
	v_lshrrev_b32_e32 v7, 23, v6
	v_cndmask_b32_e64 v1, 0, 1, s[0:1]
	v_add_u32_e32 v7, v7, v1
; %bb.1802:
	s_or_b64 exec, exec, s[12:13]
	s_mov_b64 s[0:1], 0
	s_mov_b64 s[12:13], -1
	global_store_byte v[4:5], v7, off
.LBB87_1803:
	s_mov_b64 s[14:15], 0
.LBB87_1804:
	s_and_b64 vcc, exec, s[14:15]
	s_cbranch_vccz .LBB87_1807
; %bb.1805:
	v_cmp_eq_u16_e64 s[14:15], s18, 29
	s_mov_b64 s[0:1], -1
	s_and_b64 vcc, exec, s[14:15]
	s_cbranch_vccz .LBB87_1807
; %bb.1806:
	v_trunc_f32_e32 v1, v6
	v_mul_f32_e32 v7, 0x2f800000, v1
	v_floor_f32_e32 v7, v7
	v_fmac_f32_e32 v1, 0xcf800000, v7
	v_cvt_u32_f32_e32 v9, v7
	v_cvt_u32_f32_e32 v8, v1
	s_mov_b64 s[0:1], 0
	s_mov_b64 s[12:13], -1
	s_mov_b64 s[14:15], 0
	global_store_dwordx2 v[4:5], v[8:9], off
	s_branch .LBB87_1808
.LBB87_1807:
	s_mov_b64 s[14:15], 0
.LBB87_1808:
	s_and_b64 vcc, exec, s[14:15]
	s_cbranch_vccz .LBB87_1824
; %bb.1809:
	v_cmp_lt_i16_e64 s[14:15], s18, 27
	s_mov_b64 s[12:13], -1
	s_and_b64 vcc, exec, s[14:15]
	s_cbranch_vccnz .LBB87_1815
; %bb.1810:
	v_cmp_gt_i16_e64 s[14:15], s18, 27
	s_and_b64 vcc, exec, s[14:15]
	s_cbranch_vccz .LBB87_1812
; %bb.1811:
	v_cvt_u32_f32_e32 v1, v6
	s_mov_b64 s[12:13], 0
	global_store_dword v[4:5], v1, off
.LBB87_1812:
	s_andn2_b64 vcc, exec, s[12:13]
	s_cbranch_vccnz .LBB87_1814
; %bb.1813:
	v_cvt_u32_f32_e32 v1, v6
	global_store_short v[4:5], v1, off
.LBB87_1814:
	s_mov_b64 s[12:13], 0
.LBB87_1815:
	s_andn2_b64 vcc, exec, s[12:13]
	s_cbranch_vccnz .LBB87_1823
; %bb.1816:
	v_and_b32_e32 v1, 0x7fffffff, v3
	s_mov_b32 s5, 0x43800000
	v_cmp_gt_u32_e32 vcc, s5, v1
	v_mov_b32_e32 v7, 0x80
	s_and_saveexec_b64 s[12:13], vcc
	s_cbranch_execz .LBB87_1822
; %bb.1817:
	s_mov_b32 s5, 0x3bffffff
	v_cmp_lt_u32_e32 vcc, s5, v1
	s_mov_b64 s[14:15], 0
                                        ; implicit-def: $vgpr1
	s_and_saveexec_b64 s[16:17], vcc
	s_xor_b64 s[16:17], exec, s[16:17]
	s_cbranch_execz .LBB87_1918
; %bb.1818:
	v_bfe_u32 v1, v6, 20, 1
	s_mov_b32 s5, 0x487ffff
	v_add3_u32 v1, v6, v1, s5
	s_mov_b64 s[14:15], exec
	v_lshrrev_b32_e32 v1, 20, v1
	s_or_saveexec_b64 s[16:17], s[16:17]
                                        ; implicit-def: $sgpr5
	s_xor_b64 exec, exec, s[16:17]
	s_cbranch_execnz .LBB87_1919
.LBB87_1819:
	s_or_b64 exec, exec, s[16:17]
	v_mov_b32_e32 v7, s5
	s_and_saveexec_b64 s[16:17], s[14:15]
.LBB87_1820:
	v_lshrrev_b32_e32 v7, 24, v6
	s_movk_i32 s5, 0x80
	v_and_or_b32 v7, v7, s5, v1
.LBB87_1821:
	s_or_b64 exec, exec, s[16:17]
.LBB87_1822:
	s_or_b64 exec, exec, s[12:13]
	global_store_byte v[4:5], v7, off
.LBB87_1823:
	s_mov_b64 s[12:13], -1
.LBB87_1824:
	s_mov_b64 s[14:15], 0
.LBB87_1825:
	s_and_b64 vcc, exec, s[14:15]
	s_cbranch_vccz .LBB87_1865
; %bb.1826:
	v_cmp_gt_i16_e64 s[14:15], s18, 22
	s_mov_b64 s[10:11], -1
	s_and_b64 vcc, exec, s[14:15]
	s_cbranch_vccz .LBB87_1858
; %bb.1827:
	v_cmp_lt_i16_e64 s[12:13], s18, 24
	s_and_b64 vcc, exec, s[12:13]
	s_cbranch_vccnz .LBB87_1847
; %bb.1828:
	v_cmp_gt_i16_e64 s[12:13], s18, 24
	s_and_b64 vcc, exec, s[12:13]
	s_cbranch_vccz .LBB87_1836
; %bb.1829:
	v_and_b32_e32 v1, 0x7fffffff, v3
	s_mov_b32 s5, 0x47800000
	v_cmp_gt_u32_e32 vcc, s5, v1
	v_mov_b32_e32 v7, 0x80
	s_and_saveexec_b64 s[10:11], vcc
	s_cbranch_execz .LBB87_1835
; %bb.1830:
	s_mov_b32 s5, 0x37ffffff
	v_cmp_lt_u32_e32 vcc, s5, v1
	s_mov_b64 s[12:13], 0
                                        ; implicit-def: $vgpr1
	s_and_saveexec_b64 s[14:15], vcc
	s_xor_b64 s[14:15], exec, s[14:15]
	s_cbranch_execz .LBB87_1922
; %bb.1831:
	v_bfe_u32 v1, v6, 21, 1
	s_mov_b32 s5, 0x88fffff
	v_add3_u32 v1, v6, v1, s5
	s_mov_b64 s[12:13], exec
	v_lshrrev_b32_e32 v1, 21, v1
	s_or_saveexec_b64 s[14:15], s[14:15]
                                        ; implicit-def: $sgpr5
	s_xor_b64 exec, exec, s[14:15]
	s_cbranch_execnz .LBB87_1923
.LBB87_1832:
	s_or_b64 exec, exec, s[14:15]
	v_mov_b32_e32 v7, s5
	s_and_saveexec_b64 s[14:15], s[12:13]
.LBB87_1833:
	v_lshrrev_b32_e32 v7, 24, v6
	s_movk_i32 s5, 0x80
	v_and_or_b32 v7, v7, s5, v1
.LBB87_1834:
	s_or_b64 exec, exec, s[14:15]
.LBB87_1835:
	s_or_b64 exec, exec, s[10:11]
	s_mov_b64 s[10:11], 0
	global_store_byte v[4:5], v7, off
.LBB87_1836:
	s_and_b64 vcc, exec, s[10:11]
	s_cbranch_vccz .LBB87_1846
; %bb.1837:
	v_and_b32_e32 v7, 0x7fffffff, v3
	s_mov_b32 s5, 0x43f00000
	v_cmp_gt_u32_e32 vcc, s5, v7
                                        ; implicit-def: $vgpr1
	s_and_saveexec_b64 s[10:11], vcc
	s_xor_b64 s[10:11], exec, s[10:11]
	s_cbranch_execz .LBB87_1843
; %bb.1838:
	s_mov_b32 s5, 0x3c7fffff
	v_cmp_lt_u32_e32 vcc, s5, v7
                                        ; implicit-def: $vgpr1
	s_and_saveexec_b64 s[12:13], vcc
	s_xor_b64 s[12:13], exec, s[12:13]
; %bb.1839:
	v_bfe_u32 v1, v6, 20, 1
	s_mov_b32 s5, 0x407ffff
	v_add3_u32 v1, v6, v1, s5
	v_lshrrev_b32_e32 v7, 20, v1
	v_and_b32_e32 v1, 0xff00000, v1
	s_mov_b32 s5, 0x7f00000
	v_mov_b32_e32 v8, 0x7e
	v_cmp_ne_u32_e32 vcc, s5, v1
	v_cndmask_b32_e32 v1, v8, v7, vcc
; %bb.1840:
	s_andn2_saveexec_b64 s[12:13], s[12:13]
; %bb.1841:
	s_mov_b32 s5, 0x46800000
	v_add_f32_e64 v1, |v3|, s5
; %bb.1842:
	s_or_b64 exec, exec, s[12:13]
                                        ; implicit-def: $vgpr7
.LBB87_1843:
	s_andn2_saveexec_b64 s[10:11], s[10:11]
; %bb.1844:
	s_mov_b32 s5, 0x7f800000
	v_mov_b32_e32 v1, 0x7e
	v_mov_b32_e32 v8, 0x7f
	v_cmp_lt_u32_e32 vcc, s5, v7
	v_cndmask_b32_e32 v1, v1, v8, vcc
; %bb.1845:
	s_or_b64 exec, exec, s[10:11]
	v_lshrrev_b32_e32 v7, 24, v6
	s_movk_i32 s5, 0x80
	v_and_or_b32 v1, v7, s5, v1
	global_store_byte v[4:5], v1, off
.LBB87_1846:
	s_mov_b64 s[10:11], 0
.LBB87_1847:
	s_andn2_b64 vcc, exec, s[10:11]
	s_cbranch_vccnz .LBB87_1857
; %bb.1848:
	v_and_b32_e32 v7, 0x7fffffff, v3
	s_mov_b32 s5, 0x47800000
	v_cmp_gt_u32_e32 vcc, s5, v7
                                        ; implicit-def: $vgpr1
	s_and_saveexec_b64 s[10:11], vcc
	s_xor_b64 s[10:11], exec, s[10:11]
	s_cbranch_execz .LBB87_1854
; %bb.1849:
	s_mov_b32 s5, 0x387fffff
	v_cmp_lt_u32_e32 vcc, s5, v7
                                        ; implicit-def: $vgpr1
	s_and_saveexec_b64 s[12:13], vcc
	s_xor_b64 s[12:13], exec, s[12:13]
; %bb.1850:
	v_bfe_u32 v1, v6, 21, 1
	s_mov_b32 s5, 0x80fffff
	v_add3_u32 v1, v6, v1, s5
	v_lshrrev_b32_e32 v1, 21, v1
                                        ; implicit-def: $vgpr3
; %bb.1851:
	s_andn2_saveexec_b64 s[12:13], s[12:13]
; %bb.1852:
	s_mov_b32 s5, 0x43000000
	v_add_f32_e64 v1, |v3|, s5
; %bb.1853:
	s_or_b64 exec, exec, s[12:13]
                                        ; implicit-def: $vgpr7
.LBB87_1854:
	s_andn2_saveexec_b64 s[10:11], s[10:11]
; %bb.1855:
	s_mov_b32 s5, 0x7f800000
	v_mov_b32_e32 v1, 0x7c
	v_mov_b32_e32 v3, 0x7f
	v_cmp_lt_u32_e32 vcc, s5, v7
	v_cndmask_b32_e32 v1, v1, v3, vcc
; %bb.1856:
	s_or_b64 exec, exec, s[10:11]
	v_lshrrev_b32_e32 v3, 24, v6
	s_movk_i32 s5, 0x80
	v_and_or_b32 v1, v3, s5, v1
	global_store_byte v[4:5], v1, off
.LBB87_1857:
	s_mov_b64 s[10:11], 0
	s_mov_b64 s[12:13], -1
.LBB87_1858:
	s_andn2_b64 vcc, exec, s[10:11]
	s_mov_b64 s[10:11], 0
	s_cbranch_vccnz .LBB87_1865
; %bb.1859:
	v_cmp_gt_i16_e64 s[10:11], s18, 14
	s_mov_b64 s[14:15], -1
	s_and_b64 vcc, exec, s[10:11]
	s_cbranch_vccz .LBB87_1863
; %bb.1860:
	v_cmp_eq_u16_e64 s[10:11], s18, 15
	s_mov_b64 s[0:1], -1
	s_and_b64 vcc, exec, s[10:11]
	s_cbranch_vccz .LBB87_1862
; %bb.1861:
	v_bfe_u32 v1, v6, 16, 1
	s_movk_i32 s0, 0x7fff
	v_add3_u32 v1, v6, v1, s0
	v_lshrrev_b32_e32 v1, 16, v1
	v_mov_b32_e32 v3, 0x7fc0
	v_cmp_o_f32_e32 vcc, v6, v6
	v_cndmask_b32_e32 v1, v3, v1, vcc
	global_store_short v[4:5], v1, off
	s_mov_b64 s[0:1], 0
	s_mov_b64 s[12:13], -1
.LBB87_1862:
	s_mov_b64 s[14:15], 0
.LBB87_1863:
	s_mov_b64 s[10:11], 0
	s_and_b64 vcc, exec, s[14:15]
	s_cbranch_vccz .LBB87_1865
; %bb.1864:
	v_cmp_ne_u16_e64 s[0:1], s18, 11
	s_mov_b64 s[10:11], -1
.LBB87_1865:
	s_and_b64 vcc, exec, s[0:1]
	s_cbranch_vccnz .LBB87_1921
; %bb.1866:
	s_andn2_b64 vcc, exec, s[10:11]
	s_cbranch_vccnz .LBB87_1868
.LBB87_1867:
	v_cmp_neq_f32_e32 vcc, 0, v6
	v_cndmask_b32_e64 v1, 0, 1, vcc
	s_mov_b64 s[12:13], -1
	global_store_byte v[4:5], v1, off
.LBB87_1868:
	s_mov_b64 s[0:1], 0
.LBB87_1869:
	s_and_b64 vcc, exec, s[0:1]
	s_cbranch_vccz .LBB87_1908
; %bb.1870:
	v_cmp_lt_i16_e64 s[10:11], s18, 5
	s_mov_b64 s[0:1], -1
	s_and_b64 vcc, exec, s[10:11]
	s_cbranch_vccnz .LBB87_1891
; %bb.1871:
	v_cmp_lt_i16_e64 s[10:11], s18, 8
	s_and_b64 vcc, exec, s[10:11]
	s_cbranch_vccnz .LBB87_1881
; %bb.1872:
	v_cmp_lt_i16_e64 s[10:11], s18, 9
	s_and_b64 vcc, exec, s[10:11]
	s_cbranch_vccnz .LBB87_1878
; %bb.1873:
	v_cmp_gt_i16_e64 s[10:11], s18, 9
	s_and_b64 vcc, exec, s[10:11]
	s_cbranch_vccz .LBB87_1875
; %bb.1874:
	v_mov_b32_e32 v16, 0
	v_cvt_f64_f32_e32 v[14:15], v6
	v_mov_b32_e32 v17, v16
	global_store_dwordx4 v[4:5], v[14:17], off
	s_mov_b64 s[0:1], 0
.LBB87_1875:
	s_andn2_b64 vcc, exec, s[0:1]
	s_cbranch_vccnz .LBB87_1877
; %bb.1876:
	v_mov_b32_e32 v7, 0
	global_store_dwordx2 v[4:5], v[6:7], off
.LBB87_1877:
	s_mov_b64 s[0:1], 0
.LBB87_1878:
	s_andn2_b64 vcc, exec, s[0:1]
	s_cbranch_vccnz .LBB87_1880
; %bb.1879:
	v_cvt_f16_f32_e32 v1, v6
	global_store_dword v[4:5], v1, off
.LBB87_1880:
	s_mov_b64 s[0:1], 0
.LBB87_1881:
	s_andn2_b64 vcc, exec, s[0:1]
	s_cbranch_vccnz .LBB87_1890
; %bb.1882:
	v_cmp_lt_i16_e64 s[10:11], s18, 6
	s_mov_b64 s[0:1], -1
	s_and_b64 vcc, exec, s[10:11]
	s_cbranch_vccnz .LBB87_1888
; %bb.1883:
	v_cmp_gt_i16_e64 s[10:11], s18, 6
	s_and_b64 vcc, exec, s[10:11]
	s_cbranch_vccz .LBB87_1885
; %bb.1884:
	v_cvt_f64_f32_e32 v[8:9], v6
	global_store_dwordx2 v[4:5], v[8:9], off
	s_mov_b64 s[0:1], 0
.LBB87_1885:
	s_andn2_b64 vcc, exec, s[0:1]
	s_cbranch_vccnz .LBB87_1887
; %bb.1886:
	global_store_dword v[4:5], v6, off
.LBB87_1887:
	s_mov_b64 s[0:1], 0
.LBB87_1888:
	s_andn2_b64 vcc, exec, s[0:1]
	s_cbranch_vccnz .LBB87_1890
; %bb.1889:
	v_cvt_f16_f32_e32 v1, v6
	global_store_short v[4:5], v1, off
.LBB87_1890:
	s_mov_b64 s[0:1], 0
.LBB87_1891:
	s_andn2_b64 vcc, exec, s[0:1]
	s_cbranch_vccnz .LBB87_1907
; %bb.1892:
	v_cmp_lt_i16_e64 s[10:11], s18, 2
	s_mov_b64 s[0:1], -1
	s_and_b64 vcc, exec, s[10:11]
	s_cbranch_vccnz .LBB87_1902
; %bb.1893:
	v_cmp_lt_i16_e64 s[10:11], s18, 3
	s_and_b64 vcc, exec, s[10:11]
	s_cbranch_vccnz .LBB87_1899
; %bb.1894:
	v_cmp_gt_i16_e64 s[10:11], s18, 3
	s_and_b64 vcc, exec, s[10:11]
	s_cbranch_vccz .LBB87_1896
; %bb.1895:
	v_trunc_f32_e32 v1, v6
	s_mov_b32 s0, 0x2f800000
	v_mul_f32_e64 v3, |v1|, s0
	v_floor_f32_e32 v3, v3
	s_mov_b32 s0, 0xcf800000
	v_cvt_u32_f32_e32 v7, v3
	v_fma_f32 v3, v3, s0, |v1|
	v_cvt_u32_f32_e32 v3, v3
	v_ashrrev_i32_e32 v1, 31, v1
	v_xor_b32_e32 v7, v7, v1
	s_mov_b64 s[0:1], 0
	v_xor_b32_e32 v3, v3, v1
	v_sub_co_u32_e32 v8, vcc, v3, v1
	v_subb_co_u32_e32 v9, vcc, v7, v1, vcc
	global_store_dwordx2 v[4:5], v[8:9], off
.LBB87_1896:
	s_andn2_b64 vcc, exec, s[0:1]
	s_cbranch_vccnz .LBB87_1898
; %bb.1897:
	v_cvt_i32_f32_e32 v1, v6
	global_store_dword v[4:5], v1, off
.LBB87_1898:
	s_mov_b64 s[0:1], 0
.LBB87_1899:
	s_andn2_b64 vcc, exec, s[0:1]
	s_cbranch_vccnz .LBB87_1901
; %bb.1900:
	v_cvt_i32_f32_e32 v1, v6
	global_store_short v[4:5], v1, off
.LBB87_1901:
	s_mov_b64 s[0:1], 0
.LBB87_1902:
	s_andn2_b64 vcc, exec, s[0:1]
	s_cbranch_vccnz .LBB87_1907
; %bb.1903:
	v_cmp_gt_i16_e64 s[10:11], s18, 0
	s_mov_b64 s[0:1], -1
	s_and_b64 vcc, exec, s[10:11]
	s_cbranch_vccz .LBB87_1905
; %bb.1904:
	v_cvt_i32_f32_e32 v1, v6
	s_mov_b64 s[0:1], 0
	global_store_byte v[4:5], v1, off
.LBB87_1905:
	s_andn2_b64 vcc, exec, s[0:1]
	s_cbranch_vccnz .LBB87_1907
; %bb.1906:
	v_trunc_f32_e32 v1, v6
	s_mov_b32 s0, 0x2f800000
	v_mul_f32_e64 v3, |v1|, s0
	v_floor_f32_e32 v3, v3
	s_mov_b32 s0, 0xcf800000
	v_fma_f32 v3, v3, s0, |v1|
	v_cvt_u32_f32_e32 v3, v3
	v_ashrrev_i32_e32 v1, 31, v1
	v_xor_b32_e32 v3, v3, v1
	v_sub_u32_e32 v1, v3, v1
	global_store_byte v[4:5], v1, off
.LBB87_1907:
	s_mov_b64 s[12:13], -1
.LBB87_1908:
	s_andn2_b64 vcc, exec, s[12:13]
	s_cbranch_vccnz .LBB87_2044
; %bb.1909:
	s_brev_b32 s0, -2
	v_mov_b32_e32 v1, s4
	v_bfi_b32 v4, s0, v12, v1
	v_mov_b32_e32 v1, s9
	v_add_co_u32_e32 v2, vcc, s8, v2
	v_addc_co_u32_e32 v3, vcc, 0, v1, vcc
	s_and_b64 vcc, exec, s[6:7]
	s_cbranch_vccnz .LBB87_1916
; %bb.1910:
	v_cmp_gt_i16_e64 s[0:1], s18, 25
	s_mov_b64 s[14:15], -1
	s_mov_b64 s[10:11], 0
	s_and_b64 vcc, exec, s[0:1]
	s_mov_b64 s[12:13], 0
	s_mov_b64 s[0:1], 0
	s_cbranch_vccz .LBB87_1952
; %bb.1911:
	v_cmp_gt_i16_e64 s[0:1], s18, 28
	s_and_b64 vcc, exec, s[0:1]
	s_cbranch_vccz .LBB87_1917
; %bb.1912:
	v_cmp_gt_i16_e64 s[0:1], s18, 43
	s_and_b64 vcc, exec, s[0:1]
	;; [unrolled: 4-line block ×3, first 2 shown]
	s_cbranch_vccz .LBB87_1924
; %bb.1914:
	v_cmp_eq_u16_e64 s[12:13], s18, 46
	s_mov_b64 s[0:1], -1
	s_mov_b64 s[14:15], 0
	s_and_b64 vcc, exec, s[12:13]
	s_mov_b64 s[12:13], 0
	s_cbranch_vccz .LBB87_1925
; %bb.1915:
	v_bfe_u32 v1, v4, 16, 1
	s_movk_i32 s0, 0x7fff
	v_add3_u32 v1, v4, v1, s0
	v_lshrrev_b32_e32 v1, 16, v1
	v_mov_b32_e32 v5, 0x7fc0
	v_cmp_o_f32_e32 vcc, v4, v4
	v_cndmask_b32_e32 v1, v5, v1, vcc
	global_store_dword v[2:3], v1, off
	s_mov_b64 s[0:1], 0
	s_mov_b64 s[12:13], -1
	s_branch .LBB87_1925
.LBB87_1916:
	s_mov_b64 s[0:1], -1
	s_mov_b64 s[12:13], 0
	s_branch .LBB87_1996
.LBB87_1917:
	s_mov_b64 s[0:1], 0
	s_branch .LBB87_1935
.LBB87_1918:
	s_or_saveexec_b64 s[16:17], s[16:17]
                                        ; implicit-def: $sgpr5
	s_xor_b64 exec, exec, s[16:17]
	s_cbranch_execz .LBB87_1819
.LBB87_1919:
	s_mov_b32 s5, 0x46000000
	v_add_f32_e64 v1, |v3|, s5
	v_and_b32_e32 v1, 0xff, v1
	v_cmp_ne_u32_e32 vcc, 0, v1
	s_andn2_b64 s[14:15], s[14:15], exec
	s_and_b64 s[20:21], vcc, exec
	s_mov_b32 s5, 0
	s_or_b64 s[14:15], s[14:15], s[20:21]
	s_or_b64 exec, exec, s[16:17]
	v_mov_b32_e32 v7, s5
	s_and_saveexec_b64 s[16:17], s[14:15]
	s_cbranch_execnz .LBB87_1820
	s_branch .LBB87_1821
.LBB87_1920:
	s_mov_b64 s[0:1], 0
	s_branch .LBB87_1931
.LBB87_1921:
	s_trap 2
	s_or_b64 s[2:3], s[2:3], exec
	s_cbranch_execz .LBB87_1867
	s_branch .LBB87_1868
.LBB87_1922:
	s_or_saveexec_b64 s[14:15], s[14:15]
                                        ; implicit-def: $sgpr5
	s_xor_b64 exec, exec, s[14:15]
	s_cbranch_execz .LBB87_1832
.LBB87_1923:
	s_mov_b32 s5, 0x42800000
	v_add_f32_e64 v1, |v3|, s5
	v_and_b32_e32 v1, 0xff, v1
	v_cmp_ne_u32_e32 vcc, 0, v1
	s_andn2_b64 s[12:13], s[12:13], exec
	s_and_b64 s[16:17], vcc, exec
	s_mov_b32 s5, 0
	s_or_b64 s[12:13], s[12:13], s[16:17]
	s_or_b64 exec, exec, s[14:15]
	v_mov_b32_e32 v7, s5
	s_and_saveexec_b64 s[14:15], s[12:13]
	s_cbranch_execnz .LBB87_1833
	s_branch .LBB87_1834
.LBB87_1924:
	s_mov_b64 s[0:1], 0
.LBB87_1925:
	s_and_b64 vcc, exec, s[14:15]
	s_cbranch_vccz .LBB87_1930
; %bb.1926:
	v_cmp_eq_u16_e64 s[14:15], s18, 44
	s_mov_b64 s[0:1], -1
	s_and_b64 vcc, exec, s[14:15]
	s_cbranch_vccz .LBB87_1930
; %bb.1927:
	v_bfe_u32 v1, v4, 23, 8
	s_movk_i32 s0, 0xff
	v_cmp_ne_u32_e32 vcc, s0, v1
	v_mov_b32_e32 v5, 0xff
	s_and_saveexec_b64 s[12:13], vcc
; %bb.1928:
	s_mov_b32 s0, 0x3fffff
	v_and_b32_e32 v6, 0x400000, v4
	v_and_or_b32 v1, v4, s0, v1
	v_cmp_ne_u32_e32 vcc, 0, v6
	v_cmp_ne_u32_e64 s[0:1], 0, v1
	s_and_b64 s[0:1], vcc, s[0:1]
	v_lshrrev_b32_e32 v5, 23, v4
	v_cndmask_b32_e64 v1, 0, 1, s[0:1]
	v_add_u32_e32 v5, v5, v1
; %bb.1929:
	s_or_b64 exec, exec, s[12:13]
	s_mov_b64 s[0:1], 0
	s_mov_b64 s[12:13], -1
	global_store_byte v[2:3], v5, off
.LBB87_1930:
	s_mov_b64 s[14:15], 0
.LBB87_1931:
	s_and_b64 vcc, exec, s[14:15]
	s_cbranch_vccz .LBB87_1934
; %bb.1932:
	v_cmp_eq_u16_e64 s[14:15], s18, 29
	s_mov_b64 s[0:1], -1
	s_and_b64 vcc, exec, s[14:15]
	s_cbranch_vccz .LBB87_1934
; %bb.1933:
	v_trunc_f32_e32 v1, v4
	v_mul_f32_e32 v5, 0x2f800000, v1
	v_floor_f32_e32 v5, v5
	v_fmac_f32_e32 v1, 0xcf800000, v5
	v_cvt_u32_f32_e32 v7, v5
	v_cvt_u32_f32_e32 v6, v1
	s_mov_b64 s[0:1], 0
	s_mov_b64 s[12:13], -1
	s_mov_b64 s[14:15], 0
	global_store_dwordx2 v[2:3], v[6:7], off
	s_branch .LBB87_1935
.LBB87_1934:
	s_mov_b64 s[14:15], 0
.LBB87_1935:
	s_and_b64 vcc, exec, s[14:15]
	s_cbranch_vccz .LBB87_1951
; %bb.1936:
	v_cmp_lt_i16_e64 s[14:15], s18, 27
	s_mov_b64 s[12:13], -1
	s_and_b64 vcc, exec, s[14:15]
	s_cbranch_vccnz .LBB87_1942
; %bb.1937:
	v_cvt_u32_f32_e32 v1, v4
	v_cmp_gt_i16_e64 s[14:15], s18, 27
	s_and_b64 vcc, exec, s[14:15]
	s_cbranch_vccz .LBB87_1939
; %bb.1938:
	s_mov_b64 s[12:13], 0
	global_store_dword v[2:3], v1, off
.LBB87_1939:
	s_andn2_b64 vcc, exec, s[12:13]
	s_cbranch_vccnz .LBB87_1941
; %bb.1940:
	global_store_short v[2:3], v1, off
.LBB87_1941:
	s_mov_b64 s[12:13], 0
.LBB87_1942:
	s_andn2_b64 vcc, exec, s[12:13]
	s_cbranch_vccnz .LBB87_1950
; %bb.1943:
	v_and_b32_e32 v1, 0x7fffffff, v12
	s_mov_b32 s5, 0x43800000
	v_cmp_gt_u32_e32 vcc, s5, v1
	v_mov_b32_e32 v5, 0x80
	s_and_saveexec_b64 s[12:13], vcc
	s_cbranch_execz .LBB87_1949
; %bb.1944:
	s_mov_b32 s5, 0x3bffffff
	v_cmp_lt_u32_e32 vcc, s5, v1
	s_mov_b64 s[14:15], 0
                                        ; implicit-def: $vgpr1
	s_and_saveexec_b64 s[16:17], vcc
	s_xor_b64 s[16:17], exec, s[16:17]
	s_cbranch_execz .LBB87_2091
; %bb.1945:
	v_bfe_u32 v1, v4, 20, 1
	s_mov_b32 s5, 0x487ffff
	v_add3_u32 v1, v4, v1, s5
	s_mov_b64 s[14:15], exec
	v_lshrrev_b32_e32 v1, 20, v1
	s_or_saveexec_b64 s[16:17], s[16:17]
                                        ; implicit-def: $sgpr5
	s_xor_b64 exec, exec, s[16:17]
	s_cbranch_execnz .LBB87_2092
.LBB87_1946:
	s_or_b64 exec, exec, s[16:17]
	v_mov_b32_e32 v5, s5
	s_and_saveexec_b64 s[16:17], s[14:15]
.LBB87_1947:
	v_lshrrev_b32_e32 v5, 24, v4
	s_movk_i32 s5, 0x80
	v_and_or_b32 v5, v5, s5, v1
.LBB87_1948:
	s_or_b64 exec, exec, s[16:17]
.LBB87_1949:
	s_or_b64 exec, exec, s[12:13]
	global_store_byte v[2:3], v5, off
.LBB87_1950:
	s_mov_b64 s[12:13], -1
.LBB87_1951:
	s_mov_b64 s[14:15], 0
.LBB87_1952:
	s_and_b64 vcc, exec, s[14:15]
	s_cbranch_vccz .LBB87_1992
; %bb.1953:
	v_cmp_gt_i16_e64 s[14:15], s18, 22
	s_mov_b64 s[10:11], -1
	s_and_b64 vcc, exec, s[14:15]
	s_cbranch_vccz .LBB87_1985
; %bb.1954:
	v_cmp_lt_i16_e64 s[12:13], s18, 24
	s_and_b64 vcc, exec, s[12:13]
	s_cbranch_vccnz .LBB87_1974
; %bb.1955:
	v_cmp_gt_i16_e64 s[12:13], s18, 24
	s_and_b64 vcc, exec, s[12:13]
	s_cbranch_vccz .LBB87_1963
; %bb.1956:
	v_and_b32_e32 v1, 0x7fffffff, v12
	s_mov_b32 s5, 0x47800000
	v_cmp_gt_u32_e32 vcc, s5, v1
	v_mov_b32_e32 v5, 0x80
	s_and_saveexec_b64 s[10:11], vcc
	s_cbranch_execz .LBB87_1962
; %bb.1957:
	s_mov_b32 s5, 0x37ffffff
	v_cmp_lt_u32_e32 vcc, s5, v1
	s_mov_b64 s[12:13], 0
                                        ; implicit-def: $vgpr1
	s_and_saveexec_b64 s[14:15], vcc
	s_xor_b64 s[14:15], exec, s[14:15]
	s_cbranch_execz .LBB87_2095
; %bb.1958:
	v_bfe_u32 v1, v4, 21, 1
	s_mov_b32 s5, 0x88fffff
	v_add3_u32 v1, v4, v1, s5
	s_mov_b64 s[12:13], exec
	v_lshrrev_b32_e32 v1, 21, v1
	s_or_saveexec_b64 s[14:15], s[14:15]
                                        ; implicit-def: $sgpr5
	s_xor_b64 exec, exec, s[14:15]
	s_cbranch_execnz .LBB87_2096
.LBB87_1959:
	s_or_b64 exec, exec, s[14:15]
	v_mov_b32_e32 v5, s5
	s_and_saveexec_b64 s[14:15], s[12:13]
.LBB87_1960:
	v_lshrrev_b32_e32 v5, 24, v4
	s_movk_i32 s5, 0x80
	v_and_or_b32 v5, v5, s5, v1
.LBB87_1961:
	s_or_b64 exec, exec, s[14:15]
.LBB87_1962:
	s_or_b64 exec, exec, s[10:11]
	s_mov_b64 s[10:11], 0
	global_store_byte v[2:3], v5, off
.LBB87_1963:
	s_and_b64 vcc, exec, s[10:11]
	s_cbranch_vccz .LBB87_1973
; %bb.1964:
	v_and_b32_e32 v5, 0x7fffffff, v12
	s_mov_b32 s5, 0x43f00000
	v_cmp_gt_u32_e32 vcc, s5, v5
                                        ; implicit-def: $vgpr1
	s_and_saveexec_b64 s[10:11], vcc
	s_xor_b64 s[10:11], exec, s[10:11]
	s_cbranch_execz .LBB87_1970
; %bb.1965:
	s_mov_b32 s5, 0x3c7fffff
	v_cmp_lt_u32_e32 vcc, s5, v5
                                        ; implicit-def: $vgpr1
	s_and_saveexec_b64 s[12:13], vcc
	s_xor_b64 s[12:13], exec, s[12:13]
; %bb.1966:
	v_bfe_u32 v1, v4, 20, 1
	s_mov_b32 s5, 0x407ffff
	v_add3_u32 v1, v4, v1, s5
	v_lshrrev_b32_e32 v5, 20, v1
	v_and_b32_e32 v1, 0xff00000, v1
	s_mov_b32 s5, 0x7f00000
	v_mov_b32_e32 v6, 0x7e
	v_cmp_ne_u32_e32 vcc, s5, v1
	v_cndmask_b32_e32 v1, v6, v5, vcc
; %bb.1967:
	s_andn2_saveexec_b64 s[12:13], s[12:13]
; %bb.1968:
	s_mov_b32 s5, 0x46800000
	v_add_f32_e64 v1, |v12|, s5
; %bb.1969:
	s_or_b64 exec, exec, s[12:13]
                                        ; implicit-def: $vgpr5
.LBB87_1970:
	s_andn2_saveexec_b64 s[10:11], s[10:11]
; %bb.1971:
	s_mov_b32 s5, 0x7f800000
	v_mov_b32_e32 v1, 0x7e
	v_mov_b32_e32 v6, 0x7f
	v_cmp_lt_u32_e32 vcc, s5, v5
	v_cndmask_b32_e32 v1, v1, v6, vcc
; %bb.1972:
	s_or_b64 exec, exec, s[10:11]
	v_lshrrev_b32_e32 v5, 24, v4
	s_movk_i32 s5, 0x80
	v_and_or_b32 v1, v5, s5, v1
	global_store_byte v[2:3], v1, off
.LBB87_1973:
	s_mov_b64 s[10:11], 0
.LBB87_1974:
	s_andn2_b64 vcc, exec, s[10:11]
	s_cbranch_vccnz .LBB87_1984
; %bb.1975:
	v_and_b32_e32 v5, 0x7fffffff, v12
	s_mov_b32 s5, 0x47800000
	v_cmp_gt_u32_e32 vcc, s5, v5
                                        ; implicit-def: $vgpr1
	s_and_saveexec_b64 s[10:11], vcc
	s_xor_b64 s[10:11], exec, s[10:11]
	s_cbranch_execz .LBB87_1981
; %bb.1976:
	s_mov_b32 s5, 0x387fffff
	v_cmp_lt_u32_e32 vcc, s5, v5
                                        ; implicit-def: $vgpr1
	s_and_saveexec_b64 s[12:13], vcc
	s_xor_b64 s[12:13], exec, s[12:13]
; %bb.1977:
	v_bfe_u32 v1, v4, 21, 1
	s_mov_b32 s5, 0x80fffff
	v_add3_u32 v1, v4, v1, s5
	v_lshrrev_b32_e32 v1, 21, v1
                                        ; implicit-def: $vgpr12
; %bb.1978:
	s_andn2_saveexec_b64 s[12:13], s[12:13]
; %bb.1979:
	s_mov_b32 s5, 0x43000000
	v_add_f32_e64 v1, |v12|, s5
; %bb.1980:
	s_or_b64 exec, exec, s[12:13]
                                        ; implicit-def: $vgpr5
.LBB87_1981:
	s_andn2_saveexec_b64 s[10:11], s[10:11]
; %bb.1982:
	s_mov_b32 s5, 0x7f800000
	v_mov_b32_e32 v1, 0x7c
	v_mov_b32_e32 v6, 0x7f
	v_cmp_lt_u32_e32 vcc, s5, v5
	v_cndmask_b32_e32 v1, v1, v6, vcc
; %bb.1983:
	s_or_b64 exec, exec, s[10:11]
	v_lshrrev_b32_e32 v5, 24, v4
	s_movk_i32 s5, 0x80
	v_and_or_b32 v1, v5, s5, v1
	global_store_byte v[2:3], v1, off
.LBB87_1984:
	s_mov_b64 s[10:11], 0
	s_mov_b64 s[12:13], -1
.LBB87_1985:
	s_andn2_b64 vcc, exec, s[10:11]
	s_mov_b64 s[10:11], 0
	s_cbranch_vccnz .LBB87_1992
; %bb.1986:
	v_cmp_gt_i16_e64 s[10:11], s18, 14
	s_mov_b64 s[14:15], -1
	s_and_b64 vcc, exec, s[10:11]
	s_cbranch_vccz .LBB87_1990
; %bb.1987:
	v_cmp_eq_u16_e64 s[10:11], s18, 15
	s_mov_b64 s[0:1], -1
	s_and_b64 vcc, exec, s[10:11]
	s_cbranch_vccz .LBB87_1989
; %bb.1988:
	v_bfe_u32 v1, v4, 16, 1
	s_movk_i32 s0, 0x7fff
	v_add3_u32 v1, v4, v1, s0
	v_lshrrev_b32_e32 v1, 16, v1
	v_mov_b32_e32 v5, 0x7fc0
	v_cmp_o_f32_e32 vcc, v4, v4
	v_cndmask_b32_e32 v1, v5, v1, vcc
	global_store_short v[2:3], v1, off
	s_mov_b64 s[0:1], 0
	s_mov_b64 s[12:13], -1
.LBB87_1989:
	s_mov_b64 s[14:15], 0
.LBB87_1990:
	s_mov_b64 s[10:11], 0
	s_and_b64 vcc, exec, s[14:15]
	s_cbranch_vccz .LBB87_1992
; %bb.1991:
	v_cmp_ne_u16_e64 s[0:1], s18, 11
	s_mov_b64 s[10:11], -1
.LBB87_1992:
	s_and_b64 vcc, exec, s[0:1]
	s_cbranch_vccnz .LBB87_2094
; %bb.1993:
	s_andn2_b64 vcc, exec, s[10:11]
	s_cbranch_vccnz .LBB87_1995
.LBB87_1994:
	v_cmp_neq_f32_e32 vcc, 0, v4
	v_cndmask_b32_e64 v1, 0, 1, vcc
	s_mov_b64 s[12:13], -1
	global_store_byte v[2:3], v1, off
.LBB87_1995:
	s_mov_b64 s[0:1], 0
.LBB87_1996:
	s_and_b64 vcc, exec, s[0:1]
	s_cbranch_vccz .LBB87_2035
; %bb.1997:
	v_cmp_lt_i16_e64 s[10:11], s18, 5
	s_mov_b64 s[0:1], -1
	s_and_b64 vcc, exec, s[10:11]
	s_cbranch_vccnz .LBB87_2018
; %bb.1998:
	v_cmp_lt_i16_e64 s[10:11], s18, 8
	s_and_b64 vcc, exec, s[10:11]
	s_cbranch_vccnz .LBB87_2008
; %bb.1999:
	v_cmp_lt_i16_e64 s[10:11], s18, 9
	s_and_b64 vcc, exec, s[10:11]
	s_cbranch_vccnz .LBB87_2005
; %bb.2000:
	v_cmp_gt_i16_e64 s[10:11], s18, 9
	s_and_b64 vcc, exec, s[10:11]
	s_cbranch_vccz .LBB87_2002
; %bb.2001:
	v_mov_b32_e32 v8, 0
	v_cvt_f64_f32_e32 v[6:7], v4
	v_mov_b32_e32 v9, v8
	global_store_dwordx4 v[2:3], v[6:9], off
	s_mov_b64 s[0:1], 0
.LBB87_2002:
	s_andn2_b64 vcc, exec, s[0:1]
	s_cbranch_vccnz .LBB87_2004
; %bb.2003:
	v_mov_b32_e32 v5, 0
	global_store_dwordx2 v[2:3], v[4:5], off
.LBB87_2004:
	s_mov_b64 s[0:1], 0
.LBB87_2005:
	s_andn2_b64 vcc, exec, s[0:1]
	s_cbranch_vccnz .LBB87_2007
; %bb.2006:
	v_cvt_f16_f32_e32 v1, v4
	global_store_dword v[2:3], v1, off
.LBB87_2007:
	s_mov_b64 s[0:1], 0
.LBB87_2008:
	s_andn2_b64 vcc, exec, s[0:1]
	s_cbranch_vccnz .LBB87_2017
; %bb.2009:
	v_cmp_lt_i16_e64 s[10:11], s18, 6
	s_mov_b64 s[0:1], -1
	s_and_b64 vcc, exec, s[10:11]
	s_cbranch_vccnz .LBB87_2015
; %bb.2010:
	v_cmp_gt_i16_e64 s[10:11], s18, 6
	s_and_b64 vcc, exec, s[10:11]
	s_cbranch_vccz .LBB87_2012
; %bb.2011:
	v_cvt_f64_f32_e32 v[6:7], v4
	global_store_dwordx2 v[2:3], v[6:7], off
	s_mov_b64 s[0:1], 0
.LBB87_2012:
	s_andn2_b64 vcc, exec, s[0:1]
	s_cbranch_vccnz .LBB87_2014
; %bb.2013:
	global_store_dword v[2:3], v4, off
.LBB87_2014:
	s_mov_b64 s[0:1], 0
.LBB87_2015:
	s_andn2_b64 vcc, exec, s[0:1]
	s_cbranch_vccnz .LBB87_2017
; %bb.2016:
	v_cvt_f16_f32_e32 v1, v4
	global_store_short v[2:3], v1, off
.LBB87_2017:
	s_mov_b64 s[0:1], 0
.LBB87_2018:
	s_andn2_b64 vcc, exec, s[0:1]
	s_cbranch_vccnz .LBB87_2034
; %bb.2019:
	v_cmp_lt_i16_e64 s[10:11], s18, 2
	s_mov_b64 s[0:1], -1
	s_and_b64 vcc, exec, s[10:11]
	s_cbranch_vccnz .LBB87_2029
; %bb.2020:
	v_cmp_lt_i16_e64 s[10:11], s18, 3
	s_and_b64 vcc, exec, s[10:11]
	s_cbranch_vccnz .LBB87_2026
; %bb.2021:
	v_cmp_gt_i16_e64 s[10:11], s18, 3
	s_and_b64 vcc, exec, s[10:11]
	s_cbranch_vccz .LBB87_2023
; %bb.2022:
	v_trunc_f32_e32 v1, v4
	s_mov_b32 s0, 0x2f800000
	v_mul_f32_e64 v5, |v1|, s0
	v_floor_f32_e32 v5, v5
	s_mov_b32 s0, 0xcf800000
	v_cvt_u32_f32_e32 v6, v5
	v_fma_f32 v5, v5, s0, |v1|
	v_cvt_u32_f32_e32 v5, v5
	v_ashrrev_i32_e32 v1, 31, v1
	v_xor_b32_e32 v7, v6, v1
	s_mov_b64 s[0:1], 0
	v_xor_b32_e32 v5, v5, v1
	v_sub_co_u32_e32 v6, vcc, v5, v1
	v_subb_co_u32_e32 v7, vcc, v7, v1, vcc
	global_store_dwordx2 v[2:3], v[6:7], off
.LBB87_2023:
	s_andn2_b64 vcc, exec, s[0:1]
	s_cbranch_vccnz .LBB87_2025
; %bb.2024:
	v_cvt_i32_f32_e32 v1, v4
	global_store_dword v[2:3], v1, off
.LBB87_2025:
	s_mov_b64 s[0:1], 0
.LBB87_2026:
	s_andn2_b64 vcc, exec, s[0:1]
	s_cbranch_vccnz .LBB87_2028
; %bb.2027:
	v_cvt_i32_f32_e32 v1, v4
	global_store_short v[2:3], v1, off
.LBB87_2028:
	s_mov_b64 s[0:1], 0
.LBB87_2029:
	s_andn2_b64 vcc, exec, s[0:1]
	s_cbranch_vccnz .LBB87_2034
; %bb.2030:
	v_cmp_gt_i16_e64 s[10:11], s18, 0
	s_mov_b64 s[0:1], -1
	s_and_b64 vcc, exec, s[10:11]
	s_cbranch_vccz .LBB87_2032
; %bb.2031:
	v_cvt_i32_f32_e32 v1, v4
	s_mov_b64 s[0:1], 0
	global_store_byte v[2:3], v1, off
.LBB87_2032:
	s_andn2_b64 vcc, exec, s[0:1]
	s_cbranch_vccnz .LBB87_2034
; %bb.2033:
	v_trunc_f32_e32 v1, v4
	s_mov_b32 s0, 0x2f800000
	v_mul_f32_e64 v4, |v1|, s0
	v_floor_f32_e32 v4, v4
	s_mov_b32 s0, 0xcf800000
	v_fma_f32 v4, v4, s0, |v1|
	v_cvt_u32_f32_e32 v4, v4
	v_ashrrev_i32_e32 v1, 31, v1
	v_xor_b32_e32 v4, v4, v1
	v_sub_u32_e32 v1, v4, v1
	global_store_byte v[2:3], v1, off
.LBB87_2034:
	s_mov_b64 s[12:13], -1
.LBB87_2035:
	s_andn2_b64 vcc, exec, s[12:13]
	s_cbranch_vccnz .LBB87_2044
; %bb.2036:
	s_brev_b32 s0, -2
	v_mov_b32_e32 v1, s4
	v_bfi_b32 v2, s0, v10, v1
	v_mov_b32_e32 v1, s9
	v_add_co_u32_e32 v0, vcc, s8, v0
	v_addc_co_u32_e32 v1, vcc, 0, v1, vcc
	s_and_b64 vcc, exec, s[6:7]
	s_cbranch_vccnz .LBB87_2089
; %bb.2037:
	v_cmp_gt_i16_e64 s[0:1], s18, 25
	s_mov_b64 s[6:7], -1
	s_mov_b64 s[4:5], 0
	s_and_b64 vcc, exec, s[0:1]
	s_mov_b64 s[0:1], 0
	s_cbranch_vccz .LBB87_2124
; %bb.2038:
	v_cmp_gt_i16_e64 s[0:1], s18, 28
	s_and_b64 vcc, exec, s[0:1]
	s_cbranch_vccz .LBB87_2090
; %bb.2039:
	v_cmp_gt_i16_e64 s[0:1], s18, 43
	s_and_b64 vcc, exec, s[0:1]
	;; [unrolled: 4-line block ×3, first 2 shown]
	s_cbranch_vccz .LBB87_2097
; %bb.2041:
	v_cmp_eq_u16_e64 s[6:7], s18, 46
	s_mov_b64 s[0:1], -1
	s_and_b64 vcc, exec, s[6:7]
	s_cbranch_vccz .LBB87_2043
; %bb.2042:
	v_bfe_u32 v3, v2, 16, 1
	s_movk_i32 s0, 0x7fff
	v_add3_u32 v3, v2, v3, s0
	v_lshrrev_b32_e32 v3, 16, v3
	v_mov_b32_e32 v4, 0x7fc0
	v_cmp_o_f32_e32 vcc, v2, v2
	v_cndmask_b32_e32 v3, v4, v3, vcc
	global_store_dword v[0:1], v3, off
	s_mov_b64 s[0:1], 0
.LBB87_2043:
	s_mov_b64 s[6:7], 0
	s_branch .LBB87_2098
.LBB87_2044:
	s_mov_b64 s[0:1], 0
	s_mov_b64 s[4:5], 0
                                        ; implicit-def: $vgpr0_vgpr1
                                        ; implicit-def: $sgpr18
                                        ; implicit-def: $vgpr2
.LBB87_2045:
	s_and_b64 s[6:7], s[4:5], exec
	s_andn2_b64 s[4:5], s[28:29], exec
	s_and_b64 s[2:3], s[2:3], exec
	s_and_b64 s[0:1], s[0:1], exec
	s_or_b64 s[28:29], s[4:5], s[2:3]
.LBB87_2046:
	s_or_b64 exec, exec, s[30:31]
	s_and_saveexec_b64 s[2:3], s[28:29]
	s_cbranch_execz .LBB87_2049
; %bb.2047:
	; divergent unreachable
	s_or_b64 exec, exec, s[2:3]
	s_and_saveexec_b64 s[2:3], s[6:7]
	s_xor_b64 s[2:3], exec, s[2:3]
	s_cbranch_execnz .LBB87_2050
.LBB87_2048:
	s_or_b64 exec, exec, s[2:3]
	s_and_saveexec_b64 s[2:3], s[0:1]
	s_cbranch_execnz .LBB87_2051
	s_branch .LBB87_2088
.LBB87_2049:
	s_or_b64 exec, exec, s[2:3]
	s_and_saveexec_b64 s[2:3], s[6:7]
	s_xor_b64 s[2:3], exec, s[2:3]
	s_cbranch_execz .LBB87_2048
.LBB87_2050:
	v_cmp_neq_f32_e32 vcc, 0, v2
	s_waitcnt vmcnt(0)
	v_cndmask_b32_e64 v3, 0, 1, vcc
	global_store_byte v[0:1], v3, off
	s_or_b64 exec, exec, s[2:3]
	s_and_saveexec_b64 s[2:3], s[0:1]
	s_cbranch_execz .LBB87_2088
.LBB87_2051:
	v_cmp_lt_i16_e64 s[2:3], s18, 5
	s_mov_b64 s[0:1], -1
	s_and_b64 vcc, exec, s[2:3]
	s_cbranch_vccnz .LBB87_2072
; %bb.2052:
	v_cmp_lt_i16_e64 s[2:3], s18, 8
	s_and_b64 vcc, exec, s[2:3]
	s_cbranch_vccnz .LBB87_2062
; %bb.2053:
	v_cmp_lt_i16_e64 s[2:3], s18, 9
	s_and_b64 vcc, exec, s[2:3]
	s_cbranch_vccnz .LBB87_2059
; %bb.2054:
	v_cmp_gt_i16_e64 s[2:3], s18, 9
	s_and_b64 vcc, exec, s[2:3]
	s_cbranch_vccz .LBB87_2056
; %bb.2055:
	v_mov_b32_e32 v6, 0
	s_waitcnt vmcnt(0)
	v_cvt_f64_f32_e32 v[4:5], v2
	v_mov_b32_e32 v7, v6
	global_store_dwordx4 v[0:1], v[4:7], off
	s_mov_b64 s[0:1], 0
.LBB87_2056:
	s_andn2_b64 vcc, exec, s[0:1]
	s_cbranch_vccnz .LBB87_2058
; %bb.2057:
	s_waitcnt vmcnt(0)
	v_mov_b32_e32 v3, 0
	global_store_dwordx2 v[0:1], v[2:3], off
.LBB87_2058:
	s_mov_b64 s[0:1], 0
.LBB87_2059:
	s_andn2_b64 vcc, exec, s[0:1]
	s_cbranch_vccnz .LBB87_2061
; %bb.2060:
	s_waitcnt vmcnt(0)
	v_cvt_f16_f32_e32 v3, v2
	global_store_dword v[0:1], v3, off
.LBB87_2061:
	s_mov_b64 s[0:1], 0
.LBB87_2062:
	s_andn2_b64 vcc, exec, s[0:1]
	s_cbranch_vccnz .LBB87_2071
; %bb.2063:
	v_cmp_lt_i16_e64 s[2:3], s18, 6
	s_mov_b64 s[0:1], -1
	s_and_b64 vcc, exec, s[2:3]
	s_cbranch_vccnz .LBB87_2069
; %bb.2064:
	v_cmp_gt_i16_e64 s[2:3], s18, 6
	s_and_b64 vcc, exec, s[2:3]
	s_cbranch_vccz .LBB87_2066
; %bb.2065:
	s_waitcnt vmcnt(0)
	v_cvt_f64_f32_e32 v[4:5], v2
	global_store_dwordx2 v[0:1], v[4:5], off
	s_mov_b64 s[0:1], 0
.LBB87_2066:
	s_andn2_b64 vcc, exec, s[0:1]
	s_cbranch_vccnz .LBB87_2068
; %bb.2067:
	s_waitcnt vmcnt(0)
	global_store_dword v[0:1], v2, off
.LBB87_2068:
	s_mov_b64 s[0:1], 0
.LBB87_2069:
	s_andn2_b64 vcc, exec, s[0:1]
	s_cbranch_vccnz .LBB87_2071
; %bb.2070:
	s_waitcnt vmcnt(0)
	v_cvt_f16_f32_e32 v3, v2
	global_store_short v[0:1], v3, off
.LBB87_2071:
	s_mov_b64 s[0:1], 0
.LBB87_2072:
	s_andn2_b64 vcc, exec, s[0:1]
	s_cbranch_vccnz .LBB87_2088
; %bb.2073:
	v_cmp_lt_i16_e64 s[2:3], s18, 2
	s_mov_b64 s[0:1], -1
	s_and_b64 vcc, exec, s[2:3]
	s_cbranch_vccnz .LBB87_2083
; %bb.2074:
	v_cmp_lt_i16_e64 s[2:3], s18, 3
	s_and_b64 vcc, exec, s[2:3]
	s_cbranch_vccnz .LBB87_2080
; %bb.2075:
	v_cmp_gt_i16_e64 s[2:3], s18, 3
	s_and_b64 vcc, exec, s[2:3]
	s_cbranch_vccz .LBB87_2077
; %bb.2076:
	s_waitcnt vmcnt(0)
	v_trunc_f32_e32 v3, v2
	s_mov_b32 s0, 0x2f800000
	v_mul_f32_e64 v4, |v3|, s0
	v_floor_f32_e32 v4, v4
	s_mov_b32 s0, 0xcf800000
	v_cvt_u32_f32_e32 v5, v4
	v_fma_f32 v4, v4, s0, |v3|
	v_cvt_u32_f32_e32 v4, v4
	v_ashrrev_i32_e32 v3, 31, v3
	v_xor_b32_e32 v5, v5, v3
	s_mov_b64 s[0:1], 0
	v_xor_b32_e32 v4, v4, v3
	v_sub_co_u32_e32 v4, vcc, v4, v3
	v_subb_co_u32_e32 v5, vcc, v5, v3, vcc
	global_store_dwordx2 v[0:1], v[4:5], off
.LBB87_2077:
	s_andn2_b64 vcc, exec, s[0:1]
	s_cbranch_vccnz .LBB87_2079
; %bb.2078:
	s_waitcnt vmcnt(0)
	v_cvt_i32_f32_e32 v3, v2
	global_store_dword v[0:1], v3, off
.LBB87_2079:
	s_mov_b64 s[0:1], 0
.LBB87_2080:
	s_andn2_b64 vcc, exec, s[0:1]
	s_cbranch_vccnz .LBB87_2082
; %bb.2081:
	s_waitcnt vmcnt(0)
	v_cvt_i32_f32_e32 v3, v2
	global_store_short v[0:1], v3, off
.LBB87_2082:
	s_mov_b64 s[0:1], 0
.LBB87_2083:
	s_andn2_b64 vcc, exec, s[0:1]
	s_cbranch_vccnz .LBB87_2088
; %bb.2084:
	v_cmp_gt_i16_e64 s[2:3], s18, 0
	s_mov_b64 s[0:1], -1
	s_and_b64 vcc, exec, s[2:3]
	s_cbranch_vccz .LBB87_2086
; %bb.2085:
	s_waitcnt vmcnt(0)
	v_cvt_i32_f32_e32 v3, v2
	s_mov_b64 s[0:1], 0
	global_store_byte v[0:1], v3, off
.LBB87_2086:
	s_andn2_b64 vcc, exec, s[0:1]
	s_cbranch_vccnz .LBB87_2088
; %bb.2087:
	v_trunc_f32_e32 v2, v2
	s_mov_b32 s0, 0x2f800000
	s_waitcnt vmcnt(0)
	v_mul_f32_e64 v3, |v2|, s0
	v_floor_f32_e32 v3, v3
	s_mov_b32 s0, 0xcf800000
	v_fma_f32 v3, v3, s0, |v2|
	v_cvt_u32_f32_e32 v3, v3
	v_ashrrev_i32_e32 v2, 31, v2
	v_xor_b32_e32 v3, v3, v2
	v_sub_u32_e32 v2, v3, v2
	global_store_byte v[0:1], v2, off
	s_endpgm
.LBB87_2088:
	s_endpgm
.LBB87_2089:
	s_mov_b64 s[4:5], 0
	s_mov_b64 s[0:1], -1
	s_branch .LBB87_2045
.LBB87_2090:
	s_mov_b64 s[0:1], 0
	s_branch .LBB87_2108
.LBB87_2091:
	s_or_saveexec_b64 s[16:17], s[16:17]
                                        ; implicit-def: $sgpr5
	s_xor_b64 exec, exec, s[16:17]
	s_cbranch_execz .LBB87_1946
.LBB87_2092:
	s_mov_b32 s5, 0x46000000
	v_add_f32_e64 v1, |v12|, s5
	v_and_b32_e32 v1, 0xff, v1
	v_cmp_ne_u32_e32 vcc, 0, v1
	s_andn2_b64 s[14:15], s[14:15], exec
	s_and_b64 s[20:21], vcc, exec
	s_mov_b32 s5, 0
	s_or_b64 s[14:15], s[14:15], s[20:21]
	s_or_b64 exec, exec, s[16:17]
	v_mov_b32_e32 v5, s5
	s_and_saveexec_b64 s[16:17], s[14:15]
	s_cbranch_execnz .LBB87_1947
	s_branch .LBB87_1948
.LBB87_2093:
	s_mov_b64 s[0:1], 0
	s_branch .LBB87_2104
.LBB87_2094:
	s_trap 2
	s_or_b64 s[2:3], s[2:3], exec
	s_cbranch_execz .LBB87_1994
	s_branch .LBB87_1995
.LBB87_2095:
	s_or_saveexec_b64 s[14:15], s[14:15]
                                        ; implicit-def: $sgpr5
	s_xor_b64 exec, exec, s[14:15]
	s_cbranch_execz .LBB87_1959
.LBB87_2096:
	s_mov_b32 s5, 0x42800000
	v_add_f32_e64 v1, |v12|, s5
	v_and_b32_e32 v1, 0xff, v1
	v_cmp_ne_u32_e32 vcc, 0, v1
	s_andn2_b64 s[12:13], s[12:13], exec
	s_and_b64 s[16:17], vcc, exec
	s_mov_b32 s5, 0
	s_or_b64 s[12:13], s[12:13], s[16:17]
	s_or_b64 exec, exec, s[14:15]
	v_mov_b32_e32 v5, s5
	s_and_saveexec_b64 s[14:15], s[12:13]
	s_cbranch_execnz .LBB87_1960
	s_branch .LBB87_1961
.LBB87_2097:
	s_mov_b64 s[0:1], 0
.LBB87_2098:
	s_and_b64 vcc, exec, s[6:7]
	s_cbranch_vccz .LBB87_2103
; %bb.2099:
	v_cmp_eq_u16_e64 s[6:7], s18, 44
	s_mov_b64 s[0:1], -1
	s_and_b64 vcc, exec, s[6:7]
	s_cbranch_vccz .LBB87_2103
; %bb.2100:
	v_bfe_u32 v3, v2, 23, 8
	s_movk_i32 s0, 0xff
	v_cmp_ne_u32_e32 vcc, s0, v3
	v_mov_b32_e32 v4, 0xff
	s_and_saveexec_b64 s[6:7], vcc
; %bb.2101:
	s_mov_b32 s0, 0x3fffff
	v_and_b32_e32 v5, 0x400000, v2
	v_and_or_b32 v3, v2, s0, v3
	v_cmp_ne_u32_e32 vcc, 0, v5
	v_cmp_ne_u32_e64 s[0:1], 0, v3
	s_and_b64 s[0:1], vcc, s[0:1]
	v_lshrrev_b32_e32 v4, 23, v2
	v_cndmask_b32_e64 v3, 0, 1, s[0:1]
	v_add_u32_e32 v4, v4, v3
; %bb.2102:
	s_or_b64 exec, exec, s[6:7]
	s_mov_b64 s[0:1], 0
	global_store_byte v[0:1], v4, off
.LBB87_2103:
	s_mov_b64 s[6:7], 0
.LBB87_2104:
	s_and_b64 vcc, exec, s[6:7]
	s_cbranch_vccz .LBB87_2107
; %bb.2105:
	v_cmp_eq_u16_e64 s[6:7], s18, 29
	s_mov_b64 s[0:1], -1
	s_and_b64 vcc, exec, s[6:7]
	s_cbranch_vccz .LBB87_2107
; %bb.2106:
	v_trunc_f32_e32 v3, v2
	v_mul_f32_e32 v4, 0x2f800000, v3
	v_floor_f32_e32 v4, v4
	v_fmac_f32_e32 v3, 0xcf800000, v4
	v_cvt_u32_f32_e32 v5, v4
	v_cvt_u32_f32_e32 v4, v3
	s_mov_b64 s[0:1], 0
	global_store_dwordx2 v[0:1], v[4:5], off
.LBB87_2107:
	s_mov_b64 s[6:7], 0
.LBB87_2108:
	s_and_b64 vcc, exec, s[6:7]
	s_cbranch_vccz .LBB87_2123
; %bb.2109:
	v_cmp_lt_i16_e64 s[8:9], s18, 27
	s_mov_b64 s[6:7], -1
	s_and_b64 vcc, exec, s[8:9]
	s_cbranch_vccnz .LBB87_2115
; %bb.2110:
	v_cmp_gt_i16_e64 s[8:9], s18, 27
	s_and_b64 vcc, exec, s[8:9]
	s_cbranch_vccz .LBB87_2112
; %bb.2111:
	v_cvt_u32_f32_e32 v3, v2
	s_mov_b64 s[6:7], 0
	global_store_dword v[0:1], v3, off
.LBB87_2112:
	s_andn2_b64 vcc, exec, s[6:7]
	s_cbranch_vccnz .LBB87_2114
; %bb.2113:
	v_cvt_u32_f32_e32 v3, v2
	global_store_short v[0:1], v3, off
.LBB87_2114:
	s_mov_b64 s[6:7], 0
.LBB87_2115:
	s_andn2_b64 vcc, exec, s[6:7]
	s_cbranch_vccnz .LBB87_2123
; %bb.2116:
	v_and_b32_e32 v3, 0x7fffffff, v10
	s_mov_b32 s6, 0x43800000
	v_cmp_gt_u32_e32 vcc, s6, v3
	v_mov_b32_e32 v4, 0x80
	s_and_saveexec_b64 s[6:7], vcc
	s_cbranch_execz .LBB87_2122
; %bb.2117:
	s_mov_b32 s8, 0x3bffffff
	v_cmp_lt_u32_e32 vcc, s8, v3
	s_mov_b64 s[8:9], 0
                                        ; implicit-def: $vgpr3
	s_and_saveexec_b64 s[10:11], vcc
	s_xor_b64 s[10:11], exec, s[10:11]
	s_cbranch_execz .LBB87_2166
; %bb.2118:
	v_bfe_u32 v3, v2, 20, 1
	s_mov_b32 s12, 0x487ffff
	v_add3_u32 v3, v2, v3, s12
	s_mov_b64 s[8:9], exec
	v_lshrrev_b32_e32 v3, 20, v3
	s_or_saveexec_b64 s[10:11], s[10:11]
                                        ; implicit-def: $sgpr12
	s_xor_b64 exec, exec, s[10:11]
	s_cbranch_execnz .LBB87_2167
.LBB87_2119:
	s_or_b64 exec, exec, s[10:11]
	v_mov_b32_e32 v4, s12
	s_and_saveexec_b64 s[10:11], s[8:9]
.LBB87_2120:
	v_lshrrev_b32_e32 v4, 24, v2
	s_movk_i32 s8, 0x80
	v_and_or_b32 v4, v4, s8, v3
.LBB87_2121:
	s_or_b64 exec, exec, s[10:11]
.LBB87_2122:
	s_or_b64 exec, exec, s[6:7]
	global_store_byte v[0:1], v4, off
.LBB87_2123:
	s_mov_b64 s[6:7], 0
.LBB87_2124:
	s_and_b64 vcc, exec, s[6:7]
	s_cbranch_vccz .LBB87_2164
; %bb.2125:
	v_cmp_gt_i16_e64 s[6:7], s18, 22
	s_mov_b64 s[4:5], -1
	s_and_b64 vcc, exec, s[6:7]
	s_cbranch_vccz .LBB87_2157
; %bb.2126:
	v_cmp_lt_i16_e64 s[6:7], s18, 24
	s_and_b64 vcc, exec, s[6:7]
	s_cbranch_vccnz .LBB87_2146
; %bb.2127:
	v_cmp_gt_i16_e64 s[6:7], s18, 24
	s_and_b64 vcc, exec, s[6:7]
	s_cbranch_vccz .LBB87_2135
; %bb.2128:
	v_and_b32_e32 v3, 0x7fffffff, v10
	s_mov_b32 s4, 0x47800000
	v_cmp_gt_u32_e32 vcc, s4, v3
	v_mov_b32_e32 v4, 0x80
	s_and_saveexec_b64 s[4:5], vcc
	s_cbranch_execz .LBB87_2134
; %bb.2129:
	s_mov_b32 s6, 0x37ffffff
	v_cmp_lt_u32_e32 vcc, s6, v3
	s_mov_b64 s[6:7], 0
                                        ; implicit-def: $vgpr3
	s_and_saveexec_b64 s[8:9], vcc
	s_xor_b64 s[8:9], exec, s[8:9]
	s_cbranch_execz .LBB87_2169
; %bb.2130:
	v_bfe_u32 v3, v2, 21, 1
	s_mov_b32 s10, 0x88fffff
	v_add3_u32 v3, v2, v3, s10
	s_mov_b64 s[6:7], exec
	v_lshrrev_b32_e32 v3, 21, v3
	s_or_saveexec_b64 s[8:9], s[8:9]
                                        ; implicit-def: $sgpr10
	s_xor_b64 exec, exec, s[8:9]
	s_cbranch_execnz .LBB87_2170
.LBB87_2131:
	s_or_b64 exec, exec, s[8:9]
	v_mov_b32_e32 v4, s10
	s_and_saveexec_b64 s[8:9], s[6:7]
.LBB87_2132:
	v_lshrrev_b32_e32 v4, 24, v2
	s_movk_i32 s6, 0x80
	v_and_or_b32 v4, v4, s6, v3
.LBB87_2133:
	s_or_b64 exec, exec, s[8:9]
.LBB87_2134:
	s_or_b64 exec, exec, s[4:5]
	s_mov_b64 s[4:5], 0
	global_store_byte v[0:1], v4, off
.LBB87_2135:
	s_and_b64 vcc, exec, s[4:5]
	s_cbranch_vccz .LBB87_2145
; %bb.2136:
	v_and_b32_e32 v4, 0x7fffffff, v10
	s_mov_b32 s4, 0x43f00000
	v_cmp_gt_u32_e32 vcc, s4, v4
                                        ; implicit-def: $vgpr3
	s_and_saveexec_b64 s[4:5], vcc
	s_xor_b64 s[4:5], exec, s[4:5]
	s_cbranch_execz .LBB87_2142
; %bb.2137:
	s_mov_b32 s6, 0x3c7fffff
	v_cmp_lt_u32_e32 vcc, s6, v4
                                        ; implicit-def: $vgpr3
	s_and_saveexec_b64 s[6:7], vcc
	s_xor_b64 s[6:7], exec, s[6:7]
; %bb.2138:
	v_bfe_u32 v3, v2, 20, 1
	s_mov_b32 s8, 0x407ffff
	v_add3_u32 v3, v2, v3, s8
	v_lshrrev_b32_e32 v4, 20, v3
	v_and_b32_e32 v3, 0xff00000, v3
	s_mov_b32 s8, 0x7f00000
	v_mov_b32_e32 v5, 0x7e
	v_cmp_ne_u32_e32 vcc, s8, v3
	v_cndmask_b32_e32 v3, v5, v4, vcc
; %bb.2139:
	s_andn2_saveexec_b64 s[6:7], s[6:7]
; %bb.2140:
	s_mov_b32 s8, 0x46800000
	v_add_f32_e64 v3, |v10|, s8
; %bb.2141:
	s_or_b64 exec, exec, s[6:7]
                                        ; implicit-def: $vgpr4
.LBB87_2142:
	s_andn2_saveexec_b64 s[4:5], s[4:5]
; %bb.2143:
	s_mov_b32 s6, 0x7f800000
	v_mov_b32_e32 v3, 0x7e
	v_mov_b32_e32 v5, 0x7f
	v_cmp_lt_u32_e32 vcc, s6, v4
	v_cndmask_b32_e32 v3, v3, v5, vcc
; %bb.2144:
	s_or_b64 exec, exec, s[4:5]
	v_lshrrev_b32_e32 v4, 24, v2
	s_movk_i32 s4, 0x80
	v_and_or_b32 v3, v4, s4, v3
	global_store_byte v[0:1], v3, off
.LBB87_2145:
	s_mov_b64 s[4:5], 0
.LBB87_2146:
	s_andn2_b64 vcc, exec, s[4:5]
	s_cbranch_vccnz .LBB87_2156
; %bb.2147:
	v_and_b32_e32 v4, 0x7fffffff, v10
	s_mov_b32 s4, 0x47800000
	v_cmp_gt_u32_e32 vcc, s4, v4
                                        ; implicit-def: $vgpr3
	s_and_saveexec_b64 s[4:5], vcc
	s_xor_b64 s[4:5], exec, s[4:5]
	s_cbranch_execz .LBB87_2153
; %bb.2148:
	s_mov_b32 s6, 0x387fffff
	v_cmp_lt_u32_e32 vcc, s6, v4
                                        ; implicit-def: $vgpr3
	s_and_saveexec_b64 s[6:7], vcc
	s_xor_b64 s[6:7], exec, s[6:7]
; %bb.2149:
	v_bfe_u32 v3, v2, 21, 1
	s_mov_b32 s8, 0x80fffff
	v_add3_u32 v3, v2, v3, s8
	v_lshrrev_b32_e32 v3, 21, v3
                                        ; implicit-def: $vgpr10
; %bb.2150:
	s_andn2_saveexec_b64 s[6:7], s[6:7]
; %bb.2151:
	s_mov_b32 s8, 0x43000000
	v_add_f32_e64 v3, |v10|, s8
; %bb.2152:
	s_or_b64 exec, exec, s[6:7]
                                        ; implicit-def: $vgpr4
.LBB87_2153:
	s_andn2_saveexec_b64 s[4:5], s[4:5]
; %bb.2154:
	s_mov_b32 s6, 0x7f800000
	v_mov_b32_e32 v3, 0x7c
	v_mov_b32_e32 v5, 0x7f
	v_cmp_lt_u32_e32 vcc, s6, v4
	v_cndmask_b32_e32 v3, v3, v5, vcc
; %bb.2155:
	s_or_b64 exec, exec, s[4:5]
	v_lshrrev_b32_e32 v4, 24, v2
	s_movk_i32 s4, 0x80
	v_and_or_b32 v3, v4, s4, v3
	global_store_byte v[0:1], v3, off
.LBB87_2156:
	s_mov_b64 s[4:5], 0
.LBB87_2157:
	s_andn2_b64 vcc, exec, s[4:5]
	s_mov_b64 s[4:5], 0
	s_cbranch_vccnz .LBB87_2164
; %bb.2158:
	v_cmp_gt_i16_e64 s[4:5], s18, 14
	s_mov_b64 s[6:7], -1
	s_and_b64 vcc, exec, s[4:5]
	s_cbranch_vccz .LBB87_2162
; %bb.2159:
	v_cmp_eq_u16_e64 s[4:5], s18, 15
	s_mov_b64 s[0:1], -1
	s_and_b64 vcc, exec, s[4:5]
	s_cbranch_vccz .LBB87_2161
; %bb.2160:
	v_bfe_u32 v3, v2, 16, 1
	s_movk_i32 s0, 0x7fff
	v_add3_u32 v3, v2, v3, s0
	v_lshrrev_b32_e32 v3, 16, v3
	v_mov_b32_e32 v4, 0x7fc0
	v_cmp_o_f32_e32 vcc, v2, v2
	v_cndmask_b32_e32 v3, v4, v3, vcc
	global_store_short v[0:1], v3, off
	s_mov_b64 s[0:1], 0
.LBB87_2161:
	s_mov_b64 s[6:7], 0
.LBB87_2162:
	s_mov_b64 s[4:5], 0
	s_and_b64 vcc, exec, s[6:7]
	s_cbranch_vccz .LBB87_2164
; %bb.2163:
	v_cmp_ne_u16_e64 s[0:1], s18, 11
	s_mov_b64 s[4:5], -1
.LBB87_2164:
	s_and_b64 vcc, exec, s[0:1]
	s_cbranch_vccnz .LBB87_2168
.LBB87_2165:
	s_mov_b64 s[0:1], 0
	s_branch .LBB87_2045
.LBB87_2166:
	s_or_saveexec_b64 s[10:11], s[10:11]
                                        ; implicit-def: $sgpr12
	s_xor_b64 exec, exec, s[10:11]
	s_cbranch_execz .LBB87_2119
.LBB87_2167:
	s_mov_b32 s12, 0x46000000
	v_add_f32_e64 v3, |v10|, s12
	v_and_b32_e32 v3, 0xff, v3
	v_cmp_ne_u32_e32 vcc, 0, v3
	s_andn2_b64 s[8:9], s[8:9], exec
	s_and_b64 s[14:15], vcc, exec
	s_mov_b32 s12, 0
	s_or_b64 s[8:9], s[8:9], s[14:15]
	s_or_b64 exec, exec, s[10:11]
	v_mov_b32_e32 v4, s12
	s_and_saveexec_b64 s[10:11], s[8:9]
	s_cbranch_execnz .LBB87_2120
	s_branch .LBB87_2121
.LBB87_2168:
	s_mov_b64 s[4:5], 0
	s_or_b64 s[2:3], s[2:3], exec
	s_trap 2
	s_branch .LBB87_2165
.LBB87_2169:
	s_or_saveexec_b64 s[8:9], s[8:9]
                                        ; implicit-def: $sgpr10
	s_xor_b64 exec, exec, s[8:9]
	s_cbranch_execz .LBB87_2131
.LBB87_2170:
	s_mov_b32 s10, 0x42800000
	v_add_f32_e64 v3, |v10|, s10
	v_and_b32_e32 v3, 0xff, v3
	v_cmp_ne_u32_e32 vcc, 0, v3
	s_andn2_b64 s[6:7], s[6:7], exec
	s_and_b64 s[12:13], vcc, exec
	s_mov_b32 s10, 0
	s_or_b64 s[6:7], s[6:7], s[12:13]
	s_or_b64 exec, exec, s[8:9]
	v_mov_b32_e32 v4, s10
	s_and_saveexec_b64 s[8:9], s[6:7]
	s_cbranch_execnz .LBB87_2132
	s_branch .LBB87_2133
	.section	.rodata,"a",@progbits
	.p2align	6, 0x0
	.amdhsa_kernel _ZN2at6native32elementwise_kernel_manual_unrollILi128ELi4EZNS0_15gpu_kernel_implINS0_13BUnaryFunctorIfffZZZNS0_20copysign_kernel_cudaERNS_18TensorIteratorBaseEENKUlvE_clEvENKUlvE0_clEvEUlffE_EEEEvS5_RKT_EUlibE0_EEviT1_
		.amdhsa_group_segment_fixed_size 0
		.amdhsa_private_segment_fixed_size 0
		.amdhsa_kernarg_size 368
		.amdhsa_user_sgpr_count 6
		.amdhsa_user_sgpr_private_segment_buffer 1
		.amdhsa_user_sgpr_dispatch_ptr 0
		.amdhsa_user_sgpr_queue_ptr 0
		.amdhsa_user_sgpr_kernarg_segment_ptr 1
		.amdhsa_user_sgpr_dispatch_id 0
		.amdhsa_user_sgpr_flat_scratch_init 0
		.amdhsa_user_sgpr_kernarg_preload_length 0
		.amdhsa_user_sgpr_kernarg_preload_offset 0
		.amdhsa_user_sgpr_private_segment_size 0
		.amdhsa_uses_dynamic_stack 0
		.amdhsa_system_sgpr_private_segment_wavefront_offset 0
		.amdhsa_system_sgpr_workgroup_id_x 1
		.amdhsa_system_sgpr_workgroup_id_y 0
		.amdhsa_system_sgpr_workgroup_id_z 0
		.amdhsa_system_sgpr_workgroup_info 0
		.amdhsa_system_vgpr_workitem_id 0
		.amdhsa_next_free_vgpr 18
		.amdhsa_next_free_sgpr 78
		.amdhsa_accum_offset 20
		.amdhsa_reserve_vcc 1
		.amdhsa_reserve_flat_scratch 0
		.amdhsa_float_round_mode_32 0
		.amdhsa_float_round_mode_16_64 0
		.amdhsa_float_denorm_mode_32 3
		.amdhsa_float_denorm_mode_16_64 3
		.amdhsa_dx10_clamp 1
		.amdhsa_ieee_mode 1
		.amdhsa_fp16_overflow 0
		.amdhsa_tg_split 0
		.amdhsa_exception_fp_ieee_invalid_op 0
		.amdhsa_exception_fp_denorm_src 0
		.amdhsa_exception_fp_ieee_div_zero 0
		.amdhsa_exception_fp_ieee_overflow 0
		.amdhsa_exception_fp_ieee_underflow 0
		.amdhsa_exception_fp_ieee_inexact 0
		.amdhsa_exception_int_div_zero 0
	.end_amdhsa_kernel
	.section	.text._ZN2at6native32elementwise_kernel_manual_unrollILi128ELi4EZNS0_15gpu_kernel_implINS0_13BUnaryFunctorIfffZZZNS0_20copysign_kernel_cudaERNS_18TensorIteratorBaseEENKUlvE_clEvENKUlvE0_clEvEUlffE_EEEEvS5_RKT_EUlibE0_EEviT1_,"axG",@progbits,_ZN2at6native32elementwise_kernel_manual_unrollILi128ELi4EZNS0_15gpu_kernel_implINS0_13BUnaryFunctorIfffZZZNS0_20copysign_kernel_cudaERNS_18TensorIteratorBaseEENKUlvE_clEvENKUlvE0_clEvEUlffE_EEEEvS5_RKT_EUlibE0_EEviT1_,comdat
.Lfunc_end87:
	.size	_ZN2at6native32elementwise_kernel_manual_unrollILi128ELi4EZNS0_15gpu_kernel_implINS0_13BUnaryFunctorIfffZZZNS0_20copysign_kernel_cudaERNS_18TensorIteratorBaseEENKUlvE_clEvENKUlvE0_clEvEUlffE_EEEEvS5_RKT_EUlibE0_EEviT1_, .Lfunc_end87-_ZN2at6native32elementwise_kernel_manual_unrollILi128ELi4EZNS0_15gpu_kernel_implINS0_13BUnaryFunctorIfffZZZNS0_20copysign_kernel_cudaERNS_18TensorIteratorBaseEENKUlvE_clEvENKUlvE0_clEvEUlffE_EEEEvS5_RKT_EUlibE0_EEviT1_
                                        ; -- End function
	.section	.AMDGPU.csdata,"",@progbits
; Kernel info:
; codeLenInByte = 40612
; NumSgprs: 82
; NumVgprs: 18
; NumAgprs: 0
; TotalNumVgprs: 18
; ScratchSize: 0
; MemoryBound: 1
; FloatMode: 240
; IeeeMode: 1
; LDSByteSize: 0 bytes/workgroup (compile time only)
; SGPRBlocks: 10
; VGPRBlocks: 2
; NumSGPRsForWavesPerEU: 82
; NumVGPRsForWavesPerEU: 18
; AccumOffset: 20
; Occupancy: 8
; WaveLimiterHint : 1
; COMPUTE_PGM_RSRC2:SCRATCH_EN: 0
; COMPUTE_PGM_RSRC2:USER_SGPR: 6
; COMPUTE_PGM_RSRC2:TRAP_HANDLER: 0
; COMPUTE_PGM_RSRC2:TGID_X_EN: 1
; COMPUTE_PGM_RSRC2:TGID_Y_EN: 0
; COMPUTE_PGM_RSRC2:TGID_Z_EN: 0
; COMPUTE_PGM_RSRC2:TIDIG_COMP_CNT: 0
; COMPUTE_PGM_RSRC3_GFX90A:ACCUM_OFFSET: 4
; COMPUTE_PGM_RSRC3_GFX90A:TG_SPLIT: 0
	.section	.text._ZN2at6native29vectorized_elementwise_kernelILi16ENS0_13BinaryFunctorIfffZZZNS0_20copysign_kernel_cudaERNS_18TensorIteratorBaseEENKUlvE_clEvENKUlvE0_clEvEUlffE_EESt5arrayIPcLm3EEEEviT0_T1_,"axG",@progbits,_ZN2at6native29vectorized_elementwise_kernelILi16ENS0_13BinaryFunctorIfffZZZNS0_20copysign_kernel_cudaERNS_18TensorIteratorBaseEENKUlvE_clEvENKUlvE0_clEvEUlffE_EESt5arrayIPcLm3EEEEviT0_T1_,comdat
	.globl	_ZN2at6native29vectorized_elementwise_kernelILi16ENS0_13BinaryFunctorIfffZZZNS0_20copysign_kernel_cudaERNS_18TensorIteratorBaseEENKUlvE_clEvENKUlvE0_clEvEUlffE_EESt5arrayIPcLm3EEEEviT0_T1_ ; -- Begin function _ZN2at6native29vectorized_elementwise_kernelILi16ENS0_13BinaryFunctorIfffZZZNS0_20copysign_kernel_cudaERNS_18TensorIteratorBaseEENKUlvE_clEvENKUlvE0_clEvEUlffE_EESt5arrayIPcLm3EEEEviT0_T1_
	.p2align	8
	.type	_ZN2at6native29vectorized_elementwise_kernelILi16ENS0_13BinaryFunctorIfffZZZNS0_20copysign_kernel_cudaERNS_18TensorIteratorBaseEENKUlvE_clEvENKUlvE0_clEvEUlffE_EESt5arrayIPcLm3EEEEviT0_T1_,@function
_ZN2at6native29vectorized_elementwise_kernelILi16ENS0_13BinaryFunctorIfffZZZNS0_20copysign_kernel_cudaERNS_18TensorIteratorBaseEENKUlvE_clEvENKUlvE0_clEvEUlffE_EESt5arrayIPcLm3EEEEviT0_T1_: ; @_ZN2at6native29vectorized_elementwise_kernelILi16ENS0_13BinaryFunctorIfffZZZNS0_20copysign_kernel_cudaERNS_18TensorIteratorBaseEENKUlvE_clEvENKUlvE0_clEvEUlffE_EESt5arrayIPcLm3EEEEviT0_T1_
; %bb.0:
	s_load_dword s0, s[4:5], 0x0
	s_load_dwordx4 s[8:11], s[4:5], 0x8
	s_load_dwordx2 s[12:13], s[4:5], 0x18
	s_lshl_b32 s2, s6, 10
	s_waitcnt lgkmcnt(0)
	s_sub_i32 s6, s0, s2
	s_cmpk_gt_i32 s6, 0x3ff
	s_mov_b64 s[0:1], -1
	s_cbranch_scc0 .LBB88_2
; %bb.1:
	s_ashr_i32 s3, s2, 31
	s_lshl_b64 s[0:1], s[2:3], 2
	s_add_u32 s4, s10, s0
	s_addc_u32 s5, s11, s1
	v_lshlrev_b32_e32 v1, 4, v0
	s_add_u32 s14, s12, s0
	s_addc_u32 s15, s13, s1
	global_load_dwordx4 v[2:5], v1, s[4:5]
	global_load_dwordx4 v[6:9], v1, s[14:15]
	s_brev_b32 s3, -2
	s_add_u32 s0, s8, s0
	s_addc_u32 s1, s9, s1
	s_waitcnt vmcnt(0)
	v_bfi_b32 v3, s3, v3, v7
	v_bfi_b32 v2, s3, v2, v6
	v_bfi_b32 v5, s3, v5, v9
	v_bfi_b32 v4, s3, v4, v8
	global_store_dwordx4 v1, v[2:5], s[0:1]
	s_mov_b64 s[0:1], 0
.LBB88_2:
	s_andn2_b64 vcc, exec, s[0:1]
	s_cbranch_vccnz .LBB88_16
; %bb.3:
	v_cmp_gt_i32_e32 vcc, s6, v0
	v_mov_b32_e32 v1, 0
	v_or_b32_e32 v2, s2, v0
	v_mov_b32_e32 v3, 0
	v_mov_b32_e32 v4, 0
	;; [unrolled: 1-line block ×3, first 2 shown]
	s_and_saveexec_b64 s[4:5], vcc
	s_cbranch_execz .LBB88_5
; %bb.4:
	v_mov_b32_e32 v3, 0
	v_lshlrev_b64 v[4:5], 2, v[2:3]
	v_mov_b32_e32 v3, s13
	v_add_co_u32_e64 v6, s[0:1], s12, v4
	v_addc_co_u32_e64 v7, s[0:1], v3, v5, s[0:1]
	v_mov_b32_e32 v3, s11
	v_add_co_u32_e64 v8, s[0:1], s10, v4
	v_addc_co_u32_e64 v9, s[0:1], v3, v5, s[0:1]
	global_load_dword v3, v[8:9], off
	global_load_dword v4, v[6:7], off
	v_or_b32_e32 v5, 0x100, v0
.LBB88_5:
	s_or_b64 exec, exec, s[4:5]
	v_cmp_gt_i32_e64 s[0:1], s6, v5
	v_mov_b32_e32 v6, 0
	s_and_saveexec_b64 s[4:5], s[0:1]
	s_cbranch_execz .LBB88_7
; %bb.6:
	v_add_u32_e32 v6, s2, v5
	v_mov_b32_e32 v7, 0
	v_lshlrev_b64 v[6:7], 2, v[6:7]
	v_mov_b32_e32 v1, s13
	v_add_co_u32_e64 v8, s[0:1], s12, v6
	v_addc_co_u32_e64 v9, s[0:1], v1, v7, s[0:1]
	v_mov_b32_e32 v1, s11
	v_add_co_u32_e64 v10, s[0:1], s10, v6
	v_addc_co_u32_e64 v11, s[0:1], v1, v7, s[0:1]
	global_load_dword v1, v[10:11], off
	global_load_dword v6, v[8:9], off
	v_add_u32_e32 v5, 0x100, v5
.LBB88_7:
	s_or_b64 exec, exec, s[4:5]
	v_cmp_gt_i32_e64 s[0:1], s6, v5
	v_mov_b32_e32 v7, 0
	v_mov_b32_e32 v8, 0
	;; [unrolled: 1-line block ×3, first 2 shown]
	s_and_saveexec_b64 s[4:5], s[0:1]
	s_cbranch_execz .LBB88_9
; %bb.8:
	v_add_u32_e32 v8, s2, v5
	v_mov_b32_e32 v9, 0
	v_lshlrev_b64 v[8:9], 2, v[8:9]
	v_mov_b32_e32 v11, s13
	v_add_co_u32_e64 v10, s[0:1], s12, v8
	v_addc_co_u32_e64 v11, s[0:1], v11, v9, s[0:1]
	v_mov_b32_e32 v13, s11
	v_add_co_u32_e64 v12, s[0:1], s10, v8
	v_addc_co_u32_e64 v13, s[0:1], v13, v9, s[0:1]
	global_load_dword v8, v[12:13], off
	global_load_dword v9, v[10:11], off
	v_add_u32_e32 v5, 0x100, v5
.LBB88_9:
	s_or_b64 exec, exec, s[4:5]
	v_cmp_gt_i32_e64 s[0:1], s6, v5
	v_mov_b32_e32 v11, 0
	s_and_saveexec_b64 s[4:5], s[0:1]
	s_cbranch_execz .LBB88_11
; %bb.10:
	v_add_u32_e32 v10, s2, v5
	v_mov_b32_e32 v11, 0
	v_lshlrev_b64 v[10:11], 2, v[10:11]
	v_mov_b32_e32 v5, s13
	v_add_co_u32_e64 v12, s[0:1], s12, v10
	v_addc_co_u32_e64 v13, s[0:1], v5, v11, s[0:1]
	v_mov_b32_e32 v5, s11
	v_add_co_u32_e64 v14, s[0:1], s10, v10
	v_addc_co_u32_e64 v15, s[0:1], v5, v11, s[0:1]
	global_load_dword v7, v[14:15], off
	global_load_dword v11, v[12:13], off
.LBB88_11:
	s_or_b64 exec, exec, s[4:5]
	s_brev_b32 s0, -2
	s_waitcnt vmcnt(0)
	v_bfi_b32 v10, s0, v3, v4
	v_bfi_b32 v5, s0, v1, v6
	;; [unrolled: 1-line block ×4, first 2 shown]
	s_and_saveexec_b64 s[0:1], vcc
	s_cbranch_execnz .LBB88_17
; %bb.12:
	s_or_b64 exec, exec, s[0:1]
	v_cmp_gt_i32_e32 vcc, s6, v0
	s_and_saveexec_b64 s[0:1], vcc
	s_cbranch_execnz .LBB88_18
.LBB88_13:
	s_or_b64 exec, exec, s[0:1]
	v_cmp_gt_i32_e32 vcc, s6, v0
	s_and_saveexec_b64 s[0:1], vcc
	s_cbranch_execnz .LBB88_19
.LBB88_14:
	s_or_b64 exec, exec, s[0:1]
	v_cmp_gt_i32_e32 vcc, s6, v0
	s_and_saveexec_b64 s[0:1], vcc
	s_cbranch_execz .LBB88_16
.LBB88_15:
	v_add_u32_e32 v2, s2, v0
	v_mov_b32_e32 v3, 0
	v_lshlrev_b64 v[2:3], 2, v[2:3]
	v_mov_b32_e32 v0, s9
	v_add_co_u32_e32 v2, vcc, s8, v2
	v_addc_co_u32_e32 v3, vcc, v0, v3, vcc
	global_store_dword v[2:3], v1, off
.LBB88_16:
	s_endpgm
.LBB88_17:
	v_mov_b32_e32 v3, 0
	v_lshlrev_b64 v[2:3], 2, v[2:3]
	v_mov_b32_e32 v6, s9
	v_add_co_u32_e32 v2, vcc, s8, v2
	v_or_b32_e32 v0, 0x100, v0
	v_addc_co_u32_e32 v3, vcc, v6, v3, vcc
	global_store_dword v[2:3], v10, off
	s_or_b64 exec, exec, s[0:1]
	v_cmp_gt_i32_e32 vcc, s6, v0
	s_and_saveexec_b64 s[0:1], vcc
	s_cbranch_execz .LBB88_13
.LBB88_18:
	v_add_u32_e32 v2, s2, v0
	v_mov_b32_e32 v3, 0
	v_lshlrev_b64 v[2:3], 2, v[2:3]
	v_mov_b32_e32 v6, s9
	v_add_co_u32_e32 v2, vcc, s8, v2
	v_addc_co_u32_e32 v3, vcc, v6, v3, vcc
	v_add_u32_e32 v0, 0x100, v0
	global_store_dword v[2:3], v5, off
	s_or_b64 exec, exec, s[0:1]
	v_cmp_gt_i32_e32 vcc, s6, v0
	s_and_saveexec_b64 s[0:1], vcc
	s_cbranch_execz .LBB88_14
.LBB88_19:
	v_add_u32_e32 v2, s2, v0
	v_mov_b32_e32 v3, 0
	v_lshlrev_b64 v[2:3], 2, v[2:3]
	v_mov_b32_e32 v5, s9
	v_add_co_u32_e32 v2, vcc, s8, v2
	v_addc_co_u32_e32 v3, vcc, v5, v3, vcc
	v_add_u32_e32 v0, 0x100, v0
	global_store_dword v[2:3], v4, off
	s_or_b64 exec, exec, s[0:1]
	v_cmp_gt_i32_e32 vcc, s6, v0
	s_and_saveexec_b64 s[0:1], vcc
	s_cbranch_execnz .LBB88_15
	s_branch .LBB88_16
	.section	.rodata,"a",@progbits
	.p2align	6, 0x0
	.amdhsa_kernel _ZN2at6native29vectorized_elementwise_kernelILi16ENS0_13BinaryFunctorIfffZZZNS0_20copysign_kernel_cudaERNS_18TensorIteratorBaseEENKUlvE_clEvENKUlvE0_clEvEUlffE_EESt5arrayIPcLm3EEEEviT0_T1_
		.amdhsa_group_segment_fixed_size 0
		.amdhsa_private_segment_fixed_size 0
		.amdhsa_kernarg_size 32
		.amdhsa_user_sgpr_count 6
		.amdhsa_user_sgpr_private_segment_buffer 1
		.amdhsa_user_sgpr_dispatch_ptr 0
		.amdhsa_user_sgpr_queue_ptr 0
		.amdhsa_user_sgpr_kernarg_segment_ptr 1
		.amdhsa_user_sgpr_dispatch_id 0
		.amdhsa_user_sgpr_flat_scratch_init 0
		.amdhsa_user_sgpr_kernarg_preload_length 0
		.amdhsa_user_sgpr_kernarg_preload_offset 0
		.amdhsa_user_sgpr_private_segment_size 0
		.amdhsa_uses_dynamic_stack 0
		.amdhsa_system_sgpr_private_segment_wavefront_offset 0
		.amdhsa_system_sgpr_workgroup_id_x 1
		.amdhsa_system_sgpr_workgroup_id_y 0
		.amdhsa_system_sgpr_workgroup_id_z 0
		.amdhsa_system_sgpr_workgroup_info 0
		.amdhsa_system_vgpr_workitem_id 0
		.amdhsa_next_free_vgpr 16
		.amdhsa_next_free_sgpr 16
		.amdhsa_accum_offset 16
		.amdhsa_reserve_vcc 1
		.amdhsa_reserve_flat_scratch 0
		.amdhsa_float_round_mode_32 0
		.amdhsa_float_round_mode_16_64 0
		.amdhsa_float_denorm_mode_32 3
		.amdhsa_float_denorm_mode_16_64 3
		.amdhsa_dx10_clamp 1
		.amdhsa_ieee_mode 1
		.amdhsa_fp16_overflow 0
		.amdhsa_tg_split 0
		.amdhsa_exception_fp_ieee_invalid_op 0
		.amdhsa_exception_fp_denorm_src 0
		.amdhsa_exception_fp_ieee_div_zero 0
		.amdhsa_exception_fp_ieee_overflow 0
		.amdhsa_exception_fp_ieee_underflow 0
		.amdhsa_exception_fp_ieee_inexact 0
		.amdhsa_exception_int_div_zero 0
	.end_amdhsa_kernel
	.section	.text._ZN2at6native29vectorized_elementwise_kernelILi16ENS0_13BinaryFunctorIfffZZZNS0_20copysign_kernel_cudaERNS_18TensorIteratorBaseEENKUlvE_clEvENKUlvE0_clEvEUlffE_EESt5arrayIPcLm3EEEEviT0_T1_,"axG",@progbits,_ZN2at6native29vectorized_elementwise_kernelILi16ENS0_13BinaryFunctorIfffZZZNS0_20copysign_kernel_cudaERNS_18TensorIteratorBaseEENKUlvE_clEvENKUlvE0_clEvEUlffE_EESt5arrayIPcLm3EEEEviT0_T1_,comdat
.Lfunc_end88:
	.size	_ZN2at6native29vectorized_elementwise_kernelILi16ENS0_13BinaryFunctorIfffZZZNS0_20copysign_kernel_cudaERNS_18TensorIteratorBaseEENKUlvE_clEvENKUlvE0_clEvEUlffE_EESt5arrayIPcLm3EEEEviT0_T1_, .Lfunc_end88-_ZN2at6native29vectorized_elementwise_kernelILi16ENS0_13BinaryFunctorIfffZZZNS0_20copysign_kernel_cudaERNS_18TensorIteratorBaseEENKUlvE_clEvENKUlvE0_clEvEUlffE_EESt5arrayIPcLm3EEEEviT0_T1_
                                        ; -- End function
	.section	.AMDGPU.csdata,"",@progbits
; Kernel info:
; codeLenInByte = 900
; NumSgprs: 20
; NumVgprs: 16
; NumAgprs: 0
; TotalNumVgprs: 16
; ScratchSize: 0
; MemoryBound: 0
; FloatMode: 240
; IeeeMode: 1
; LDSByteSize: 0 bytes/workgroup (compile time only)
; SGPRBlocks: 2
; VGPRBlocks: 1
; NumSGPRsForWavesPerEU: 20
; NumVGPRsForWavesPerEU: 16
; AccumOffset: 16
; Occupancy: 8
; WaveLimiterHint : 0
; COMPUTE_PGM_RSRC2:SCRATCH_EN: 0
; COMPUTE_PGM_RSRC2:USER_SGPR: 6
; COMPUTE_PGM_RSRC2:TRAP_HANDLER: 0
; COMPUTE_PGM_RSRC2:TGID_X_EN: 1
; COMPUTE_PGM_RSRC2:TGID_Y_EN: 0
; COMPUTE_PGM_RSRC2:TGID_Z_EN: 0
; COMPUTE_PGM_RSRC2:TIDIG_COMP_CNT: 0
; COMPUTE_PGM_RSRC3_GFX90A:ACCUM_OFFSET: 3
; COMPUTE_PGM_RSRC3_GFX90A:TG_SPLIT: 0
	.section	.text._ZN2at6native29vectorized_elementwise_kernelILi8ENS0_13BinaryFunctorIfffZZZNS0_20copysign_kernel_cudaERNS_18TensorIteratorBaseEENKUlvE_clEvENKUlvE0_clEvEUlffE_EESt5arrayIPcLm3EEEEviT0_T1_,"axG",@progbits,_ZN2at6native29vectorized_elementwise_kernelILi8ENS0_13BinaryFunctorIfffZZZNS0_20copysign_kernel_cudaERNS_18TensorIteratorBaseEENKUlvE_clEvENKUlvE0_clEvEUlffE_EESt5arrayIPcLm3EEEEviT0_T1_,comdat
	.globl	_ZN2at6native29vectorized_elementwise_kernelILi8ENS0_13BinaryFunctorIfffZZZNS0_20copysign_kernel_cudaERNS_18TensorIteratorBaseEENKUlvE_clEvENKUlvE0_clEvEUlffE_EESt5arrayIPcLm3EEEEviT0_T1_ ; -- Begin function _ZN2at6native29vectorized_elementwise_kernelILi8ENS0_13BinaryFunctorIfffZZZNS0_20copysign_kernel_cudaERNS_18TensorIteratorBaseEENKUlvE_clEvENKUlvE0_clEvEUlffE_EESt5arrayIPcLm3EEEEviT0_T1_
	.p2align	8
	.type	_ZN2at6native29vectorized_elementwise_kernelILi8ENS0_13BinaryFunctorIfffZZZNS0_20copysign_kernel_cudaERNS_18TensorIteratorBaseEENKUlvE_clEvENKUlvE0_clEvEUlffE_EESt5arrayIPcLm3EEEEviT0_T1_,@function
_ZN2at6native29vectorized_elementwise_kernelILi8ENS0_13BinaryFunctorIfffZZZNS0_20copysign_kernel_cudaERNS_18TensorIteratorBaseEENKUlvE_clEvENKUlvE0_clEvEUlffE_EESt5arrayIPcLm3EEEEviT0_T1_: ; @_ZN2at6native29vectorized_elementwise_kernelILi8ENS0_13BinaryFunctorIfffZZZNS0_20copysign_kernel_cudaERNS_18TensorIteratorBaseEENKUlvE_clEvENKUlvE0_clEvEUlffE_EESt5arrayIPcLm3EEEEviT0_T1_
; %bb.0:
	s_load_dword s0, s[4:5], 0x0
	s_load_dwordx4 s[8:11], s[4:5], 0x8
	s_load_dwordx2 s[12:13], s[4:5], 0x18
	s_lshl_b32 s2, s6, 10
	s_waitcnt lgkmcnt(0)
	s_sub_i32 s6, s0, s2
	s_cmpk_gt_i32 s6, 0x3ff
	s_mov_b64 s[0:1], -1
	s_cbranch_scc0 .LBB89_2
; %bb.1:
	s_ashr_i32 s3, s2, 31
	s_lshl_b64 s[0:1], s[2:3], 2
	s_add_u32 s4, s10, s0
	s_addc_u32 s5, s11, s1
	v_lshlrev_b32_e32 v1, 4, v0
	s_add_u32 s14, s12, s0
	s_addc_u32 s15, s13, s1
	global_load_dwordx4 v[2:5], v1, s[4:5]
	global_load_dwordx4 v[6:9], v1, s[14:15]
	s_brev_b32 s3, -2
	s_add_u32 s0, s8, s0
	s_addc_u32 s1, s9, s1
	s_waitcnt vmcnt(0)
	v_bfi_b32 v3, s3, v3, v7
	v_bfi_b32 v2, s3, v2, v6
	;; [unrolled: 1-line block ×4, first 2 shown]
	global_store_dwordx4 v1, v[2:5], s[0:1]
	s_mov_b64 s[0:1], 0
.LBB89_2:
	s_andn2_b64 vcc, exec, s[0:1]
	s_cbranch_vccnz .LBB89_16
; %bb.3:
	v_cmp_gt_i32_e32 vcc, s6, v0
	v_mov_b32_e32 v1, 0
	v_or_b32_e32 v2, s2, v0
	v_mov_b32_e32 v3, 0
	v_mov_b32_e32 v4, 0
	;; [unrolled: 1-line block ×3, first 2 shown]
	s_and_saveexec_b64 s[4:5], vcc
	s_cbranch_execz .LBB89_5
; %bb.4:
	v_mov_b32_e32 v3, 0
	v_lshlrev_b64 v[4:5], 2, v[2:3]
	v_mov_b32_e32 v3, s13
	v_add_co_u32_e64 v6, s[0:1], s12, v4
	v_addc_co_u32_e64 v7, s[0:1], v3, v5, s[0:1]
	v_mov_b32_e32 v3, s11
	v_add_co_u32_e64 v8, s[0:1], s10, v4
	v_addc_co_u32_e64 v9, s[0:1], v3, v5, s[0:1]
	global_load_dword v3, v[8:9], off
	global_load_dword v4, v[6:7], off
	v_or_b32_e32 v5, 0x100, v0
.LBB89_5:
	s_or_b64 exec, exec, s[4:5]
	v_cmp_gt_i32_e64 s[0:1], s6, v5
	v_mov_b32_e32 v6, 0
	s_and_saveexec_b64 s[4:5], s[0:1]
	s_cbranch_execz .LBB89_7
; %bb.6:
	v_add_u32_e32 v6, s2, v5
	v_mov_b32_e32 v7, 0
	v_lshlrev_b64 v[6:7], 2, v[6:7]
	v_mov_b32_e32 v1, s13
	v_add_co_u32_e64 v8, s[0:1], s12, v6
	v_addc_co_u32_e64 v9, s[0:1], v1, v7, s[0:1]
	v_mov_b32_e32 v1, s11
	v_add_co_u32_e64 v10, s[0:1], s10, v6
	v_addc_co_u32_e64 v11, s[0:1], v1, v7, s[0:1]
	global_load_dword v1, v[10:11], off
	global_load_dword v6, v[8:9], off
	v_add_u32_e32 v5, 0x100, v5
.LBB89_7:
	s_or_b64 exec, exec, s[4:5]
	v_cmp_gt_i32_e64 s[0:1], s6, v5
	v_mov_b32_e32 v7, 0
	v_mov_b32_e32 v8, 0
	;; [unrolled: 1-line block ×3, first 2 shown]
	s_and_saveexec_b64 s[4:5], s[0:1]
	s_cbranch_execz .LBB89_9
; %bb.8:
	v_add_u32_e32 v8, s2, v5
	v_mov_b32_e32 v9, 0
	v_lshlrev_b64 v[8:9], 2, v[8:9]
	v_mov_b32_e32 v11, s13
	v_add_co_u32_e64 v10, s[0:1], s12, v8
	v_addc_co_u32_e64 v11, s[0:1], v11, v9, s[0:1]
	v_mov_b32_e32 v13, s11
	v_add_co_u32_e64 v12, s[0:1], s10, v8
	v_addc_co_u32_e64 v13, s[0:1], v13, v9, s[0:1]
	global_load_dword v8, v[12:13], off
	global_load_dword v9, v[10:11], off
	v_add_u32_e32 v5, 0x100, v5
.LBB89_9:
	s_or_b64 exec, exec, s[4:5]
	v_cmp_gt_i32_e64 s[0:1], s6, v5
	v_mov_b32_e32 v11, 0
	s_and_saveexec_b64 s[4:5], s[0:1]
	s_cbranch_execz .LBB89_11
; %bb.10:
	v_add_u32_e32 v10, s2, v5
	v_mov_b32_e32 v11, 0
	v_lshlrev_b64 v[10:11], 2, v[10:11]
	v_mov_b32_e32 v5, s13
	v_add_co_u32_e64 v12, s[0:1], s12, v10
	v_addc_co_u32_e64 v13, s[0:1], v5, v11, s[0:1]
	v_mov_b32_e32 v5, s11
	v_add_co_u32_e64 v14, s[0:1], s10, v10
	v_addc_co_u32_e64 v15, s[0:1], v5, v11, s[0:1]
	global_load_dword v7, v[14:15], off
	global_load_dword v11, v[12:13], off
.LBB89_11:
	s_or_b64 exec, exec, s[4:5]
	s_brev_b32 s0, -2
	s_waitcnt vmcnt(0)
	v_bfi_b32 v10, s0, v3, v4
	v_bfi_b32 v5, s0, v1, v6
	;; [unrolled: 1-line block ×4, first 2 shown]
	s_and_saveexec_b64 s[0:1], vcc
	s_cbranch_execnz .LBB89_17
; %bb.12:
	s_or_b64 exec, exec, s[0:1]
	v_cmp_gt_i32_e32 vcc, s6, v0
	s_and_saveexec_b64 s[0:1], vcc
	s_cbranch_execnz .LBB89_18
.LBB89_13:
	s_or_b64 exec, exec, s[0:1]
	v_cmp_gt_i32_e32 vcc, s6, v0
	s_and_saveexec_b64 s[0:1], vcc
	s_cbranch_execnz .LBB89_19
.LBB89_14:
	s_or_b64 exec, exec, s[0:1]
	v_cmp_gt_i32_e32 vcc, s6, v0
	s_and_saveexec_b64 s[0:1], vcc
	s_cbranch_execz .LBB89_16
.LBB89_15:
	v_add_u32_e32 v2, s2, v0
	v_mov_b32_e32 v3, 0
	v_lshlrev_b64 v[2:3], 2, v[2:3]
	v_mov_b32_e32 v0, s9
	v_add_co_u32_e32 v2, vcc, s8, v2
	v_addc_co_u32_e32 v3, vcc, v0, v3, vcc
	global_store_dword v[2:3], v1, off
.LBB89_16:
	s_endpgm
.LBB89_17:
	v_mov_b32_e32 v3, 0
	v_lshlrev_b64 v[2:3], 2, v[2:3]
	v_mov_b32_e32 v6, s9
	v_add_co_u32_e32 v2, vcc, s8, v2
	v_or_b32_e32 v0, 0x100, v0
	v_addc_co_u32_e32 v3, vcc, v6, v3, vcc
	global_store_dword v[2:3], v10, off
	s_or_b64 exec, exec, s[0:1]
	v_cmp_gt_i32_e32 vcc, s6, v0
	s_and_saveexec_b64 s[0:1], vcc
	s_cbranch_execz .LBB89_13
.LBB89_18:
	v_add_u32_e32 v2, s2, v0
	v_mov_b32_e32 v3, 0
	v_lshlrev_b64 v[2:3], 2, v[2:3]
	v_mov_b32_e32 v6, s9
	v_add_co_u32_e32 v2, vcc, s8, v2
	v_addc_co_u32_e32 v3, vcc, v6, v3, vcc
	v_add_u32_e32 v0, 0x100, v0
	global_store_dword v[2:3], v5, off
	s_or_b64 exec, exec, s[0:1]
	v_cmp_gt_i32_e32 vcc, s6, v0
	s_and_saveexec_b64 s[0:1], vcc
	s_cbranch_execz .LBB89_14
.LBB89_19:
	v_add_u32_e32 v2, s2, v0
	v_mov_b32_e32 v3, 0
	v_lshlrev_b64 v[2:3], 2, v[2:3]
	v_mov_b32_e32 v5, s9
	v_add_co_u32_e32 v2, vcc, s8, v2
	v_addc_co_u32_e32 v3, vcc, v5, v3, vcc
	v_add_u32_e32 v0, 0x100, v0
	global_store_dword v[2:3], v4, off
	s_or_b64 exec, exec, s[0:1]
	v_cmp_gt_i32_e32 vcc, s6, v0
	s_and_saveexec_b64 s[0:1], vcc
	s_cbranch_execnz .LBB89_15
	s_branch .LBB89_16
	.section	.rodata,"a",@progbits
	.p2align	6, 0x0
	.amdhsa_kernel _ZN2at6native29vectorized_elementwise_kernelILi8ENS0_13BinaryFunctorIfffZZZNS0_20copysign_kernel_cudaERNS_18TensorIteratorBaseEENKUlvE_clEvENKUlvE0_clEvEUlffE_EESt5arrayIPcLm3EEEEviT0_T1_
		.amdhsa_group_segment_fixed_size 0
		.amdhsa_private_segment_fixed_size 0
		.amdhsa_kernarg_size 32
		.amdhsa_user_sgpr_count 6
		.amdhsa_user_sgpr_private_segment_buffer 1
		.amdhsa_user_sgpr_dispatch_ptr 0
		.amdhsa_user_sgpr_queue_ptr 0
		.amdhsa_user_sgpr_kernarg_segment_ptr 1
		.amdhsa_user_sgpr_dispatch_id 0
		.amdhsa_user_sgpr_flat_scratch_init 0
		.amdhsa_user_sgpr_kernarg_preload_length 0
		.amdhsa_user_sgpr_kernarg_preload_offset 0
		.amdhsa_user_sgpr_private_segment_size 0
		.amdhsa_uses_dynamic_stack 0
		.amdhsa_system_sgpr_private_segment_wavefront_offset 0
		.amdhsa_system_sgpr_workgroup_id_x 1
		.amdhsa_system_sgpr_workgroup_id_y 0
		.amdhsa_system_sgpr_workgroup_id_z 0
		.amdhsa_system_sgpr_workgroup_info 0
		.amdhsa_system_vgpr_workitem_id 0
		.amdhsa_next_free_vgpr 16
		.amdhsa_next_free_sgpr 16
		.amdhsa_accum_offset 16
		.amdhsa_reserve_vcc 1
		.amdhsa_reserve_flat_scratch 0
		.amdhsa_float_round_mode_32 0
		.amdhsa_float_round_mode_16_64 0
		.amdhsa_float_denorm_mode_32 3
		.amdhsa_float_denorm_mode_16_64 3
		.amdhsa_dx10_clamp 1
		.amdhsa_ieee_mode 1
		.amdhsa_fp16_overflow 0
		.amdhsa_tg_split 0
		.amdhsa_exception_fp_ieee_invalid_op 0
		.amdhsa_exception_fp_denorm_src 0
		.amdhsa_exception_fp_ieee_div_zero 0
		.amdhsa_exception_fp_ieee_overflow 0
		.amdhsa_exception_fp_ieee_underflow 0
		.amdhsa_exception_fp_ieee_inexact 0
		.amdhsa_exception_int_div_zero 0
	.end_amdhsa_kernel
	.section	.text._ZN2at6native29vectorized_elementwise_kernelILi8ENS0_13BinaryFunctorIfffZZZNS0_20copysign_kernel_cudaERNS_18TensorIteratorBaseEENKUlvE_clEvENKUlvE0_clEvEUlffE_EESt5arrayIPcLm3EEEEviT0_T1_,"axG",@progbits,_ZN2at6native29vectorized_elementwise_kernelILi8ENS0_13BinaryFunctorIfffZZZNS0_20copysign_kernel_cudaERNS_18TensorIteratorBaseEENKUlvE_clEvENKUlvE0_clEvEUlffE_EESt5arrayIPcLm3EEEEviT0_T1_,comdat
.Lfunc_end89:
	.size	_ZN2at6native29vectorized_elementwise_kernelILi8ENS0_13BinaryFunctorIfffZZZNS0_20copysign_kernel_cudaERNS_18TensorIteratorBaseEENKUlvE_clEvENKUlvE0_clEvEUlffE_EESt5arrayIPcLm3EEEEviT0_T1_, .Lfunc_end89-_ZN2at6native29vectorized_elementwise_kernelILi8ENS0_13BinaryFunctorIfffZZZNS0_20copysign_kernel_cudaERNS_18TensorIteratorBaseEENKUlvE_clEvENKUlvE0_clEvEUlffE_EESt5arrayIPcLm3EEEEviT0_T1_
                                        ; -- End function
	.section	.AMDGPU.csdata,"",@progbits
; Kernel info:
; codeLenInByte = 900
; NumSgprs: 20
; NumVgprs: 16
; NumAgprs: 0
; TotalNumVgprs: 16
; ScratchSize: 0
; MemoryBound: 0
; FloatMode: 240
; IeeeMode: 1
; LDSByteSize: 0 bytes/workgroup (compile time only)
; SGPRBlocks: 2
; VGPRBlocks: 1
; NumSGPRsForWavesPerEU: 20
; NumVGPRsForWavesPerEU: 16
; AccumOffset: 16
; Occupancy: 8
; WaveLimiterHint : 0
; COMPUTE_PGM_RSRC2:SCRATCH_EN: 0
; COMPUTE_PGM_RSRC2:USER_SGPR: 6
; COMPUTE_PGM_RSRC2:TRAP_HANDLER: 0
; COMPUTE_PGM_RSRC2:TGID_X_EN: 1
; COMPUTE_PGM_RSRC2:TGID_Y_EN: 0
; COMPUTE_PGM_RSRC2:TGID_Z_EN: 0
; COMPUTE_PGM_RSRC2:TIDIG_COMP_CNT: 0
; COMPUTE_PGM_RSRC3_GFX90A:ACCUM_OFFSET: 3
; COMPUTE_PGM_RSRC3_GFX90A:TG_SPLIT: 0
	.section	.text._ZN2at6native29vectorized_elementwise_kernelILi4ENS0_13BinaryFunctorIfffZZZNS0_20copysign_kernel_cudaERNS_18TensorIteratorBaseEENKUlvE_clEvENKUlvE0_clEvEUlffE_EESt5arrayIPcLm3EEEEviT0_T1_,"axG",@progbits,_ZN2at6native29vectorized_elementwise_kernelILi4ENS0_13BinaryFunctorIfffZZZNS0_20copysign_kernel_cudaERNS_18TensorIteratorBaseEENKUlvE_clEvENKUlvE0_clEvEUlffE_EESt5arrayIPcLm3EEEEviT0_T1_,comdat
	.globl	_ZN2at6native29vectorized_elementwise_kernelILi4ENS0_13BinaryFunctorIfffZZZNS0_20copysign_kernel_cudaERNS_18TensorIteratorBaseEENKUlvE_clEvENKUlvE0_clEvEUlffE_EESt5arrayIPcLm3EEEEviT0_T1_ ; -- Begin function _ZN2at6native29vectorized_elementwise_kernelILi4ENS0_13BinaryFunctorIfffZZZNS0_20copysign_kernel_cudaERNS_18TensorIteratorBaseEENKUlvE_clEvENKUlvE0_clEvEUlffE_EESt5arrayIPcLm3EEEEviT0_T1_
	.p2align	8
	.type	_ZN2at6native29vectorized_elementwise_kernelILi4ENS0_13BinaryFunctorIfffZZZNS0_20copysign_kernel_cudaERNS_18TensorIteratorBaseEENKUlvE_clEvENKUlvE0_clEvEUlffE_EESt5arrayIPcLm3EEEEviT0_T1_,@function
_ZN2at6native29vectorized_elementwise_kernelILi4ENS0_13BinaryFunctorIfffZZZNS0_20copysign_kernel_cudaERNS_18TensorIteratorBaseEENKUlvE_clEvENKUlvE0_clEvEUlffE_EESt5arrayIPcLm3EEEEviT0_T1_: ; @_ZN2at6native29vectorized_elementwise_kernelILi4ENS0_13BinaryFunctorIfffZZZNS0_20copysign_kernel_cudaERNS_18TensorIteratorBaseEENKUlvE_clEvENKUlvE0_clEvEUlffE_EESt5arrayIPcLm3EEEEviT0_T1_
; %bb.0:
	s_load_dword s0, s[4:5], 0x0
	s_load_dwordx4 s[8:11], s[4:5], 0x8
	s_load_dwordx2 s[12:13], s[4:5], 0x18
	s_lshl_b32 s2, s6, 10
	s_waitcnt lgkmcnt(0)
	s_sub_i32 s6, s0, s2
	s_cmpk_gt_i32 s6, 0x3ff
	s_mov_b64 s[0:1], -1
	s_cbranch_scc0 .LBB90_2
; %bb.1:
	s_ashr_i32 s3, s2, 31
	s_lshl_b64 s[0:1], s[2:3], 2
	s_add_u32 s4, s10, s0
	s_addc_u32 s5, s11, s1
	v_lshlrev_b32_e32 v1, 4, v0
	s_add_u32 s14, s12, s0
	s_addc_u32 s15, s13, s1
	global_load_dwordx4 v[2:5], v1, s[4:5]
	global_load_dwordx4 v[6:9], v1, s[14:15]
	s_brev_b32 s3, -2
	s_add_u32 s0, s8, s0
	s_addc_u32 s1, s9, s1
	s_waitcnt vmcnt(0)
	v_bfi_b32 v3, s3, v3, v7
	v_bfi_b32 v2, s3, v2, v6
	v_bfi_b32 v5, s3, v5, v9
	v_bfi_b32 v4, s3, v4, v8
	global_store_dwordx4 v1, v[2:5], s[0:1]
	s_mov_b64 s[0:1], 0
.LBB90_2:
	s_andn2_b64 vcc, exec, s[0:1]
	s_cbranch_vccnz .LBB90_16
; %bb.3:
	v_cmp_gt_i32_e32 vcc, s6, v0
	v_mov_b32_e32 v1, 0
	v_or_b32_e32 v2, s2, v0
	v_mov_b32_e32 v3, 0
	v_mov_b32_e32 v4, 0
	;; [unrolled: 1-line block ×3, first 2 shown]
	s_and_saveexec_b64 s[4:5], vcc
	s_cbranch_execz .LBB90_5
; %bb.4:
	v_mov_b32_e32 v3, 0
	v_lshlrev_b64 v[4:5], 2, v[2:3]
	v_mov_b32_e32 v3, s13
	v_add_co_u32_e64 v6, s[0:1], s12, v4
	v_addc_co_u32_e64 v7, s[0:1], v3, v5, s[0:1]
	v_mov_b32_e32 v3, s11
	v_add_co_u32_e64 v8, s[0:1], s10, v4
	v_addc_co_u32_e64 v9, s[0:1], v3, v5, s[0:1]
	global_load_dword v3, v[8:9], off
	global_load_dword v4, v[6:7], off
	v_or_b32_e32 v5, 0x100, v0
.LBB90_5:
	s_or_b64 exec, exec, s[4:5]
	v_cmp_gt_i32_e64 s[0:1], s6, v5
	v_mov_b32_e32 v6, 0
	s_and_saveexec_b64 s[4:5], s[0:1]
	s_cbranch_execz .LBB90_7
; %bb.6:
	v_add_u32_e32 v6, s2, v5
	v_mov_b32_e32 v7, 0
	v_lshlrev_b64 v[6:7], 2, v[6:7]
	v_mov_b32_e32 v1, s13
	v_add_co_u32_e64 v8, s[0:1], s12, v6
	v_addc_co_u32_e64 v9, s[0:1], v1, v7, s[0:1]
	v_mov_b32_e32 v1, s11
	v_add_co_u32_e64 v10, s[0:1], s10, v6
	v_addc_co_u32_e64 v11, s[0:1], v1, v7, s[0:1]
	global_load_dword v1, v[10:11], off
	global_load_dword v6, v[8:9], off
	v_add_u32_e32 v5, 0x100, v5
.LBB90_7:
	s_or_b64 exec, exec, s[4:5]
	v_cmp_gt_i32_e64 s[0:1], s6, v5
	v_mov_b32_e32 v7, 0
	v_mov_b32_e32 v8, 0
	;; [unrolled: 1-line block ×3, first 2 shown]
	s_and_saveexec_b64 s[4:5], s[0:1]
	s_cbranch_execz .LBB90_9
; %bb.8:
	v_add_u32_e32 v8, s2, v5
	v_mov_b32_e32 v9, 0
	v_lshlrev_b64 v[8:9], 2, v[8:9]
	v_mov_b32_e32 v11, s13
	v_add_co_u32_e64 v10, s[0:1], s12, v8
	v_addc_co_u32_e64 v11, s[0:1], v11, v9, s[0:1]
	v_mov_b32_e32 v13, s11
	v_add_co_u32_e64 v12, s[0:1], s10, v8
	v_addc_co_u32_e64 v13, s[0:1], v13, v9, s[0:1]
	global_load_dword v8, v[12:13], off
	global_load_dword v9, v[10:11], off
	v_add_u32_e32 v5, 0x100, v5
.LBB90_9:
	s_or_b64 exec, exec, s[4:5]
	v_cmp_gt_i32_e64 s[0:1], s6, v5
	v_mov_b32_e32 v11, 0
	s_and_saveexec_b64 s[4:5], s[0:1]
	s_cbranch_execz .LBB90_11
; %bb.10:
	v_add_u32_e32 v10, s2, v5
	v_mov_b32_e32 v11, 0
	v_lshlrev_b64 v[10:11], 2, v[10:11]
	v_mov_b32_e32 v5, s13
	v_add_co_u32_e64 v12, s[0:1], s12, v10
	v_addc_co_u32_e64 v13, s[0:1], v5, v11, s[0:1]
	v_mov_b32_e32 v5, s11
	v_add_co_u32_e64 v14, s[0:1], s10, v10
	v_addc_co_u32_e64 v15, s[0:1], v5, v11, s[0:1]
	global_load_dword v7, v[14:15], off
	global_load_dword v11, v[12:13], off
.LBB90_11:
	s_or_b64 exec, exec, s[4:5]
	s_brev_b32 s0, -2
	s_waitcnt vmcnt(0)
	v_bfi_b32 v10, s0, v3, v4
	v_bfi_b32 v5, s0, v1, v6
	;; [unrolled: 1-line block ×4, first 2 shown]
	s_and_saveexec_b64 s[0:1], vcc
	s_cbranch_execnz .LBB90_17
; %bb.12:
	s_or_b64 exec, exec, s[0:1]
	v_cmp_gt_i32_e32 vcc, s6, v0
	s_and_saveexec_b64 s[0:1], vcc
	s_cbranch_execnz .LBB90_18
.LBB90_13:
	s_or_b64 exec, exec, s[0:1]
	v_cmp_gt_i32_e32 vcc, s6, v0
	s_and_saveexec_b64 s[0:1], vcc
	s_cbranch_execnz .LBB90_19
.LBB90_14:
	s_or_b64 exec, exec, s[0:1]
	v_cmp_gt_i32_e32 vcc, s6, v0
	s_and_saveexec_b64 s[0:1], vcc
	s_cbranch_execz .LBB90_16
.LBB90_15:
	v_add_u32_e32 v2, s2, v0
	v_mov_b32_e32 v3, 0
	v_lshlrev_b64 v[2:3], 2, v[2:3]
	v_mov_b32_e32 v0, s9
	v_add_co_u32_e32 v2, vcc, s8, v2
	v_addc_co_u32_e32 v3, vcc, v0, v3, vcc
	global_store_dword v[2:3], v1, off
.LBB90_16:
	s_endpgm
.LBB90_17:
	v_mov_b32_e32 v3, 0
	v_lshlrev_b64 v[2:3], 2, v[2:3]
	v_mov_b32_e32 v6, s9
	v_add_co_u32_e32 v2, vcc, s8, v2
	v_or_b32_e32 v0, 0x100, v0
	v_addc_co_u32_e32 v3, vcc, v6, v3, vcc
	global_store_dword v[2:3], v10, off
	s_or_b64 exec, exec, s[0:1]
	v_cmp_gt_i32_e32 vcc, s6, v0
	s_and_saveexec_b64 s[0:1], vcc
	s_cbranch_execz .LBB90_13
.LBB90_18:
	v_add_u32_e32 v2, s2, v0
	v_mov_b32_e32 v3, 0
	v_lshlrev_b64 v[2:3], 2, v[2:3]
	v_mov_b32_e32 v6, s9
	v_add_co_u32_e32 v2, vcc, s8, v2
	v_addc_co_u32_e32 v3, vcc, v6, v3, vcc
	v_add_u32_e32 v0, 0x100, v0
	global_store_dword v[2:3], v5, off
	s_or_b64 exec, exec, s[0:1]
	v_cmp_gt_i32_e32 vcc, s6, v0
	s_and_saveexec_b64 s[0:1], vcc
	s_cbranch_execz .LBB90_14
.LBB90_19:
	v_add_u32_e32 v2, s2, v0
	v_mov_b32_e32 v3, 0
	v_lshlrev_b64 v[2:3], 2, v[2:3]
	v_mov_b32_e32 v5, s9
	v_add_co_u32_e32 v2, vcc, s8, v2
	v_addc_co_u32_e32 v3, vcc, v5, v3, vcc
	v_add_u32_e32 v0, 0x100, v0
	global_store_dword v[2:3], v4, off
	s_or_b64 exec, exec, s[0:1]
	v_cmp_gt_i32_e32 vcc, s6, v0
	s_and_saveexec_b64 s[0:1], vcc
	s_cbranch_execnz .LBB90_15
	s_branch .LBB90_16
	.section	.rodata,"a",@progbits
	.p2align	6, 0x0
	.amdhsa_kernel _ZN2at6native29vectorized_elementwise_kernelILi4ENS0_13BinaryFunctorIfffZZZNS0_20copysign_kernel_cudaERNS_18TensorIteratorBaseEENKUlvE_clEvENKUlvE0_clEvEUlffE_EESt5arrayIPcLm3EEEEviT0_T1_
		.amdhsa_group_segment_fixed_size 0
		.amdhsa_private_segment_fixed_size 0
		.amdhsa_kernarg_size 32
		.amdhsa_user_sgpr_count 6
		.amdhsa_user_sgpr_private_segment_buffer 1
		.amdhsa_user_sgpr_dispatch_ptr 0
		.amdhsa_user_sgpr_queue_ptr 0
		.amdhsa_user_sgpr_kernarg_segment_ptr 1
		.amdhsa_user_sgpr_dispatch_id 0
		.amdhsa_user_sgpr_flat_scratch_init 0
		.amdhsa_user_sgpr_kernarg_preload_length 0
		.amdhsa_user_sgpr_kernarg_preload_offset 0
		.amdhsa_user_sgpr_private_segment_size 0
		.amdhsa_uses_dynamic_stack 0
		.amdhsa_system_sgpr_private_segment_wavefront_offset 0
		.amdhsa_system_sgpr_workgroup_id_x 1
		.amdhsa_system_sgpr_workgroup_id_y 0
		.amdhsa_system_sgpr_workgroup_id_z 0
		.amdhsa_system_sgpr_workgroup_info 0
		.amdhsa_system_vgpr_workitem_id 0
		.amdhsa_next_free_vgpr 16
		.amdhsa_next_free_sgpr 16
		.amdhsa_accum_offset 16
		.amdhsa_reserve_vcc 1
		.amdhsa_reserve_flat_scratch 0
		.amdhsa_float_round_mode_32 0
		.amdhsa_float_round_mode_16_64 0
		.amdhsa_float_denorm_mode_32 3
		.amdhsa_float_denorm_mode_16_64 3
		.amdhsa_dx10_clamp 1
		.amdhsa_ieee_mode 1
		.amdhsa_fp16_overflow 0
		.amdhsa_tg_split 0
		.amdhsa_exception_fp_ieee_invalid_op 0
		.amdhsa_exception_fp_denorm_src 0
		.amdhsa_exception_fp_ieee_div_zero 0
		.amdhsa_exception_fp_ieee_overflow 0
		.amdhsa_exception_fp_ieee_underflow 0
		.amdhsa_exception_fp_ieee_inexact 0
		.amdhsa_exception_int_div_zero 0
	.end_amdhsa_kernel
	.section	.text._ZN2at6native29vectorized_elementwise_kernelILi4ENS0_13BinaryFunctorIfffZZZNS0_20copysign_kernel_cudaERNS_18TensorIteratorBaseEENKUlvE_clEvENKUlvE0_clEvEUlffE_EESt5arrayIPcLm3EEEEviT0_T1_,"axG",@progbits,_ZN2at6native29vectorized_elementwise_kernelILi4ENS0_13BinaryFunctorIfffZZZNS0_20copysign_kernel_cudaERNS_18TensorIteratorBaseEENKUlvE_clEvENKUlvE0_clEvEUlffE_EESt5arrayIPcLm3EEEEviT0_T1_,comdat
.Lfunc_end90:
	.size	_ZN2at6native29vectorized_elementwise_kernelILi4ENS0_13BinaryFunctorIfffZZZNS0_20copysign_kernel_cudaERNS_18TensorIteratorBaseEENKUlvE_clEvENKUlvE0_clEvEUlffE_EESt5arrayIPcLm3EEEEviT0_T1_, .Lfunc_end90-_ZN2at6native29vectorized_elementwise_kernelILi4ENS0_13BinaryFunctorIfffZZZNS0_20copysign_kernel_cudaERNS_18TensorIteratorBaseEENKUlvE_clEvENKUlvE0_clEvEUlffE_EESt5arrayIPcLm3EEEEviT0_T1_
                                        ; -- End function
	.section	.AMDGPU.csdata,"",@progbits
; Kernel info:
; codeLenInByte = 900
; NumSgprs: 20
; NumVgprs: 16
; NumAgprs: 0
; TotalNumVgprs: 16
; ScratchSize: 0
; MemoryBound: 0
; FloatMode: 240
; IeeeMode: 1
; LDSByteSize: 0 bytes/workgroup (compile time only)
; SGPRBlocks: 2
; VGPRBlocks: 1
; NumSGPRsForWavesPerEU: 20
; NumVGPRsForWavesPerEU: 16
; AccumOffset: 16
; Occupancy: 8
; WaveLimiterHint : 0
; COMPUTE_PGM_RSRC2:SCRATCH_EN: 0
; COMPUTE_PGM_RSRC2:USER_SGPR: 6
; COMPUTE_PGM_RSRC2:TRAP_HANDLER: 0
; COMPUTE_PGM_RSRC2:TGID_X_EN: 1
; COMPUTE_PGM_RSRC2:TGID_Y_EN: 0
; COMPUTE_PGM_RSRC2:TGID_Z_EN: 0
; COMPUTE_PGM_RSRC2:TIDIG_COMP_CNT: 0
; COMPUTE_PGM_RSRC3_GFX90A:ACCUM_OFFSET: 3
; COMPUTE_PGM_RSRC3_GFX90A:TG_SPLIT: 0
	.section	.text._ZN2at6native29vectorized_elementwise_kernelILi2ENS0_13BinaryFunctorIfffZZZNS0_20copysign_kernel_cudaERNS_18TensorIteratorBaseEENKUlvE_clEvENKUlvE0_clEvEUlffE_EESt5arrayIPcLm3EEEEviT0_T1_,"axG",@progbits,_ZN2at6native29vectorized_elementwise_kernelILi2ENS0_13BinaryFunctorIfffZZZNS0_20copysign_kernel_cudaERNS_18TensorIteratorBaseEENKUlvE_clEvENKUlvE0_clEvEUlffE_EESt5arrayIPcLm3EEEEviT0_T1_,comdat
	.globl	_ZN2at6native29vectorized_elementwise_kernelILi2ENS0_13BinaryFunctorIfffZZZNS0_20copysign_kernel_cudaERNS_18TensorIteratorBaseEENKUlvE_clEvENKUlvE0_clEvEUlffE_EESt5arrayIPcLm3EEEEviT0_T1_ ; -- Begin function _ZN2at6native29vectorized_elementwise_kernelILi2ENS0_13BinaryFunctorIfffZZZNS0_20copysign_kernel_cudaERNS_18TensorIteratorBaseEENKUlvE_clEvENKUlvE0_clEvEUlffE_EESt5arrayIPcLm3EEEEviT0_T1_
	.p2align	8
	.type	_ZN2at6native29vectorized_elementwise_kernelILi2ENS0_13BinaryFunctorIfffZZZNS0_20copysign_kernel_cudaERNS_18TensorIteratorBaseEENKUlvE_clEvENKUlvE0_clEvEUlffE_EESt5arrayIPcLm3EEEEviT0_T1_,@function
_ZN2at6native29vectorized_elementwise_kernelILi2ENS0_13BinaryFunctorIfffZZZNS0_20copysign_kernel_cudaERNS_18TensorIteratorBaseEENKUlvE_clEvENKUlvE0_clEvEUlffE_EESt5arrayIPcLm3EEEEviT0_T1_: ; @_ZN2at6native29vectorized_elementwise_kernelILi2ENS0_13BinaryFunctorIfffZZZNS0_20copysign_kernel_cudaERNS_18TensorIteratorBaseEENKUlvE_clEvENKUlvE0_clEvEUlffE_EESt5arrayIPcLm3EEEEviT0_T1_
; %bb.0:
	s_load_dword s0, s[4:5], 0x0
	s_load_dwordx4 s[8:11], s[4:5], 0x8
	s_load_dwordx2 s[12:13], s[4:5], 0x18
	s_lshl_b32 s2, s6, 10
	s_waitcnt lgkmcnt(0)
	s_sub_i32 s6, s0, s2
	s_cmpk_gt_i32 s6, 0x3ff
	s_mov_b64 s[0:1], -1
	s_cbranch_scc0 .LBB91_2
; %bb.1:
	s_ashr_i32 s3, s2, 31
	s_lshl_b64 s[0:1], s[2:3], 2
	s_add_u32 s4, s10, s0
	s_addc_u32 s5, s11, s1
	v_lshlrev_b32_e32 v1, 3, v0
	s_add_u32 s14, s12, s0
	s_addc_u32 s15, s13, s1
	global_load_dwordx2 v[2:3], v1, s[4:5]
	global_load_dwordx2 v[4:5], v1, s[14:15]
	global_load_dwordx2 v[6:7], v1, s[14:15] offset:2048
	global_load_dwordx2 v[8:9], v1, s[4:5] offset:2048
	s_brev_b32 s3, -2
	s_add_u32 s0, s8, s0
	s_addc_u32 s1, s9, s1
	s_waitcnt vmcnt(2)
	v_bfi_b32 v3, s3, v3, v5
	v_bfi_b32 v2, s3, v2, v4
	s_waitcnt vmcnt(0)
	v_bfi_b32 v5, s3, v9, v7
	v_bfi_b32 v4, s3, v8, v6
	global_store_dwordx2 v1, v[2:3], s[0:1]
	global_store_dwordx2 v1, v[4:5], s[0:1] offset:2048
	s_mov_b64 s[0:1], 0
.LBB91_2:
	s_andn2_b64 vcc, exec, s[0:1]
	s_cbranch_vccnz .LBB91_16
; %bb.3:
	v_cmp_gt_i32_e32 vcc, s6, v0
	v_mov_b32_e32 v1, 0
	v_or_b32_e32 v2, s2, v0
	v_mov_b32_e32 v3, 0
	v_mov_b32_e32 v4, 0
	;; [unrolled: 1-line block ×3, first 2 shown]
	s_and_saveexec_b64 s[4:5], vcc
	s_cbranch_execz .LBB91_5
; %bb.4:
	v_mov_b32_e32 v3, 0
	v_lshlrev_b64 v[4:5], 2, v[2:3]
	v_mov_b32_e32 v3, s13
	v_add_co_u32_e64 v6, s[0:1], s12, v4
	v_addc_co_u32_e64 v7, s[0:1], v3, v5, s[0:1]
	v_mov_b32_e32 v3, s11
	v_add_co_u32_e64 v8, s[0:1], s10, v4
	v_addc_co_u32_e64 v9, s[0:1], v3, v5, s[0:1]
	global_load_dword v3, v[8:9], off
	global_load_dword v4, v[6:7], off
	v_or_b32_e32 v5, 0x100, v0
.LBB91_5:
	s_or_b64 exec, exec, s[4:5]
	v_cmp_gt_i32_e64 s[0:1], s6, v5
	v_mov_b32_e32 v6, 0
	s_and_saveexec_b64 s[4:5], s[0:1]
	s_cbranch_execz .LBB91_7
; %bb.6:
	v_add_u32_e32 v6, s2, v5
	v_mov_b32_e32 v7, 0
	v_lshlrev_b64 v[6:7], 2, v[6:7]
	v_mov_b32_e32 v1, s13
	v_add_co_u32_e64 v8, s[0:1], s12, v6
	v_addc_co_u32_e64 v9, s[0:1], v1, v7, s[0:1]
	v_mov_b32_e32 v1, s11
	v_add_co_u32_e64 v10, s[0:1], s10, v6
	v_addc_co_u32_e64 v11, s[0:1], v1, v7, s[0:1]
	global_load_dword v1, v[10:11], off
	global_load_dword v6, v[8:9], off
	v_add_u32_e32 v5, 0x100, v5
.LBB91_7:
	s_or_b64 exec, exec, s[4:5]
	v_cmp_gt_i32_e64 s[0:1], s6, v5
	v_mov_b32_e32 v7, 0
	v_mov_b32_e32 v8, 0
	;; [unrolled: 1-line block ×3, first 2 shown]
	s_and_saveexec_b64 s[4:5], s[0:1]
	s_cbranch_execz .LBB91_9
; %bb.8:
	v_add_u32_e32 v8, s2, v5
	v_mov_b32_e32 v9, 0
	v_lshlrev_b64 v[8:9], 2, v[8:9]
	v_mov_b32_e32 v11, s13
	v_add_co_u32_e64 v10, s[0:1], s12, v8
	v_addc_co_u32_e64 v11, s[0:1], v11, v9, s[0:1]
	v_mov_b32_e32 v13, s11
	v_add_co_u32_e64 v12, s[0:1], s10, v8
	v_addc_co_u32_e64 v13, s[0:1], v13, v9, s[0:1]
	global_load_dword v8, v[12:13], off
	global_load_dword v9, v[10:11], off
	v_add_u32_e32 v5, 0x100, v5
.LBB91_9:
	s_or_b64 exec, exec, s[4:5]
	v_cmp_gt_i32_e64 s[0:1], s6, v5
	v_mov_b32_e32 v11, 0
	s_and_saveexec_b64 s[4:5], s[0:1]
	s_cbranch_execz .LBB91_11
; %bb.10:
	v_add_u32_e32 v10, s2, v5
	v_mov_b32_e32 v11, 0
	v_lshlrev_b64 v[10:11], 2, v[10:11]
	v_mov_b32_e32 v5, s13
	v_add_co_u32_e64 v12, s[0:1], s12, v10
	v_addc_co_u32_e64 v13, s[0:1], v5, v11, s[0:1]
	v_mov_b32_e32 v5, s11
	v_add_co_u32_e64 v14, s[0:1], s10, v10
	v_addc_co_u32_e64 v15, s[0:1], v5, v11, s[0:1]
	global_load_dword v7, v[14:15], off
	global_load_dword v11, v[12:13], off
.LBB91_11:
	s_or_b64 exec, exec, s[4:5]
	s_brev_b32 s0, -2
	s_waitcnt vmcnt(0)
	v_bfi_b32 v10, s0, v3, v4
	v_bfi_b32 v5, s0, v1, v6
	;; [unrolled: 1-line block ×4, first 2 shown]
	s_and_saveexec_b64 s[0:1], vcc
	s_cbranch_execnz .LBB91_17
; %bb.12:
	s_or_b64 exec, exec, s[0:1]
	v_cmp_gt_i32_e32 vcc, s6, v0
	s_and_saveexec_b64 s[0:1], vcc
	s_cbranch_execnz .LBB91_18
.LBB91_13:
	s_or_b64 exec, exec, s[0:1]
	v_cmp_gt_i32_e32 vcc, s6, v0
	s_and_saveexec_b64 s[0:1], vcc
	s_cbranch_execnz .LBB91_19
.LBB91_14:
	s_or_b64 exec, exec, s[0:1]
	v_cmp_gt_i32_e32 vcc, s6, v0
	s_and_saveexec_b64 s[0:1], vcc
	s_cbranch_execz .LBB91_16
.LBB91_15:
	v_add_u32_e32 v2, s2, v0
	v_mov_b32_e32 v3, 0
	v_lshlrev_b64 v[2:3], 2, v[2:3]
	v_mov_b32_e32 v0, s9
	v_add_co_u32_e32 v2, vcc, s8, v2
	v_addc_co_u32_e32 v3, vcc, v0, v3, vcc
	global_store_dword v[2:3], v1, off
.LBB91_16:
	s_endpgm
.LBB91_17:
	v_mov_b32_e32 v3, 0
	v_lshlrev_b64 v[2:3], 2, v[2:3]
	v_mov_b32_e32 v6, s9
	v_add_co_u32_e32 v2, vcc, s8, v2
	v_or_b32_e32 v0, 0x100, v0
	v_addc_co_u32_e32 v3, vcc, v6, v3, vcc
	global_store_dword v[2:3], v10, off
	s_or_b64 exec, exec, s[0:1]
	v_cmp_gt_i32_e32 vcc, s6, v0
	s_and_saveexec_b64 s[0:1], vcc
	s_cbranch_execz .LBB91_13
.LBB91_18:
	v_add_u32_e32 v2, s2, v0
	v_mov_b32_e32 v3, 0
	v_lshlrev_b64 v[2:3], 2, v[2:3]
	v_mov_b32_e32 v6, s9
	v_add_co_u32_e32 v2, vcc, s8, v2
	v_addc_co_u32_e32 v3, vcc, v6, v3, vcc
	v_add_u32_e32 v0, 0x100, v0
	global_store_dword v[2:3], v5, off
	s_or_b64 exec, exec, s[0:1]
	v_cmp_gt_i32_e32 vcc, s6, v0
	s_and_saveexec_b64 s[0:1], vcc
	s_cbranch_execz .LBB91_14
.LBB91_19:
	v_add_u32_e32 v2, s2, v0
	v_mov_b32_e32 v3, 0
	v_lshlrev_b64 v[2:3], 2, v[2:3]
	v_mov_b32_e32 v5, s9
	v_add_co_u32_e32 v2, vcc, s8, v2
	v_addc_co_u32_e32 v3, vcc, v5, v3, vcc
	v_add_u32_e32 v0, 0x100, v0
	global_store_dword v[2:3], v4, off
	s_or_b64 exec, exec, s[0:1]
	v_cmp_gt_i32_e32 vcc, s6, v0
	s_and_saveexec_b64 s[0:1], vcc
	s_cbranch_execnz .LBB91_15
	s_branch .LBB91_16
	.section	.rodata,"a",@progbits
	.p2align	6, 0x0
	.amdhsa_kernel _ZN2at6native29vectorized_elementwise_kernelILi2ENS0_13BinaryFunctorIfffZZZNS0_20copysign_kernel_cudaERNS_18TensorIteratorBaseEENKUlvE_clEvENKUlvE0_clEvEUlffE_EESt5arrayIPcLm3EEEEviT0_T1_
		.amdhsa_group_segment_fixed_size 0
		.amdhsa_private_segment_fixed_size 0
		.amdhsa_kernarg_size 32
		.amdhsa_user_sgpr_count 6
		.amdhsa_user_sgpr_private_segment_buffer 1
		.amdhsa_user_sgpr_dispatch_ptr 0
		.amdhsa_user_sgpr_queue_ptr 0
		.amdhsa_user_sgpr_kernarg_segment_ptr 1
		.amdhsa_user_sgpr_dispatch_id 0
		.amdhsa_user_sgpr_flat_scratch_init 0
		.amdhsa_user_sgpr_kernarg_preload_length 0
		.amdhsa_user_sgpr_kernarg_preload_offset 0
		.amdhsa_user_sgpr_private_segment_size 0
		.amdhsa_uses_dynamic_stack 0
		.amdhsa_system_sgpr_private_segment_wavefront_offset 0
		.amdhsa_system_sgpr_workgroup_id_x 1
		.amdhsa_system_sgpr_workgroup_id_y 0
		.amdhsa_system_sgpr_workgroup_id_z 0
		.amdhsa_system_sgpr_workgroup_info 0
		.amdhsa_system_vgpr_workitem_id 0
		.amdhsa_next_free_vgpr 16
		.amdhsa_next_free_sgpr 16
		.amdhsa_accum_offset 16
		.amdhsa_reserve_vcc 1
		.amdhsa_reserve_flat_scratch 0
		.amdhsa_float_round_mode_32 0
		.amdhsa_float_round_mode_16_64 0
		.amdhsa_float_denorm_mode_32 3
		.amdhsa_float_denorm_mode_16_64 3
		.amdhsa_dx10_clamp 1
		.amdhsa_ieee_mode 1
		.amdhsa_fp16_overflow 0
		.amdhsa_tg_split 0
		.amdhsa_exception_fp_ieee_invalid_op 0
		.amdhsa_exception_fp_denorm_src 0
		.amdhsa_exception_fp_ieee_div_zero 0
		.amdhsa_exception_fp_ieee_overflow 0
		.amdhsa_exception_fp_ieee_underflow 0
		.amdhsa_exception_fp_ieee_inexact 0
		.amdhsa_exception_int_div_zero 0
	.end_amdhsa_kernel
	.section	.text._ZN2at6native29vectorized_elementwise_kernelILi2ENS0_13BinaryFunctorIfffZZZNS0_20copysign_kernel_cudaERNS_18TensorIteratorBaseEENKUlvE_clEvENKUlvE0_clEvEUlffE_EESt5arrayIPcLm3EEEEviT0_T1_,"axG",@progbits,_ZN2at6native29vectorized_elementwise_kernelILi2ENS0_13BinaryFunctorIfffZZZNS0_20copysign_kernel_cudaERNS_18TensorIteratorBaseEENKUlvE_clEvENKUlvE0_clEvEUlffE_EESt5arrayIPcLm3EEEEviT0_T1_,comdat
.Lfunc_end91:
	.size	_ZN2at6native29vectorized_elementwise_kernelILi2ENS0_13BinaryFunctorIfffZZZNS0_20copysign_kernel_cudaERNS_18TensorIteratorBaseEENKUlvE_clEvENKUlvE0_clEvEUlffE_EESt5arrayIPcLm3EEEEviT0_T1_, .Lfunc_end91-_ZN2at6native29vectorized_elementwise_kernelILi2ENS0_13BinaryFunctorIfffZZZNS0_20copysign_kernel_cudaERNS_18TensorIteratorBaseEENKUlvE_clEvENKUlvE0_clEvEUlffE_EESt5arrayIPcLm3EEEEviT0_T1_
                                        ; -- End function
	.section	.AMDGPU.csdata,"",@progbits
; Kernel info:
; codeLenInByte = 928
; NumSgprs: 20
; NumVgprs: 16
; NumAgprs: 0
; TotalNumVgprs: 16
; ScratchSize: 0
; MemoryBound: 0
; FloatMode: 240
; IeeeMode: 1
; LDSByteSize: 0 bytes/workgroup (compile time only)
; SGPRBlocks: 2
; VGPRBlocks: 1
; NumSGPRsForWavesPerEU: 20
; NumVGPRsForWavesPerEU: 16
; AccumOffset: 16
; Occupancy: 8
; WaveLimiterHint : 1
; COMPUTE_PGM_RSRC2:SCRATCH_EN: 0
; COMPUTE_PGM_RSRC2:USER_SGPR: 6
; COMPUTE_PGM_RSRC2:TRAP_HANDLER: 0
; COMPUTE_PGM_RSRC2:TGID_X_EN: 1
; COMPUTE_PGM_RSRC2:TGID_Y_EN: 0
; COMPUTE_PGM_RSRC2:TGID_Z_EN: 0
; COMPUTE_PGM_RSRC2:TIDIG_COMP_CNT: 0
; COMPUTE_PGM_RSRC3_GFX90A:ACCUM_OFFSET: 3
; COMPUTE_PGM_RSRC3_GFX90A:TG_SPLIT: 0
	.section	.text._ZN2at6native27unrolled_elementwise_kernelINS0_13BinaryFunctorIfffZZZNS0_20copysign_kernel_cudaERNS_18TensorIteratorBaseEENKUlvE_clEvENKUlvE0_clEvEUlffE_EESt5arrayIPcLm3EELi4E23TrivialOffsetCalculatorILi2EjESC_ILi1EjENS0_6memory15LoadWithoutCastENSF_16StoreWithoutCastEEEviT_T0_T2_T3_T4_T5_,"axG",@progbits,_ZN2at6native27unrolled_elementwise_kernelINS0_13BinaryFunctorIfffZZZNS0_20copysign_kernel_cudaERNS_18TensorIteratorBaseEENKUlvE_clEvENKUlvE0_clEvEUlffE_EESt5arrayIPcLm3EELi4E23TrivialOffsetCalculatorILi2EjESC_ILi1EjENS0_6memory15LoadWithoutCastENSF_16StoreWithoutCastEEEviT_T0_T2_T3_T4_T5_,comdat
	.globl	_ZN2at6native27unrolled_elementwise_kernelINS0_13BinaryFunctorIfffZZZNS0_20copysign_kernel_cudaERNS_18TensorIteratorBaseEENKUlvE_clEvENKUlvE0_clEvEUlffE_EESt5arrayIPcLm3EELi4E23TrivialOffsetCalculatorILi2EjESC_ILi1EjENS0_6memory15LoadWithoutCastENSF_16StoreWithoutCastEEEviT_T0_T2_T3_T4_T5_ ; -- Begin function _ZN2at6native27unrolled_elementwise_kernelINS0_13BinaryFunctorIfffZZZNS0_20copysign_kernel_cudaERNS_18TensorIteratorBaseEENKUlvE_clEvENKUlvE0_clEvEUlffE_EESt5arrayIPcLm3EELi4E23TrivialOffsetCalculatorILi2EjESC_ILi1EjENS0_6memory15LoadWithoutCastENSF_16StoreWithoutCastEEEviT_T0_T2_T3_T4_T5_
	.p2align	8
	.type	_ZN2at6native27unrolled_elementwise_kernelINS0_13BinaryFunctorIfffZZZNS0_20copysign_kernel_cudaERNS_18TensorIteratorBaseEENKUlvE_clEvENKUlvE0_clEvEUlffE_EESt5arrayIPcLm3EELi4E23TrivialOffsetCalculatorILi2EjESC_ILi1EjENS0_6memory15LoadWithoutCastENSF_16StoreWithoutCastEEEviT_T0_T2_T3_T4_T5_,@function
_ZN2at6native27unrolled_elementwise_kernelINS0_13BinaryFunctorIfffZZZNS0_20copysign_kernel_cudaERNS_18TensorIteratorBaseEENKUlvE_clEvENKUlvE0_clEvEUlffE_EESt5arrayIPcLm3EELi4E23TrivialOffsetCalculatorILi2EjESC_ILi1EjENS0_6memory15LoadWithoutCastENSF_16StoreWithoutCastEEEviT_T0_T2_T3_T4_T5_: ; @_ZN2at6native27unrolled_elementwise_kernelINS0_13BinaryFunctorIfffZZZNS0_20copysign_kernel_cudaERNS_18TensorIteratorBaseEENKUlvE_clEvENKUlvE0_clEvEUlffE_EESt5arrayIPcLm3EELi4E23TrivialOffsetCalculatorILi2EjESC_ILi1EjENS0_6memory15LoadWithoutCastENSF_16StoreWithoutCastEEEviT_T0_T2_T3_T4_T5_
; %bb.0:
	s_load_dword s0, s[4:5], 0x0
	s_load_dwordx4 s[8:11], s[4:5], 0x8
	s_load_dwordx2 s[2:3], s[4:5], 0x18
	s_lshl_b32 s6, s6, 10
	v_mov_b32_e32 v1, 0
	s_waitcnt lgkmcnt(0)
	s_sub_i32 s7, s0, s6
	v_cmp_gt_i32_e32 vcc, s7, v0
	v_or_b32_e32 v2, s6, v0
	v_mov_b32_e32 v3, 0
	v_mov_b32_e32 v4, 0
	;; [unrolled: 1-line block ×3, first 2 shown]
	s_and_saveexec_b64 s[4:5], vcc
	s_cbranch_execz .LBB92_2
; %bb.1:
	v_mov_b32_e32 v3, 0
	v_lshlrev_b64 v[4:5], 2, v[2:3]
	v_mov_b32_e32 v3, s11
	v_add_co_u32_e64 v6, s[0:1], s10, v4
	v_addc_co_u32_e64 v7, s[0:1], v3, v5, s[0:1]
	v_mov_b32_e32 v3, s3
	v_add_co_u32_e64 v8, s[0:1], s2, v4
	v_addc_co_u32_e64 v9, s[0:1], v3, v5, s[0:1]
	global_load_dword v3, v[6:7], off
	global_load_dword v4, v[8:9], off
	v_or_b32_e32 v5, 0x100, v0
.LBB92_2:
	s_or_b64 exec, exec, s[4:5]
	v_cmp_gt_i32_e64 s[0:1], s7, v5
	v_mov_b32_e32 v6, 0
	s_and_saveexec_b64 s[4:5], s[0:1]
	s_cbranch_execz .LBB92_4
; %bb.3:
	v_add_u32_e32 v6, s6, v5
	v_mov_b32_e32 v7, 0
	v_lshlrev_b64 v[6:7], 2, v[6:7]
	v_mov_b32_e32 v1, s11
	v_add_co_u32_e64 v8, s[0:1], s10, v6
	v_addc_co_u32_e64 v9, s[0:1], v1, v7, s[0:1]
	v_mov_b32_e32 v1, s3
	v_add_co_u32_e64 v10, s[0:1], s2, v6
	v_addc_co_u32_e64 v11, s[0:1], v1, v7, s[0:1]
	global_load_dword v1, v[8:9], off
	global_load_dword v6, v[10:11], off
	v_add_u32_e32 v5, 0x100, v5
.LBB92_4:
	s_or_b64 exec, exec, s[4:5]
	v_cmp_gt_i32_e64 s[0:1], s7, v5
	v_mov_b32_e32 v7, 0
	v_mov_b32_e32 v8, 0
	;; [unrolled: 1-line block ×3, first 2 shown]
	s_and_saveexec_b64 s[4:5], s[0:1]
	s_cbranch_execz .LBB92_6
; %bb.5:
	v_add_u32_e32 v8, s6, v5
	v_mov_b32_e32 v9, 0
	v_lshlrev_b64 v[8:9], 2, v[8:9]
	v_mov_b32_e32 v11, s11
	v_add_co_u32_e64 v10, s[0:1], s10, v8
	v_addc_co_u32_e64 v11, s[0:1], v11, v9, s[0:1]
	v_mov_b32_e32 v13, s3
	v_add_co_u32_e64 v12, s[0:1], s2, v8
	v_addc_co_u32_e64 v13, s[0:1], v13, v9, s[0:1]
	global_load_dword v8, v[10:11], off
	global_load_dword v9, v[12:13], off
	v_add_u32_e32 v5, 0x100, v5
.LBB92_6:
	s_or_b64 exec, exec, s[4:5]
	v_cmp_gt_i32_e64 s[0:1], s7, v5
	v_mov_b32_e32 v11, 0
	s_and_saveexec_b64 s[4:5], s[0:1]
	s_cbranch_execz .LBB92_8
; %bb.7:
	v_add_u32_e32 v10, s6, v5
	v_mov_b32_e32 v11, 0
	v_lshlrev_b64 v[10:11], 2, v[10:11]
	v_mov_b32_e32 v5, s11
	v_add_co_u32_e64 v12, s[0:1], s10, v10
	v_addc_co_u32_e64 v13, s[0:1], v5, v11, s[0:1]
	v_mov_b32_e32 v5, s3
	v_add_co_u32_e64 v14, s[0:1], s2, v10
	v_addc_co_u32_e64 v15, s[0:1], v5, v11, s[0:1]
	global_load_dword v7, v[12:13], off
	global_load_dword v11, v[14:15], off
.LBB92_8:
	s_or_b64 exec, exec, s[4:5]
	s_brev_b32 s0, -2
	s_waitcnt vmcnt(0)
	v_bfi_b32 v10, s0, v3, v4
	v_bfi_b32 v5, s0, v1, v6
	;; [unrolled: 1-line block ×4, first 2 shown]
	s_and_saveexec_b64 s[0:1], vcc
	s_cbranch_execnz .LBB92_13
; %bb.9:
	s_or_b64 exec, exec, s[0:1]
	v_cmp_gt_i32_e32 vcc, s7, v0
	s_and_saveexec_b64 s[0:1], vcc
	s_cbranch_execnz .LBB92_14
.LBB92_10:
	s_or_b64 exec, exec, s[0:1]
	v_cmp_gt_i32_e32 vcc, s7, v0
	s_and_saveexec_b64 s[0:1], vcc
	s_cbranch_execnz .LBB92_15
.LBB92_11:
	s_or_b64 exec, exec, s[0:1]
	v_cmp_gt_i32_e32 vcc, s7, v0
	s_and_saveexec_b64 s[0:1], vcc
	s_cbranch_execnz .LBB92_16
.LBB92_12:
	s_endpgm
.LBB92_13:
	v_mov_b32_e32 v3, 0
	v_lshlrev_b64 v[2:3], 2, v[2:3]
	v_mov_b32_e32 v6, s9
	v_add_co_u32_e32 v2, vcc, s8, v2
	v_or_b32_e32 v0, 0x100, v0
	v_addc_co_u32_e32 v3, vcc, v6, v3, vcc
	global_store_dword v[2:3], v10, off
	s_or_b64 exec, exec, s[0:1]
	v_cmp_gt_i32_e32 vcc, s7, v0
	s_and_saveexec_b64 s[0:1], vcc
	s_cbranch_execz .LBB92_10
.LBB92_14:
	v_add_u32_e32 v2, s6, v0
	v_mov_b32_e32 v3, 0
	v_lshlrev_b64 v[2:3], 2, v[2:3]
	v_add_u32_e32 v6, 0x100, v0
	v_mov_b32_e32 v0, s9
	v_add_co_u32_e32 v2, vcc, s8, v2
	v_addc_co_u32_e32 v3, vcc, v0, v3, vcc
	v_mov_b32_e32 v0, v6
	global_store_dword v[2:3], v5, off
	s_or_b64 exec, exec, s[0:1]
	v_cmp_gt_i32_e32 vcc, s7, v0
	s_and_saveexec_b64 s[0:1], vcc
	s_cbranch_execz .LBB92_11
.LBB92_15:
	v_add_u32_e32 v2, s6, v0
	v_mov_b32_e32 v3, 0
	v_lshlrev_b64 v[2:3], 2, v[2:3]
	v_add_u32_e32 v5, 0x100, v0
	v_mov_b32_e32 v0, s9
	v_add_co_u32_e32 v2, vcc, s8, v2
	v_addc_co_u32_e32 v3, vcc, v0, v3, vcc
	v_mov_b32_e32 v0, v5
	global_store_dword v[2:3], v4, off
	s_or_b64 exec, exec, s[0:1]
	v_cmp_gt_i32_e32 vcc, s7, v0
	s_and_saveexec_b64 s[0:1], vcc
	s_cbranch_execz .LBB92_12
.LBB92_16:
	v_add_u32_e32 v2, s6, v0
	v_mov_b32_e32 v3, 0
	v_lshlrev_b64 v[2:3], 2, v[2:3]
	v_mov_b32_e32 v0, s9
	v_add_co_u32_e32 v2, vcc, s8, v2
	v_addc_co_u32_e32 v3, vcc, v0, v3, vcc
	global_store_dword v[2:3], v1, off
	s_endpgm
	.section	.rodata,"a",@progbits
	.p2align	6, 0x0
	.amdhsa_kernel _ZN2at6native27unrolled_elementwise_kernelINS0_13BinaryFunctorIfffZZZNS0_20copysign_kernel_cudaERNS_18TensorIteratorBaseEENKUlvE_clEvENKUlvE0_clEvEUlffE_EESt5arrayIPcLm3EELi4E23TrivialOffsetCalculatorILi2EjESC_ILi1EjENS0_6memory15LoadWithoutCastENSF_16StoreWithoutCastEEEviT_T0_T2_T3_T4_T5_
		.amdhsa_group_segment_fixed_size 0
		.amdhsa_private_segment_fixed_size 0
		.amdhsa_kernarg_size 36
		.amdhsa_user_sgpr_count 6
		.amdhsa_user_sgpr_private_segment_buffer 1
		.amdhsa_user_sgpr_dispatch_ptr 0
		.amdhsa_user_sgpr_queue_ptr 0
		.amdhsa_user_sgpr_kernarg_segment_ptr 1
		.amdhsa_user_sgpr_dispatch_id 0
		.amdhsa_user_sgpr_flat_scratch_init 0
		.amdhsa_user_sgpr_kernarg_preload_length 0
		.amdhsa_user_sgpr_kernarg_preload_offset 0
		.amdhsa_user_sgpr_private_segment_size 0
		.amdhsa_uses_dynamic_stack 0
		.amdhsa_system_sgpr_private_segment_wavefront_offset 0
		.amdhsa_system_sgpr_workgroup_id_x 1
		.amdhsa_system_sgpr_workgroup_id_y 0
		.amdhsa_system_sgpr_workgroup_id_z 0
		.amdhsa_system_sgpr_workgroup_info 0
		.amdhsa_system_vgpr_workitem_id 0
		.amdhsa_next_free_vgpr 16
		.amdhsa_next_free_sgpr 12
		.amdhsa_accum_offset 16
		.amdhsa_reserve_vcc 1
		.amdhsa_reserve_flat_scratch 0
		.amdhsa_float_round_mode_32 0
		.amdhsa_float_round_mode_16_64 0
		.amdhsa_float_denorm_mode_32 3
		.amdhsa_float_denorm_mode_16_64 3
		.amdhsa_dx10_clamp 1
		.amdhsa_ieee_mode 1
		.amdhsa_fp16_overflow 0
		.amdhsa_tg_split 0
		.amdhsa_exception_fp_ieee_invalid_op 0
		.amdhsa_exception_fp_denorm_src 0
		.amdhsa_exception_fp_ieee_div_zero 0
		.amdhsa_exception_fp_ieee_overflow 0
		.amdhsa_exception_fp_ieee_underflow 0
		.amdhsa_exception_fp_ieee_inexact 0
		.amdhsa_exception_int_div_zero 0
	.end_amdhsa_kernel
	.section	.text._ZN2at6native27unrolled_elementwise_kernelINS0_13BinaryFunctorIfffZZZNS0_20copysign_kernel_cudaERNS_18TensorIteratorBaseEENKUlvE_clEvENKUlvE0_clEvEUlffE_EESt5arrayIPcLm3EELi4E23TrivialOffsetCalculatorILi2EjESC_ILi1EjENS0_6memory15LoadWithoutCastENSF_16StoreWithoutCastEEEviT_T0_T2_T3_T4_T5_,"axG",@progbits,_ZN2at6native27unrolled_elementwise_kernelINS0_13BinaryFunctorIfffZZZNS0_20copysign_kernel_cudaERNS_18TensorIteratorBaseEENKUlvE_clEvENKUlvE0_clEvEUlffE_EESt5arrayIPcLm3EELi4E23TrivialOffsetCalculatorILi2EjESC_ILi1EjENS0_6memory15LoadWithoutCastENSF_16StoreWithoutCastEEEviT_T0_T2_T3_T4_T5_,comdat
.Lfunc_end92:
	.size	_ZN2at6native27unrolled_elementwise_kernelINS0_13BinaryFunctorIfffZZZNS0_20copysign_kernel_cudaERNS_18TensorIteratorBaseEENKUlvE_clEvENKUlvE0_clEvEUlffE_EESt5arrayIPcLm3EELi4E23TrivialOffsetCalculatorILi2EjESC_ILi1EjENS0_6memory15LoadWithoutCastENSF_16StoreWithoutCastEEEviT_T0_T2_T3_T4_T5_, .Lfunc_end92-_ZN2at6native27unrolled_elementwise_kernelINS0_13BinaryFunctorIfffZZZNS0_20copysign_kernel_cudaERNS_18TensorIteratorBaseEENKUlvE_clEvENKUlvE0_clEvEUlffE_EESt5arrayIPcLm3EELi4E23TrivialOffsetCalculatorILi2EjESC_ILi1EjENS0_6memory15LoadWithoutCastENSF_16StoreWithoutCastEEEviT_T0_T2_T3_T4_T5_
                                        ; -- End function
	.section	.AMDGPU.csdata,"",@progbits
; Kernel info:
; codeLenInByte = 784
; NumSgprs: 16
; NumVgprs: 16
; NumAgprs: 0
; TotalNumVgprs: 16
; ScratchSize: 0
; MemoryBound: 0
; FloatMode: 240
; IeeeMode: 1
; LDSByteSize: 0 bytes/workgroup (compile time only)
; SGPRBlocks: 1
; VGPRBlocks: 1
; NumSGPRsForWavesPerEU: 16
; NumVGPRsForWavesPerEU: 16
; AccumOffset: 16
; Occupancy: 8
; WaveLimiterHint : 0
; COMPUTE_PGM_RSRC2:SCRATCH_EN: 0
; COMPUTE_PGM_RSRC2:USER_SGPR: 6
; COMPUTE_PGM_RSRC2:TRAP_HANDLER: 0
; COMPUTE_PGM_RSRC2:TGID_X_EN: 1
; COMPUTE_PGM_RSRC2:TGID_Y_EN: 0
; COMPUTE_PGM_RSRC2:TGID_Z_EN: 0
; COMPUTE_PGM_RSRC2:TIDIG_COMP_CNT: 0
; COMPUTE_PGM_RSRC3_GFX90A:ACCUM_OFFSET: 3
; COMPUTE_PGM_RSRC3_GFX90A:TG_SPLIT: 0
	.section	.text._ZN2at6native32elementwise_kernel_manual_unrollILi128ELi4EZNS0_22gpu_kernel_impl_nocastINS0_13BinaryFunctorIfffZZZNS0_20copysign_kernel_cudaERNS_18TensorIteratorBaseEENKUlvE_clEvENKUlvE0_clEvEUlffE_EEEEvS5_RKT_EUlibE_EEviT1_,"axG",@progbits,_ZN2at6native32elementwise_kernel_manual_unrollILi128ELi4EZNS0_22gpu_kernel_impl_nocastINS0_13BinaryFunctorIfffZZZNS0_20copysign_kernel_cudaERNS_18TensorIteratorBaseEENKUlvE_clEvENKUlvE0_clEvEUlffE_EEEEvS5_RKT_EUlibE_EEviT1_,comdat
	.globl	_ZN2at6native32elementwise_kernel_manual_unrollILi128ELi4EZNS0_22gpu_kernel_impl_nocastINS0_13BinaryFunctorIfffZZZNS0_20copysign_kernel_cudaERNS_18TensorIteratorBaseEENKUlvE_clEvENKUlvE0_clEvEUlffE_EEEEvS5_RKT_EUlibE_EEviT1_ ; -- Begin function _ZN2at6native32elementwise_kernel_manual_unrollILi128ELi4EZNS0_22gpu_kernel_impl_nocastINS0_13BinaryFunctorIfffZZZNS0_20copysign_kernel_cudaERNS_18TensorIteratorBaseEENKUlvE_clEvENKUlvE0_clEvEUlffE_EEEEvS5_RKT_EUlibE_EEviT1_
	.p2align	8
	.type	_ZN2at6native32elementwise_kernel_manual_unrollILi128ELi4EZNS0_22gpu_kernel_impl_nocastINS0_13BinaryFunctorIfffZZZNS0_20copysign_kernel_cudaERNS_18TensorIteratorBaseEENKUlvE_clEvENKUlvE0_clEvEUlffE_EEEEvS5_RKT_EUlibE_EEviT1_,@function
_ZN2at6native32elementwise_kernel_manual_unrollILi128ELi4EZNS0_22gpu_kernel_impl_nocastINS0_13BinaryFunctorIfffZZZNS0_20copysign_kernel_cudaERNS_18TensorIteratorBaseEENKUlvE_clEvENKUlvE0_clEvEUlffE_EEEEvS5_RKT_EUlibE_EEviT1_: ; @_ZN2at6native32elementwise_kernel_manual_unrollILi128ELi4EZNS0_22gpu_kernel_impl_nocastINS0_13BinaryFunctorIfffZZZNS0_20copysign_kernel_cudaERNS_18TensorIteratorBaseEENKUlvE_clEvENKUlvE0_clEvEUlffE_EEEEvS5_RKT_EUlibE_EEviT1_
; %bb.0:
	s_load_dword s36, s[4:5], 0x0
	s_load_dword s33, s[4:5], 0x8
	s_or_b32 s4, s4, 8
	v_lshl_or_b32 v12, s6, 9, v0
	v_or_b32_e32 v24, 0x180, v12
	s_waitcnt lgkmcnt(0)
	v_cmp_le_i32_e32 vcc, s36, v24
	s_add_i32 s34, s33, -1
	s_cmp_gt_u32 s34, 1
	s_cselect_b64 s[6:7], -1, 0
	s_and_saveexec_b64 s[0:1], vcc
	s_xor_b64 s[16:17], exec, s[0:1]
	s_cbranch_execz .LBB93_50
; %bb.1:
	s_load_dwordx4 s[12:15], s[4:5], 0x4
	s_load_dwordx2 s[22:23], s[4:5], 0x14
	s_load_dwordx4 s[8:11], s[4:5], 0xc4
	s_load_dwordx2 s[20:21], s[4:5], 0xd4
	s_load_dwordx2 s[18:19], s[4:5], 0x198
	s_load_dwordx4 s[0:3], s[4:5], 0x188
	s_cmp_lg_u32 s33, 0
	s_cselect_b64 s[26:27], -1, 0
	s_min_u32 s35, s34, 15
	s_cmp_gt_u32 s33, 1
	s_cselect_b64 s[24:25], -1, 0
	v_cmp_gt_i32_e32 vcc, s36, v12
	s_and_saveexec_b64 s[28:29], vcc
	s_cbranch_execnz .LBB93_5
; %bb.2:
	s_or_b64 exec, exec, s[28:29]
	v_cmp_gt_i32_e32 vcc, s36, v12
	s_and_saveexec_b64 s[28:29], vcc
	s_cbranch_execnz .LBB93_16
.LBB93_3:
	s_or_b64 exec, exec, s[28:29]
	v_cmp_gt_i32_e32 vcc, s36, v12
	s_and_saveexec_b64 s[28:29], vcc
	s_cbranch_execnz .LBB93_27
.LBB93_4:
	s_or_b64 exec, exec, s[28:29]
	v_cmp_gt_i32_e32 vcc, s36, v12
	s_and_saveexec_b64 s[28:29], vcc
	s_cbranch_execnz .LBB93_38
	s_branch .LBB93_49
.LBB93_5:
	s_andn2_b64 vcc, exec, s[6:7]
	s_cbranch_vccnz .LBB93_12
; %bb.6:
	s_andn2_b64 vcc, exec, s[26:27]
	v_mov_b32_e32 v2, 0
	v_mov_b32_e32 v4, 0
	;; [unrolled: 1-line block ×3, first 2 shown]
	s_cbranch_vccnz .LBB93_11
; %bb.7:
	s_add_i32 s30, s35, 1
	s_and_b32 s37, s30, 30
	s_add_u32 s30, s4, 0xffffffec
	s_addc_u32 s31, s5, -1
	v_mov_b32_e32 v0, 0
	v_mov_b32_e32 v1, v12
	;; [unrolled: 1-line block ×4, first 2 shown]
.LBB93_8:                               ; =>This Inner Loop Header: Depth=1
	s_mov_b64 s[38:39], s[30:31]
	s_load_dwordx4 s[40:43], s[38:39], 0x18
	s_load_dwordx2 s[48:49], s[38:39], 0x28
	s_load_dwordx2 s[50:51], s[38:39], 0xe8
	s_load_dwordx4 s[44:47], s[38:39], 0xd8
	s_add_u32 s30, s38, 24
	s_waitcnt lgkmcnt(0)
	v_mul_hi_u32 v3, s41, v1
	v_add_u32_e32 v3, v1, v3
	v_lshrrev_b32_e32 v3, s42, v3
	v_mul_lo_u32 v5, v3, s40
	v_mul_hi_u32 v6, s48, v3
	v_sub_u32_e32 v1, v1, v5
	v_add_u32_e32 v5, v3, v6
	v_mul_lo_u32 v6, v1, s44
	v_mul_lo_u32 v7, v1, s45
	;; [unrolled: 1-line block ×3, first 2 shown]
	v_lshrrev_b32_e32 v1, s49, v5
	v_mul_lo_u32 v5, v1, s43
	v_sub_u32_e32 v3, v3, v5
	s_addc_u32 s31, s39, 0
	s_add_i32 s37, s37, -2
	v_mul_lo_u32 v5, v3, s47
	v_mul_lo_u32 v9, v3, s50
	;; [unrolled: 1-line block ×3, first 2 shown]
	s_cmp_lg_u32 s37, 0
	v_add3_u32 v0, v6, v0, v5
	v_add3_u32 v2, v8, v2, v3
	;; [unrolled: 1-line block ×3, first 2 shown]
	s_cbranch_scc1 .LBB93_8
; %bb.9:
	s_bitcmp1_b32 s35, 0
	s_cselect_b64 s[38:39], -1, 0
	s_and_b64 vcc, exec, s[38:39]
	s_cbranch_vccnz .LBB93_11
; %bb.10:
	s_load_dwordx2 s[38:39], s[30:31], 0x18
	s_load_dword s37, s[30:31], 0x20
	s_load_dword s42, s[30:31], 0xe0
	s_load_dwordx2 s[40:41], s[30:31], 0xd8
	s_waitcnt lgkmcnt(0)
	v_mul_hi_u32 v3, s39, v1
	v_add_u32_e32 v3, v1, v3
	v_lshrrev_b32_e32 v3, s37, v3
	v_mul_lo_u32 v3, v3, s38
	v_sub_u32_e32 v3, v1, v3
	v_mad_u64_u32 v[0:1], s[30:31], v3, s40, v[0:1]
	v_mad_u64_u32 v[4:5], s[30:31], v3, s41, v[4:5]
	;; [unrolled: 1-line block ×3, first 2 shown]
.LBB93_11:
	s_cbranch_execz .LBB93_13
	s_branch .LBB93_15
.LBB93_12:
                                        ; implicit-def: $vgpr2
                                        ; implicit-def: $vgpr4
                                        ; implicit-def: $vgpr0
.LBB93_13:
	s_waitcnt lgkmcnt(0)
	v_mul_hi_u32 v0, s13, v12
	v_add_u32_e32 v0, v12, v0
	v_lshrrev_b32_e32 v1, s14, v0
	v_mul_lo_u32 v0, v1, s12
	v_sub_u32_e32 v3, v12, v0
	v_mul_lo_u32 v0, v3, s8
	v_mul_lo_u32 v2, v3, s10
	s_andn2_b64 vcc, exec, s[24:25]
	v_mul_lo_u32 v4, v3, s9
	s_cbranch_vccnz .LBB93_15
; %bb.14:
	v_mul_hi_u32 v3, s22, v1
	v_add_u32_e32 v3, v1, v3
	v_lshrrev_b32_e32 v3, s23, v3
	v_mul_lo_u32 v3, v3, s15
	v_sub_u32_e32 v3, v1, v3
	v_mad_u64_u32 v[0:1], s[30:31], v3, s11, v[0:1]
	v_mad_u64_u32 v[4:5], s[30:31], v3, s20, v[4:5]
	;; [unrolled: 1-line block ×3, first 2 shown]
.LBB93_15:
	s_waitcnt lgkmcnt(0)
	global_load_dword v1, v4, s[2:3]
	global_load_dword v3, v2, s[18:19]
	s_brev_b32 s30, -2
	v_add_u32_e32 v12, 0x80, v12
	s_waitcnt vmcnt(0)
	v_bfi_b32 v1, s30, v1, v3
	global_store_dword v0, v1, s[0:1]
	s_or_b64 exec, exec, s[28:29]
	v_cmp_gt_i32_e32 vcc, s36, v12
	s_and_saveexec_b64 s[28:29], vcc
	s_cbranch_execz .LBB93_3
.LBB93_16:
	s_andn2_b64 vcc, exec, s[6:7]
	s_cbranch_vccnz .LBB93_23
; %bb.17:
	s_andn2_b64 vcc, exec, s[26:27]
	v_mov_b32_e32 v2, 0
	v_mov_b32_e32 v4, 0
	v_mov_b32_e32 v0, 0
	s_cbranch_vccnz .LBB93_22
; %bb.18:
	s_add_i32 s30, s35, 1
	s_and_b32 s37, s30, 30
	s_add_u32 s30, s4, 0xffffffec
	s_addc_u32 s31, s5, -1
	v_mov_b32_e32 v0, 0
	v_mov_b32_e32 v1, v12
	;; [unrolled: 1-line block ×4, first 2 shown]
.LBB93_19:                              ; =>This Inner Loop Header: Depth=1
	s_mov_b64 s[38:39], s[30:31]
	s_load_dwordx4 s[40:43], s[38:39], 0x18
	s_load_dwordx2 s[48:49], s[38:39], 0x28
	s_load_dwordx2 s[50:51], s[38:39], 0xe8
	s_load_dwordx4 s[44:47], s[38:39], 0xd8
	s_add_u32 s30, s38, 24
	s_waitcnt lgkmcnt(0)
	v_mul_hi_u32 v3, s41, v1
	v_add_u32_e32 v3, v1, v3
	v_lshrrev_b32_e32 v3, s42, v3
	v_mul_lo_u32 v5, v3, s40
	v_mul_hi_u32 v6, s48, v3
	v_sub_u32_e32 v1, v1, v5
	v_add_u32_e32 v5, v3, v6
	v_mul_lo_u32 v6, v1, s44
	v_mul_lo_u32 v7, v1, s45
	;; [unrolled: 1-line block ×3, first 2 shown]
	v_lshrrev_b32_e32 v1, s49, v5
	v_mul_lo_u32 v5, v1, s43
	v_sub_u32_e32 v3, v3, v5
	s_addc_u32 s31, s39, 0
	s_add_i32 s37, s37, -2
	v_mul_lo_u32 v5, v3, s47
	v_mul_lo_u32 v9, v3, s50
	;; [unrolled: 1-line block ×3, first 2 shown]
	s_cmp_eq_u32 s37, 0
	v_add3_u32 v0, v6, v0, v5
	v_add3_u32 v2, v8, v2, v3
	;; [unrolled: 1-line block ×3, first 2 shown]
	s_cbranch_scc0 .LBB93_19
; %bb.20:
	s_bitcmp1_b32 s35, 0
	s_cselect_b64 s[38:39], -1, 0
	s_and_b64 vcc, exec, s[38:39]
	s_cbranch_vccnz .LBB93_22
; %bb.21:
	s_load_dwordx2 s[38:39], s[30:31], 0x18
	s_load_dword s37, s[30:31], 0x20
	s_load_dword s42, s[30:31], 0xe0
	s_load_dwordx2 s[40:41], s[30:31], 0xd8
	s_waitcnt lgkmcnt(0)
	v_mul_hi_u32 v3, s39, v1
	v_add_u32_e32 v3, v1, v3
	v_lshrrev_b32_e32 v3, s37, v3
	v_mul_lo_u32 v3, v3, s38
	v_sub_u32_e32 v3, v1, v3
	v_mad_u64_u32 v[0:1], s[30:31], v3, s40, v[0:1]
	v_mad_u64_u32 v[4:5], s[30:31], v3, s41, v[4:5]
	;; [unrolled: 1-line block ×3, first 2 shown]
.LBB93_22:
	s_cbranch_execz .LBB93_24
	s_branch .LBB93_26
.LBB93_23:
                                        ; implicit-def: $vgpr2
                                        ; implicit-def: $vgpr4
                                        ; implicit-def: $vgpr0
.LBB93_24:
	s_waitcnt lgkmcnt(0)
	v_mul_hi_u32 v0, s13, v12
	v_add_u32_e32 v0, v12, v0
	v_lshrrev_b32_e32 v1, s14, v0
	v_mul_lo_u32 v0, v1, s12
	v_sub_u32_e32 v3, v12, v0
	v_mul_lo_u32 v0, v3, s8
	v_mul_lo_u32 v2, v3, s10
	s_andn2_b64 vcc, exec, s[24:25]
	v_mul_lo_u32 v4, v3, s9
	s_cbranch_vccnz .LBB93_26
; %bb.25:
	v_mul_hi_u32 v3, s22, v1
	v_add_u32_e32 v3, v1, v3
	v_lshrrev_b32_e32 v3, s23, v3
	v_mul_lo_u32 v3, v3, s15
	v_sub_u32_e32 v3, v1, v3
	v_mad_u64_u32 v[0:1], s[30:31], v3, s11, v[0:1]
	v_mad_u64_u32 v[4:5], s[30:31], v3, s20, v[4:5]
	;; [unrolled: 1-line block ×3, first 2 shown]
.LBB93_26:
	s_waitcnt lgkmcnt(0)
	global_load_dword v1, v4, s[2:3]
	global_load_dword v3, v2, s[18:19]
	s_brev_b32 s30, -2
	v_add_u32_e32 v12, 0x80, v12
	s_waitcnt vmcnt(0)
	v_bfi_b32 v1, s30, v1, v3
	global_store_dword v0, v1, s[0:1]
	s_or_b64 exec, exec, s[28:29]
	v_cmp_gt_i32_e32 vcc, s36, v12
	s_and_saveexec_b64 s[28:29], vcc
	s_cbranch_execz .LBB93_4
.LBB93_27:
	s_andn2_b64 vcc, exec, s[6:7]
	s_cbranch_vccnz .LBB93_34
; %bb.28:
	s_andn2_b64 vcc, exec, s[26:27]
	v_mov_b32_e32 v2, 0
	v_mov_b32_e32 v4, 0
	;; [unrolled: 1-line block ×3, first 2 shown]
	s_cbranch_vccnz .LBB93_33
; %bb.29:
	s_add_i32 s30, s35, 1
	s_and_b32 s37, s30, 30
	s_add_u32 s30, s4, 0xffffffec
	s_addc_u32 s31, s5, -1
	v_mov_b32_e32 v0, 0
	v_mov_b32_e32 v1, v12
	;; [unrolled: 1-line block ×4, first 2 shown]
.LBB93_30:                              ; =>This Inner Loop Header: Depth=1
	s_mov_b64 s[38:39], s[30:31]
	s_load_dwordx4 s[40:43], s[38:39], 0x18
	s_load_dwordx2 s[48:49], s[38:39], 0x28
	s_load_dwordx2 s[50:51], s[38:39], 0xe8
	s_load_dwordx4 s[44:47], s[38:39], 0xd8
	s_add_u32 s30, s38, 24
	s_waitcnt lgkmcnt(0)
	v_mul_hi_u32 v3, s41, v1
	v_add_u32_e32 v3, v1, v3
	v_lshrrev_b32_e32 v3, s42, v3
	v_mul_lo_u32 v5, v3, s40
	v_mul_hi_u32 v6, s48, v3
	v_sub_u32_e32 v1, v1, v5
	v_add_u32_e32 v5, v3, v6
	v_mul_lo_u32 v6, v1, s44
	v_mul_lo_u32 v7, v1, s45
	v_mul_lo_u32 v8, v1, s46
	v_lshrrev_b32_e32 v1, s49, v5
	v_mul_lo_u32 v5, v1, s43
	v_sub_u32_e32 v3, v3, v5
	s_addc_u32 s31, s39, 0
	s_add_i32 s37, s37, -2
	v_mul_lo_u32 v5, v3, s47
	v_mul_lo_u32 v9, v3, s50
	;; [unrolled: 1-line block ×3, first 2 shown]
	s_cmp_eq_u32 s37, 0
	v_add3_u32 v0, v6, v0, v5
	v_add3_u32 v2, v8, v2, v3
	;; [unrolled: 1-line block ×3, first 2 shown]
	s_cbranch_scc0 .LBB93_30
; %bb.31:
	s_bitcmp1_b32 s35, 0
	s_cselect_b64 s[38:39], -1, 0
	s_and_b64 vcc, exec, s[38:39]
	s_cbranch_vccnz .LBB93_33
; %bb.32:
	s_load_dwordx2 s[38:39], s[30:31], 0x18
	s_load_dword s37, s[30:31], 0x20
	s_load_dword s42, s[30:31], 0xe0
	s_load_dwordx2 s[40:41], s[30:31], 0xd8
	s_waitcnt lgkmcnt(0)
	v_mul_hi_u32 v3, s39, v1
	v_add_u32_e32 v3, v1, v3
	v_lshrrev_b32_e32 v3, s37, v3
	v_mul_lo_u32 v3, v3, s38
	v_sub_u32_e32 v3, v1, v3
	v_mad_u64_u32 v[0:1], s[30:31], v3, s40, v[0:1]
	v_mad_u64_u32 v[4:5], s[30:31], v3, s41, v[4:5]
	;; [unrolled: 1-line block ×3, first 2 shown]
.LBB93_33:
	s_cbranch_execz .LBB93_35
	s_branch .LBB93_37
.LBB93_34:
                                        ; implicit-def: $vgpr2
                                        ; implicit-def: $vgpr4
                                        ; implicit-def: $vgpr0
.LBB93_35:
	s_waitcnt lgkmcnt(0)
	v_mul_hi_u32 v0, s13, v12
	v_add_u32_e32 v0, v12, v0
	v_lshrrev_b32_e32 v1, s14, v0
	v_mul_lo_u32 v0, v1, s12
	v_sub_u32_e32 v3, v12, v0
	v_mul_lo_u32 v0, v3, s8
	v_mul_lo_u32 v2, v3, s10
	s_andn2_b64 vcc, exec, s[24:25]
	v_mul_lo_u32 v4, v3, s9
	s_cbranch_vccnz .LBB93_37
; %bb.36:
	v_mul_hi_u32 v3, s22, v1
	v_add_u32_e32 v3, v1, v3
	v_lshrrev_b32_e32 v3, s23, v3
	v_mul_lo_u32 v3, v3, s15
	v_sub_u32_e32 v3, v1, v3
	v_mad_u64_u32 v[0:1], s[30:31], v3, s11, v[0:1]
	v_mad_u64_u32 v[4:5], s[30:31], v3, s20, v[4:5]
	;; [unrolled: 1-line block ×3, first 2 shown]
.LBB93_37:
	s_waitcnt lgkmcnt(0)
	global_load_dword v1, v4, s[2:3]
	global_load_dword v3, v2, s[18:19]
	s_brev_b32 s30, -2
	v_add_u32_e32 v12, 0x80, v12
	s_waitcnt vmcnt(0)
	v_bfi_b32 v1, s30, v1, v3
	global_store_dword v0, v1, s[0:1]
	s_or_b64 exec, exec, s[28:29]
	v_cmp_gt_i32_e32 vcc, s36, v12
	s_and_saveexec_b64 s[28:29], vcc
	s_cbranch_execz .LBB93_49
.LBB93_38:
	s_andn2_b64 vcc, exec, s[6:7]
	s_cbranch_vccnz .LBB93_45
; %bb.39:
	s_andn2_b64 vcc, exec, s[26:27]
	v_mov_b32_e32 v2, 0
	v_mov_b32_e32 v4, 0
	;; [unrolled: 1-line block ×3, first 2 shown]
	s_cbranch_vccnz .LBB93_44
; %bb.40:
	s_add_i32 s26, s35, 1
	s_and_b32 s30, s26, 30
	s_add_u32 s26, s4, 0xffffffec
	s_addc_u32 s27, s5, -1
	v_mov_b32_e32 v0, 0
	v_mov_b32_e32 v1, v12
	;; [unrolled: 1-line block ×4, first 2 shown]
.LBB93_41:                              ; =>This Inner Loop Header: Depth=1
	s_mov_b64 s[44:45], s[26:27]
	s_load_dwordx4 s[36:39], s[44:45], 0x18
	s_load_dwordx2 s[46:47], s[44:45], 0x28
	s_load_dwordx2 s[48:49], s[44:45], 0xe8
	s_load_dwordx4 s[40:43], s[44:45], 0xd8
	s_add_u32 s26, s44, 24
	s_waitcnt lgkmcnt(0)
	v_mul_hi_u32 v3, s37, v1
	v_add_u32_e32 v3, v1, v3
	v_lshrrev_b32_e32 v3, s38, v3
	v_mul_lo_u32 v5, v3, s36
	v_mul_hi_u32 v6, s46, v3
	v_sub_u32_e32 v1, v1, v5
	v_add_u32_e32 v5, v3, v6
	v_mul_lo_u32 v6, v1, s40
	v_mul_lo_u32 v7, v1, s41
	;; [unrolled: 1-line block ×3, first 2 shown]
	v_lshrrev_b32_e32 v1, s47, v5
	v_mul_lo_u32 v5, v1, s39
	v_sub_u32_e32 v3, v3, v5
	s_addc_u32 s27, s45, 0
	s_add_i32 s30, s30, -2
	v_mul_lo_u32 v5, v3, s43
	v_mul_lo_u32 v9, v3, s48
	;; [unrolled: 1-line block ×3, first 2 shown]
	s_cmp_eq_u32 s30, 0
	v_add3_u32 v0, v6, v0, v5
	v_add3_u32 v2, v8, v2, v3
	;; [unrolled: 1-line block ×3, first 2 shown]
	s_cbranch_scc0 .LBB93_41
; %bb.42:
	s_bitcmp1_b32 s35, 0
	s_cselect_b64 s[30:31], -1, 0
	s_and_b64 vcc, exec, s[30:31]
	s_cbranch_vccnz .LBB93_44
; %bb.43:
	s_load_dwordx2 s[30:31], s[26:27], 0x18
	s_load_dword s35, s[26:27], 0x20
	s_load_dword s38, s[26:27], 0xe0
	s_load_dwordx2 s[36:37], s[26:27], 0xd8
	s_waitcnt lgkmcnt(0)
	v_mul_hi_u32 v3, s31, v1
	v_add_u32_e32 v3, v1, v3
	v_lshrrev_b32_e32 v3, s35, v3
	v_mul_lo_u32 v3, v3, s30
	v_sub_u32_e32 v3, v1, v3
	v_mad_u64_u32 v[0:1], s[26:27], v3, s36, v[0:1]
	v_mad_u64_u32 v[4:5], s[26:27], v3, s37, v[4:5]
	v_mad_u64_u32 v[2:3], s[26:27], v3, s38, v[2:3]
.LBB93_44:
	s_cbranch_execz .LBB93_46
	s_branch .LBB93_48
.LBB93_45:
                                        ; implicit-def: $vgpr2
                                        ; implicit-def: $vgpr4
                                        ; implicit-def: $vgpr0
.LBB93_46:
	s_waitcnt lgkmcnt(0)
	v_mul_hi_u32 v0, s13, v12
	v_add_u32_e32 v0, v12, v0
	v_lshrrev_b32_e32 v1, s14, v0
	v_mul_lo_u32 v0, v1, s12
	v_sub_u32_e32 v3, v12, v0
	v_mul_lo_u32 v0, v3, s8
	v_mul_lo_u32 v2, v3, s10
	s_andn2_b64 vcc, exec, s[24:25]
	v_mul_lo_u32 v4, v3, s9
	s_cbranch_vccnz .LBB93_48
; %bb.47:
	v_mul_hi_u32 v3, s22, v1
	v_add_u32_e32 v3, v1, v3
	v_lshrrev_b32_e32 v3, s23, v3
	v_mul_lo_u32 v3, v3, s15
	v_sub_u32_e32 v3, v1, v3
	v_mad_u64_u32 v[0:1], s[8:9], v3, s11, v[0:1]
	v_mad_u64_u32 v[4:5], s[8:9], v3, s20, v[4:5]
	;; [unrolled: 1-line block ×3, first 2 shown]
.LBB93_48:
	s_waitcnt lgkmcnt(0)
	global_load_dword v1, v4, s[2:3]
	global_load_dword v3, v2, s[18:19]
	s_brev_b32 s2, -2
	s_waitcnt vmcnt(0)
	v_bfi_b32 v1, s2, v1, v3
	global_store_dword v0, v1, s[0:1]
.LBB93_49:
	s_or_b64 exec, exec, s[28:29]
                                        ; implicit-def: $vgpr24
                                        ; implicit-def: $vgpr12
.LBB93_50:
	s_waitcnt lgkmcnt(0)
	s_andn2_saveexec_b64 s[0:1], s[16:17]
	s_cbranch_execz .LBB93_57
; %bb.51:
	v_cndmask_b32_e64 v0, 0, 1, s[6:7]
	v_cmp_ne_u32_e64 s[0:1], 1, v0
	s_andn2_b64 vcc, exec, s[6:7]
	s_cbranch_vccnz .LBB93_58
; %bb.52:
	s_cmp_lg_u32 s33, 0
	v_mov_b32_e32 v2, 0
	v_mov_b32_e32 v4, 0
	;; [unrolled: 1-line block ×3, first 2 shown]
	s_cbranch_scc0 .LBB93_59
; %bb.53:
	s_min_u32 s6, s34, 15
	s_add_i32 s2, s6, 1
	s_and_b32 s7, s2, 30
	s_add_u32 s2, s4, 0xffffffec
	s_addc_u32 s3, s5, -1
	v_mov_b32_e32 v0, 0
	v_mov_b32_e32 v1, v12
	;; [unrolled: 1-line block ×4, first 2 shown]
.LBB93_54:                              ; =>This Inner Loop Header: Depth=1
	s_mov_b64 s[16:17], s[2:3]
	s_load_dwordx4 s[8:11], s[16:17], 0x18
	s_load_dwordx2 s[18:19], s[16:17], 0x28
	s_load_dwordx2 s[20:21], s[16:17], 0xe8
	s_load_dwordx4 s[12:15], s[16:17], 0xd8
	s_add_u32 s2, s16, 24
	s_waitcnt lgkmcnt(0)
	v_mul_hi_u32 v3, s9, v1
	v_add_u32_e32 v3, v1, v3
	v_lshrrev_b32_e32 v3, s10, v3
	v_mul_lo_u32 v5, v3, s8
	v_mul_hi_u32 v6, s18, v3
	v_sub_u32_e32 v1, v1, v5
	v_add_u32_e32 v5, v3, v6
	v_mul_lo_u32 v6, v1, s12
	v_mul_lo_u32 v7, v1, s13
	;; [unrolled: 1-line block ×3, first 2 shown]
	v_lshrrev_b32_e32 v1, s19, v5
	v_mul_lo_u32 v5, v1, s11
	v_sub_u32_e32 v3, v3, v5
	s_addc_u32 s3, s17, 0
	s_add_i32 s7, s7, -2
	v_mul_lo_u32 v5, v3, s15
	v_mul_lo_u32 v9, v3, s20
	;; [unrolled: 1-line block ×3, first 2 shown]
	s_cmp_lg_u32 s7, 0
	v_add3_u32 v0, v6, v0, v5
	v_add3_u32 v2, v8, v2, v3
	v_add3_u32 v4, v7, v4, v9
	s_cbranch_scc1 .LBB93_54
; %bb.55:
	s_bitcmp1_b32 s6, 0
	s_cselect_b64 s[6:7], -1, 0
	s_and_b64 vcc, exec, s[6:7]
	s_cbranch_vccnz .LBB93_59
; %bb.56:
	s_load_dwordx2 s[6:7], s[2:3], 0x18
	s_load_dword s10, s[2:3], 0x20
	s_load_dword s11, s[2:3], 0xe0
	s_load_dwordx2 s[8:9], s[2:3], 0xd8
	s_waitcnt lgkmcnt(0)
	v_mul_hi_u32 v3, s7, v1
	v_add_u32_e32 v3, v1, v3
	v_lshrrev_b32_e32 v3, s10, v3
	v_mul_lo_u32 v3, v3, s6
	v_sub_u32_e32 v3, v1, v3
	v_mad_u64_u32 v[0:1], s[2:3], v3, s8, v[0:1]
	v_mad_u64_u32 v[4:5], s[2:3], v3, s9, v[4:5]
	;; [unrolled: 1-line block ×3, first 2 shown]
	s_cbranch_execz .LBB93_60
	s_branch .LBB93_62
.LBB93_57:
	s_endpgm
.LBB93_58:
                                        ; implicit-def: $vgpr2
                                        ; implicit-def: $vgpr4
                                        ; implicit-def: $vgpr0
	s_branch .LBB93_60
.LBB93_59:
	s_cbranch_execnz .LBB93_62
.LBB93_60:
	s_load_dwordx4 s[8:11], s[4:5], 0x4
	s_load_dwordx4 s[12:15], s[4:5], 0xc4
	s_cmp_lt_u32 s33, 2
	s_waitcnt lgkmcnt(0)
	v_mul_hi_u32 v0, s9, v12
	v_add_u32_e32 v0, v12, v0
	v_lshrrev_b32_e32 v1, s10, v0
	v_mul_lo_u32 v0, v1, s8
	v_sub_u32_e32 v3, v12, v0
	v_mul_lo_u32 v0, v3, s12
	v_mul_lo_u32 v2, v3, s14
	;; [unrolled: 1-line block ×3, first 2 shown]
	s_cbranch_scc1 .LBB93_62
; %bb.61:
	s_load_dwordx4 s[8:11], s[4:5], 0x10
	s_load_dwordx4 s[12:15], s[4:5], 0xd0
	s_waitcnt lgkmcnt(0)
	v_mul_hi_u32 v3, s9, v1
	v_add_u32_e32 v3, v1, v3
	v_lshrrev_b32_e32 v3, s10, v3
	v_mul_lo_u32 v3, v3, s8
	v_sub_u32_e32 v3, v1, v3
	v_mad_u64_u32 v[0:1], s[2:3], v3, s12, v[0:1]
	v_mad_u64_u32 v[4:5], s[2:3], v3, s13, v[4:5]
	;; [unrolled: 1-line block ×3, first 2 shown]
.LBB93_62:
	s_and_b64 vcc, exec, s[0:1]
	v_add_u32_e32 v1, 0x80, v12
	s_cbranch_vccnz .LBB93_68
; %bb.63:
	s_cmp_lg_u32 s33, 0
	v_mov_b32_e32 v8, 0
	v_mov_b32_e32 v10, 0
	v_mov_b32_e32 v6, 0
	s_cbranch_scc0 .LBB93_69
; %bb.64:
	s_min_u32 s6, s34, 15
	s_add_i32 s2, s6, 1
	s_and_b32 s7, s2, 30
	s_add_u32 s2, s4, 0xffffffec
	s_addc_u32 s3, s5, -1
	v_mov_b32_e32 v6, 0
	v_mov_b32_e32 v3, v1
	v_mov_b32_e32 v10, 0
	v_mov_b32_e32 v8, 0
.LBB93_65:                              ; =>This Inner Loop Header: Depth=1
	s_mov_b64 s[16:17], s[2:3]
	s_load_dwordx4 s[8:11], s[16:17], 0x18
	s_load_dwordx2 s[18:19], s[16:17], 0x28
	s_load_dwordx2 s[20:21], s[16:17], 0xe8
	s_load_dwordx4 s[12:15], s[16:17], 0xd8
	s_add_u32 s2, s16, 24
	s_waitcnt lgkmcnt(0)
	v_mul_hi_u32 v5, s9, v3
	v_add_u32_e32 v5, v3, v5
	v_lshrrev_b32_e32 v5, s10, v5
	v_mul_lo_u32 v7, v5, s8
	v_mul_hi_u32 v9, s18, v5
	v_sub_u32_e32 v3, v3, v7
	v_add_u32_e32 v7, v5, v9
	v_mul_lo_u32 v9, v3, s12
	v_mul_lo_u32 v11, v3, s13
	;; [unrolled: 1-line block ×3, first 2 shown]
	v_lshrrev_b32_e32 v3, s19, v7
	v_mul_lo_u32 v7, v3, s11
	v_sub_u32_e32 v5, v5, v7
	s_addc_u32 s3, s17, 0
	s_add_i32 s7, s7, -2
	v_mul_lo_u32 v7, v5, s15
	v_mul_lo_u32 v14, v5, s20
	;; [unrolled: 1-line block ×3, first 2 shown]
	s_cmp_lg_u32 s7, 0
	v_add3_u32 v6, v9, v6, v7
	v_add3_u32 v8, v13, v8, v5
	;; [unrolled: 1-line block ×3, first 2 shown]
	s_cbranch_scc1 .LBB93_65
; %bb.66:
	s_bitcmp1_b32 s6, 0
	s_cselect_b64 s[6:7], -1, 0
	s_and_b64 vcc, exec, s[6:7]
	s_cbranch_vccnz .LBB93_69
; %bb.67:
	s_load_dwordx2 s[6:7], s[2:3], 0x18
	s_load_dword s10, s[2:3], 0x20
	s_load_dword s11, s[2:3], 0xe0
	s_load_dwordx2 s[8:9], s[2:3], 0xd8
	s_waitcnt lgkmcnt(0)
	v_mul_hi_u32 v5, s7, v3
	v_add_u32_e32 v5, v3, v5
	v_lshrrev_b32_e32 v5, s10, v5
	v_mul_lo_u32 v5, v5, s6
	v_sub_u32_e32 v3, v3, v5
	v_mad_u64_u32 v[6:7], s[2:3], v3, s8, v[6:7]
	v_mad_u64_u32 v[10:11], s[2:3], v3, s9, v[10:11]
	;; [unrolled: 1-line block ×3, first 2 shown]
	s_cbranch_execz .LBB93_70
	s_branch .LBB93_72
.LBB93_68:
                                        ; implicit-def: $vgpr8
                                        ; implicit-def: $vgpr10
                                        ; implicit-def: $vgpr6
	s_branch .LBB93_70
.LBB93_69:
	s_cbranch_execnz .LBB93_72
.LBB93_70:
	s_load_dwordx4 s[8:11], s[4:5], 0x4
	s_load_dwordx4 s[12:15], s[4:5], 0xc4
	s_cmp_lt_u32 s33, 2
	s_waitcnt lgkmcnt(0)
	v_mul_hi_u32 v3, s9, v1
	v_add_u32_e32 v3, v1, v3
	v_lshrrev_b32_e32 v3, s10, v3
	v_mul_lo_u32 v5, v3, s8
	v_sub_u32_e32 v1, v1, v5
	v_mul_lo_u32 v6, v1, s12
	v_mul_lo_u32 v8, v1, s14
	;; [unrolled: 1-line block ×3, first 2 shown]
	s_cbranch_scc1 .LBB93_72
; %bb.71:
	s_load_dwordx4 s[8:11], s[4:5], 0x10
	s_load_dwordx4 s[12:15], s[4:5], 0xd0
	s_waitcnt lgkmcnt(0)
	v_mul_hi_u32 v1, s9, v3
	v_add_u32_e32 v1, v3, v1
	v_lshrrev_b32_e32 v1, s10, v1
	v_mul_lo_u32 v1, v1, s8
	v_sub_u32_e32 v1, v3, v1
	v_mad_u64_u32 v[6:7], s[2:3], v1, s12, v[6:7]
	v_mad_u64_u32 v[10:11], s[2:3], v1, s13, v[10:11]
	;; [unrolled: 1-line block ×3, first 2 shown]
.LBB93_72:
	s_and_b64 vcc, exec, s[0:1]
	v_add_u32_e32 v1, 0x100, v12
	s_cbranch_vccnz .LBB93_78
; %bb.73:
	s_cmp_lg_u32 s33, 0
	v_mov_b32_e32 v16, 0
	v_mov_b32_e32 v14, 0
	;; [unrolled: 1-line block ×3, first 2 shown]
	s_cbranch_scc0 .LBB93_79
; %bb.74:
	s_min_u32 s6, s34, 15
	s_add_i32 s2, s6, 1
	s_and_b32 s7, s2, 30
	s_add_u32 s2, s4, 0xffffffec
	s_addc_u32 s3, s5, -1
	v_mov_b32_e32 v12, 0
	v_mov_b32_e32 v3, v1
	;; [unrolled: 1-line block ×4, first 2 shown]
.LBB93_75:                              ; =>This Inner Loop Header: Depth=1
	s_mov_b64 s[16:17], s[2:3]
	s_load_dwordx4 s[8:11], s[16:17], 0x18
	s_load_dwordx2 s[18:19], s[16:17], 0x28
	s_load_dwordx2 s[20:21], s[16:17], 0xe8
	s_load_dwordx4 s[12:15], s[16:17], 0xd8
	s_add_u32 s2, s16, 24
	s_waitcnt lgkmcnt(0)
	v_mul_hi_u32 v5, s9, v3
	v_add_u32_e32 v5, v3, v5
	v_lshrrev_b32_e32 v5, s10, v5
	v_mul_lo_u32 v7, v5, s8
	v_mul_hi_u32 v9, s18, v5
	v_sub_u32_e32 v3, v3, v7
	v_add_u32_e32 v7, v5, v9
	v_mul_lo_u32 v9, v3, s12
	v_mul_lo_u32 v11, v3, s13
	v_mul_lo_u32 v13, v3, s14
	v_lshrrev_b32_e32 v3, s19, v7
	v_mul_lo_u32 v7, v3, s11
	v_sub_u32_e32 v5, v5, v7
	s_addc_u32 s3, s17, 0
	s_add_i32 s7, s7, -2
	v_mul_lo_u32 v7, v5, s15
	v_mul_lo_u32 v15, v5, s20
	;; [unrolled: 1-line block ×3, first 2 shown]
	s_cmp_lg_u32 s7, 0
	v_add3_u32 v12, v9, v12, v7
	v_add3_u32 v16, v13, v16, v5
	;; [unrolled: 1-line block ×3, first 2 shown]
	s_cbranch_scc1 .LBB93_75
; %bb.76:
	s_bitcmp1_b32 s6, 0
	s_cselect_b64 s[6:7], -1, 0
	s_and_b64 vcc, exec, s[6:7]
	s_cbranch_vccnz .LBB93_79
; %bb.77:
	s_load_dwordx2 s[6:7], s[2:3], 0x18
	s_load_dword s10, s[2:3], 0x20
	s_load_dword s11, s[2:3], 0xe0
	s_load_dwordx2 s[8:9], s[2:3], 0xd8
	s_waitcnt lgkmcnt(0)
	v_mul_hi_u32 v5, s7, v3
	v_add_u32_e32 v5, v3, v5
	v_lshrrev_b32_e32 v5, s10, v5
	v_mul_lo_u32 v5, v5, s6
	v_sub_u32_e32 v3, v3, v5
	v_mad_u64_u32 v[12:13], s[2:3], v3, s8, v[12:13]
	v_mad_u64_u32 v[14:15], s[2:3], v3, s9, v[14:15]
	;; [unrolled: 1-line block ×3, first 2 shown]
	s_cbranch_execz .LBB93_80
	s_branch .LBB93_82
.LBB93_78:
                                        ; implicit-def: $vgpr16
                                        ; implicit-def: $vgpr14
                                        ; implicit-def: $vgpr12
	s_branch .LBB93_80
.LBB93_79:
	s_cbranch_execnz .LBB93_82
.LBB93_80:
	s_load_dwordx4 s[8:11], s[4:5], 0x4
	s_load_dwordx4 s[12:15], s[4:5], 0xc4
	s_cmp_lt_u32 s33, 2
	s_waitcnt lgkmcnt(0)
	v_mul_hi_u32 v3, s9, v1
	v_add_u32_e32 v3, v1, v3
	v_lshrrev_b32_e32 v3, s10, v3
	v_mul_lo_u32 v5, v3, s8
	v_sub_u32_e32 v1, v1, v5
	v_mul_lo_u32 v12, v1, s12
	v_mul_lo_u32 v16, v1, s14
	;; [unrolled: 1-line block ×3, first 2 shown]
	s_cbranch_scc1 .LBB93_82
; %bb.81:
	s_load_dwordx4 s[8:11], s[4:5], 0x10
	s_load_dwordx4 s[12:15], s[4:5], 0xd0
	s_waitcnt lgkmcnt(0)
	v_mul_hi_u32 v1, s9, v3
	v_add_u32_e32 v1, v3, v1
	v_lshrrev_b32_e32 v1, s10, v1
	v_mul_lo_u32 v1, v1, s8
	v_sub_u32_e32 v1, v3, v1
	v_mad_u64_u32 v[12:13], s[2:3], v1, s12, v[12:13]
	v_mad_u64_u32 v[14:15], s[2:3], v1, s13, v[14:15]
	;; [unrolled: 1-line block ×3, first 2 shown]
.LBB93_82:
	s_and_b64 vcc, exec, s[0:1]
	s_cbranch_vccnz .LBB93_88
; %bb.83:
	s_cmp_lg_u32 s33, 0
	v_mov_b32_e32 v20, 0
	v_mov_b32_e32 v22, 0
	;; [unrolled: 1-line block ×3, first 2 shown]
	s_cbranch_scc0 .LBB93_89
; %bb.84:
	s_min_u32 s2, s34, 15
	s_add_i32 s0, s2, 1
	s_and_b32 s3, s0, 30
	s_add_u32 s0, s4, 0xffffffec
	s_addc_u32 s1, s5, -1
	v_mov_b32_e32 v18, 0
	v_mov_b32_e32 v1, v24
	;; [unrolled: 1-line block ×4, first 2 shown]
.LBB93_85:                              ; =>This Inner Loop Header: Depth=1
	s_mov_b64 s[6:7], s[0:1]
	s_load_dwordx4 s[8:11], s[6:7], 0x18
	s_load_dwordx2 s[16:17], s[6:7], 0x28
	s_load_dwordx2 s[18:19], s[6:7], 0xe8
	s_load_dwordx4 s[12:15], s[6:7], 0xd8
	s_add_u32 s0, s6, 24
	s_waitcnt lgkmcnt(0)
	v_mul_hi_u32 v3, s9, v1
	v_add_u32_e32 v3, v1, v3
	v_lshrrev_b32_e32 v3, s10, v3
	v_mul_lo_u32 v5, v3, s8
	v_mul_hi_u32 v7, s16, v3
	v_sub_u32_e32 v1, v1, v5
	v_add_u32_e32 v5, v3, v7
	v_mul_lo_u32 v7, v1, s12
	v_mul_lo_u32 v9, v1, s13
	;; [unrolled: 1-line block ×3, first 2 shown]
	v_lshrrev_b32_e32 v1, s17, v5
	v_mul_lo_u32 v5, v1, s11
	v_sub_u32_e32 v3, v3, v5
	s_addc_u32 s1, s7, 0
	s_add_i32 s3, s3, -2
	v_mul_lo_u32 v5, v3, s15
	v_mul_lo_u32 v13, v3, s18
	v_mul_lo_u32 v3, v3, s19
	s_cmp_lg_u32 s3, 0
	v_add3_u32 v18, v7, v18, v5
	v_add3_u32 v20, v11, v20, v3
	;; [unrolled: 1-line block ×3, first 2 shown]
	s_cbranch_scc1 .LBB93_85
; %bb.86:
	s_bitcmp1_b32 s2, 0
	s_cselect_b64 s[2:3], -1, 0
	s_and_b64 vcc, exec, s[2:3]
	s_cbranch_vccnz .LBB93_89
; %bb.87:
	s_load_dwordx2 s[2:3], s[0:1], 0x18
	s_load_dword s8, s[0:1], 0x20
	s_load_dword s9, s[0:1], 0xe0
	s_load_dwordx2 s[6:7], s[0:1], 0xd8
	s_waitcnt lgkmcnt(0)
	v_mul_hi_u32 v3, s3, v1
	v_add_u32_e32 v3, v1, v3
	v_lshrrev_b32_e32 v3, s8, v3
	v_mul_lo_u32 v3, v3, s2
	v_sub_u32_e32 v1, v1, v3
	v_mad_u64_u32 v[18:19], s[0:1], v1, s6, v[18:19]
	v_mad_u64_u32 v[22:23], s[0:1], v1, s7, v[22:23]
	;; [unrolled: 1-line block ×3, first 2 shown]
	s_cbranch_execz .LBB93_90
	s_branch .LBB93_92
.LBB93_88:
                                        ; implicit-def: $vgpr20
                                        ; implicit-def: $vgpr22
                                        ; implicit-def: $vgpr18
	s_branch .LBB93_90
.LBB93_89:
	s_cbranch_execnz .LBB93_92
.LBB93_90:
	s_load_dwordx4 s[0:3], s[4:5], 0x4
	s_load_dwordx4 s[8:11], s[4:5], 0xc4
	s_cmp_lt_u32 s33, 2
	s_waitcnt lgkmcnt(0)
	v_mul_hi_u32 v1, s1, v24
	v_add_u32_e32 v1, v24, v1
	v_lshrrev_b32_e32 v1, s2, v1
	v_mul_lo_u32 v3, v1, s0
	v_sub_u32_e32 v3, v24, v3
	v_mul_lo_u32 v18, v3, s8
	v_mul_lo_u32 v20, v3, s10
	;; [unrolled: 1-line block ×3, first 2 shown]
	s_cbranch_scc1 .LBB93_92
; %bb.91:
	s_load_dwordx4 s[0:3], s[4:5], 0x10
	s_load_dwordx4 s[8:11], s[4:5], 0xd0
	s_waitcnt lgkmcnt(0)
	v_mul_hi_u32 v3, s1, v1
	v_add_u32_e32 v3, v1, v3
	v_lshrrev_b32_e32 v3, s2, v3
	v_mul_lo_u32 v3, v3, s0
	v_sub_u32_e32 v1, v1, v3
	v_mad_u64_u32 v[18:19], s[0:1], v1, s8, v[18:19]
	v_mad_u64_u32 v[22:23], s[0:1], v1, s9, v[22:23]
	v_mad_u64_u32 v[20:21], s[0:1], v1, s10, v[20:21]
.LBB93_92:
	s_load_dwordx4 s[0:3], s[4:5], 0x188
	s_load_dwordx2 s[6:7], s[4:5], 0x198
	s_waitcnt lgkmcnt(0)
	global_load_dword v1, v4, s[2:3]
	global_load_dword v3, v2, s[6:7]
	;; [unrolled: 1-line block ×8, first 2 shown]
	s_brev_b32 s2, -2
	s_waitcnt vmcnt(6)
	v_bfi_b32 v1, s2, v1, v3
	s_waitcnt vmcnt(4)
	v_bfi_b32 v2, s2, v5, v7
	;; [unrolled: 2-line block ×4, first 2 shown]
	global_store_dword v0, v1, s[0:1]
	global_store_dword v6, v2, s[0:1]
	;; [unrolled: 1-line block ×4, first 2 shown]
	s_endpgm
	.section	.rodata,"a",@progbits
	.p2align	6, 0x0
	.amdhsa_kernel _ZN2at6native32elementwise_kernel_manual_unrollILi128ELi4EZNS0_22gpu_kernel_impl_nocastINS0_13BinaryFunctorIfffZZZNS0_20copysign_kernel_cudaERNS_18TensorIteratorBaseEENKUlvE_clEvENKUlvE0_clEvEUlffE_EEEEvS5_RKT_EUlibE_EEviT1_
		.amdhsa_group_segment_fixed_size 0
		.amdhsa_private_segment_fixed_size 0
		.amdhsa_kernarg_size 432
		.amdhsa_user_sgpr_count 6
		.amdhsa_user_sgpr_private_segment_buffer 1
		.amdhsa_user_sgpr_dispatch_ptr 0
		.amdhsa_user_sgpr_queue_ptr 0
		.amdhsa_user_sgpr_kernarg_segment_ptr 1
		.amdhsa_user_sgpr_dispatch_id 0
		.amdhsa_user_sgpr_flat_scratch_init 0
		.amdhsa_user_sgpr_kernarg_preload_length 0
		.amdhsa_user_sgpr_kernarg_preload_offset 0
		.amdhsa_user_sgpr_private_segment_size 0
		.amdhsa_uses_dynamic_stack 0
		.amdhsa_system_sgpr_private_segment_wavefront_offset 0
		.amdhsa_system_sgpr_workgroup_id_x 1
		.amdhsa_system_sgpr_workgroup_id_y 0
		.amdhsa_system_sgpr_workgroup_id_z 0
		.amdhsa_system_sgpr_workgroup_info 0
		.amdhsa_system_vgpr_workitem_id 0
		.amdhsa_next_free_vgpr 25
		.amdhsa_next_free_sgpr 52
		.amdhsa_accum_offset 28
		.amdhsa_reserve_vcc 1
		.amdhsa_reserve_flat_scratch 0
		.amdhsa_float_round_mode_32 0
		.amdhsa_float_round_mode_16_64 0
		.amdhsa_float_denorm_mode_32 3
		.amdhsa_float_denorm_mode_16_64 3
		.amdhsa_dx10_clamp 1
		.amdhsa_ieee_mode 1
		.amdhsa_fp16_overflow 0
		.amdhsa_tg_split 0
		.amdhsa_exception_fp_ieee_invalid_op 0
		.amdhsa_exception_fp_denorm_src 0
		.amdhsa_exception_fp_ieee_div_zero 0
		.amdhsa_exception_fp_ieee_overflow 0
		.amdhsa_exception_fp_ieee_underflow 0
		.amdhsa_exception_fp_ieee_inexact 0
		.amdhsa_exception_int_div_zero 0
	.end_amdhsa_kernel
	.section	.text._ZN2at6native32elementwise_kernel_manual_unrollILi128ELi4EZNS0_22gpu_kernel_impl_nocastINS0_13BinaryFunctorIfffZZZNS0_20copysign_kernel_cudaERNS_18TensorIteratorBaseEENKUlvE_clEvENKUlvE0_clEvEUlffE_EEEEvS5_RKT_EUlibE_EEviT1_,"axG",@progbits,_ZN2at6native32elementwise_kernel_manual_unrollILi128ELi4EZNS0_22gpu_kernel_impl_nocastINS0_13BinaryFunctorIfffZZZNS0_20copysign_kernel_cudaERNS_18TensorIteratorBaseEENKUlvE_clEvENKUlvE0_clEvEUlffE_EEEEvS5_RKT_EUlibE_EEviT1_,comdat
.Lfunc_end93:
	.size	_ZN2at6native32elementwise_kernel_manual_unrollILi128ELi4EZNS0_22gpu_kernel_impl_nocastINS0_13BinaryFunctorIfffZZZNS0_20copysign_kernel_cudaERNS_18TensorIteratorBaseEENKUlvE_clEvENKUlvE0_clEvEUlffE_EEEEvS5_RKT_EUlibE_EEviT1_, .Lfunc_end93-_ZN2at6native32elementwise_kernel_manual_unrollILi128ELi4EZNS0_22gpu_kernel_impl_nocastINS0_13BinaryFunctorIfffZZZNS0_20copysign_kernel_cudaERNS_18TensorIteratorBaseEENKUlvE_clEvENKUlvE0_clEvEUlffE_EEEEvS5_RKT_EUlibE_EEviT1_
                                        ; -- End function
	.section	.AMDGPU.csdata,"",@progbits
; Kernel info:
; codeLenInByte = 4704
; NumSgprs: 56
; NumVgprs: 25
; NumAgprs: 0
; TotalNumVgprs: 25
; ScratchSize: 0
; MemoryBound: 0
; FloatMode: 240
; IeeeMode: 1
; LDSByteSize: 0 bytes/workgroup (compile time only)
; SGPRBlocks: 6
; VGPRBlocks: 3
; NumSGPRsForWavesPerEU: 56
; NumVGPRsForWavesPerEU: 25
; AccumOffset: 28
; Occupancy: 8
; WaveLimiterHint : 1
; COMPUTE_PGM_RSRC2:SCRATCH_EN: 0
; COMPUTE_PGM_RSRC2:USER_SGPR: 6
; COMPUTE_PGM_RSRC2:TRAP_HANDLER: 0
; COMPUTE_PGM_RSRC2:TGID_X_EN: 1
; COMPUTE_PGM_RSRC2:TGID_Y_EN: 0
; COMPUTE_PGM_RSRC2:TGID_Z_EN: 0
; COMPUTE_PGM_RSRC2:TIDIG_COMP_CNT: 0
; COMPUTE_PGM_RSRC3_GFX90A:ACCUM_OFFSET: 6
; COMPUTE_PGM_RSRC3_GFX90A:TG_SPLIT: 0
	.text
	.p2align	2                               ; -- Begin function _ZN2at6native25elementwise_kernel_helperILb1ENS0_13BinaryFunctorIfffZZZNS0_20copysign_kernel_cudaERNS_18TensorIteratorBaseEENKUlvE_clEvENKUlvE0_clEvEUlffE_EENS0_6memory8policies11unroll_baseILi512ESt5arrayIPcLm3EE23TrivialOffsetCalculatorILi2EjESF_ILi1EjENS9_12LoadWithCastILi2EEENS9_13StoreWithCastILi1EEELi32ELi1EEEEEvT0_T1_
	.type	_ZN2at6native25elementwise_kernel_helperILb1ENS0_13BinaryFunctorIfffZZZNS0_20copysign_kernel_cudaERNS_18TensorIteratorBaseEENKUlvE_clEvENKUlvE0_clEvEUlffE_EENS0_6memory8policies11unroll_baseILi512ESt5arrayIPcLm3EE23TrivialOffsetCalculatorILi2EjESF_ILi1EjENS9_12LoadWithCastILi2EEENS9_13StoreWithCastILi1EEELi32ELi1EEEEEvT0_T1_,@function
_ZN2at6native25elementwise_kernel_helperILb1ENS0_13BinaryFunctorIfffZZZNS0_20copysign_kernel_cudaERNS_18TensorIteratorBaseEENKUlvE_clEvENKUlvE0_clEvEUlffE_EENS0_6memory8policies11unroll_baseILi512ESt5arrayIPcLm3EE23TrivialOffsetCalculatorILi2EjESF_ILi1EjENS9_12LoadWithCastILi2EEENS9_13StoreWithCastILi1EEELi32ELi1EEEEEvT0_T1_: ; @_ZN2at6native25elementwise_kernel_helperILb1ENS0_13BinaryFunctorIfffZZZNS0_20copysign_kernel_cudaERNS_18TensorIteratorBaseEENKUlvE_clEvENKUlvE0_clEvEUlffE_EENS0_6memory8policies11unroll_baseILi512ESt5arrayIPcLm3EE23TrivialOffsetCalculatorILi2EjESF_ILi1EjENS9_12LoadWithCastILi2EEENS9_13StoreWithCastILi1EEELi32ELi1EEEEEvT0_T1_
; %bb.0:
	s_waitcnt vmcnt(0) expcnt(0) lgkmcnt(0)
	s_or_saveexec_b64 s[4:5], -1
	buffer_store_dword v40, off, s[0:3], s32 offset:256 ; 4-byte Folded Spill
	buffer_store_dword v41, off, s[0:3], s32 offset:260 ; 4-byte Folded Spill
	buffer_store_dword v42, off, s[0:3], s32 offset:264 ; 4-byte Folded Spill
	buffer_store_dword v43, off, s[0:3], s32 offset:268 ; 4-byte Folded Spill
	buffer_store_dword v44, off, s[0:3], s32 offset:272 ; 4-byte Folded Spill
	s_mov_b64 exec, s[4:5]
	v_writelane_b32 v40, s34, 0
	v_writelane_b32 v40, s35, 1
	;; [unrolled: 1-line block ×66, first 2 shown]
	s_load_dword s4, s[8:9], 0x10
	s_load_dword s6, s[8:9], 0x0
	s_mov_b32 s5, 0
                                        ; implicit-def: $vgpr44 : SGPR spill to VGPR lane
	v_and_b32_e32 v13, 0x3ff, v31
	v_writelane_b32 v44, s5, 0
	s_waitcnt lgkmcnt(0)
	s_lshr_b32 s4, s4, 16
	s_cmp_lg_u32 s4, 0
	s_cselect_b64 s[4:5], -1, 0
	s_not_b32 s7, s12
	s_cmp_lg_u64 s[4:5], 0
	s_addc_u32 s4, s6, s7
	s_lshl_b32 s4, s4, 14
	v_mov_b32_e32 v16, 0
	v_writelane_b32 v44, s4, 1
	s_mov_b64 s[4:5], 0
	v_lshrrev_b32_e64 v17, 6, s32
	v_mov_b32_e32 v18, 10
	v_mov_b32_e32 v19, 25
	;; [unrolled: 1-line block ×30, first 2 shown]
	buffer_store_dword v16, off, s[0:3], s32 offset:4
	buffer_store_dword v16, off, s[0:3], s32
	buffer_store_dword v16, off, s[0:3], s32 offset:12
	buffer_store_dword v16, off, s[0:3], s32 offset:8
	;; [unrolled: 1-line block ×62, first 2 shown]
                                        ; implicit-def: $sgpr6_sgpr7
                                        ; implicit-def: $sgpr8_sgpr9
                                        ; implicit-def: $sgpr10_sgpr11
                                        ; implicit-def: $sgpr12_sgpr13
	s_branch .LBB94_17
.LBB94_1:                               ;   in Loop: Header=BB94_17 Depth=1
	s_or_b64 exec, exec, vcc
	v_readlane_b32 vcc_lo, v44, 38
	v_readlane_b32 vcc_hi, v44, 39
	s_andn2_b64 vcc, vcc, exec
	s_and_b64 s[60:61], s[68:69], exec
	s_or_b64 vcc, vcc, s[60:61]
	v_writelane_b32 v44, vcc_lo, 38
	v_writelane_b32 v44, vcc_hi, 39
	v_readlane_b32 vcc_lo, v44, 44
	v_readlane_b32 vcc_hi, v44, 45
	s_andn2_b64 vcc, vcc, exec
	s_and_b64 s[60:61], s[66:67], exec
	s_or_b64 s[62:63], vcc, s[60:61]
	v_readlane_b32 vcc_lo, v44, 46
	v_readlane_b32 vcc_hi, v44, 47
	s_orn2_b64 vcc, vcc, exec
	v_writelane_b32 v44, vcc_lo, 36
	v_writelane_b32 v44, vcc_hi, 37
.LBB94_2:                               ;   in Loop: Header=BB94_17 Depth=1
	s_or_b64 exec, exec, s[96:97]
	v_readlane_b32 vcc_lo, v44, 28
	v_readlane_b32 s60, v44, 38
	v_readlane_b32 vcc_hi, v44, 29
	v_readlane_b32 s61, v44, 39
	s_andn2_b64 vcc, vcc, exec
	s_and_b64 s[60:61], s[60:61], exec
	s_or_b64 vcc, vcc, s[60:61]
	v_writelane_b32 v44, vcc_lo, 28
	v_writelane_b32 v44, vcc_hi, 29
	v_readlane_b32 vcc_lo, v44, 30
	v_readlane_b32 vcc_hi, v44, 31
	s_andn2_b64 vcc, vcc, exec
	s_and_b64 s[60:61], s[62:63], exec
	s_or_b64 vcc, vcc, s[60:61]
	v_writelane_b32 v44, vcc_lo, 30
	v_writelane_b32 v44, vcc_hi, 31
	v_readlane_b32 vcc_lo, v44, 36
	v_readlane_b32 vcc_hi, v44, 37
	s_orn2_b64 s[96:97], vcc, exec
.LBB94_3:                               ;   in Loop: Header=BB94_17 Depth=1
	s_or_b64 exec, exec, s[94:95]
	v_readlane_b32 vcc_lo, v44, 22
	v_readlane_b32 s60, v44, 28
	v_readlane_b32 vcc_hi, v44, 23
	v_readlane_b32 s61, v44, 29
	s_andn2_b64 vcc, vcc, exec
	s_and_b64 s[60:61], s[60:61], exec
	s_or_b64 vcc, vcc, s[60:61]
	v_writelane_b32 v44, vcc_lo, 22
	v_writelane_b32 v44, vcc_hi, 23
	v_readlane_b32 vcc_lo, v44, 26
	v_readlane_b32 s60, v44, 30
	v_readlane_b32 vcc_hi, v44, 27
	v_readlane_b32 s61, v44, 31
	s_andn2_b64 vcc, vcc, exec
	s_and_b64 s[60:61], s[60:61], exec
	s_or_b64 s[62:63], vcc, s[60:61]
	s_orn2_b64 s[90:91], s[96:97], exec
.LBB94_4:                               ;   in Loop: Header=BB94_17 Depth=1
	s_or_b64 exec, exec, s[88:89]
	v_readlane_b32 vcc_lo, v44, 18
	v_readlane_b32 s60, v44, 22
	v_readlane_b32 vcc_hi, v44, 19
	v_readlane_b32 s61, v44, 23
	s_andn2_b64 vcc, vcc, exec
	s_and_b64 s[60:61], s[60:61], exec
	s_or_b64 vcc, vcc, s[60:61]
	v_writelane_b32 v44, vcc_lo, 18
	v_writelane_b32 v44, vcc_hi, 19
	v_readlane_b32 vcc_lo, v44, 20
	v_readlane_b32 vcc_hi, v44, 21
	s_andn2_b64 vcc, vcc, exec
	s_and_b64 s[60:61], s[62:63], exec
	s_or_b64 s[62:63], vcc, s[60:61]
	s_orn2_b64 s[84:85], s[90:91], exec
.LBB94_5:                               ;   in Loop: Header=BB94_17 Depth=1
	s_or_b64 exec, exec, s[82:83]
	v_readlane_b32 vcc_lo, v44, 14
	v_readlane_b32 s60, v44, 18
	v_readlane_b32 vcc_hi, v44, 15
	v_readlane_b32 s61, v44, 19
	s_andn2_b64 vcc, vcc, exec
	s_and_b64 s[60:61], s[60:61], exec
	s_or_b64 vcc, vcc, s[60:61]
	v_writelane_b32 v44, vcc_lo, 14
	v_writelane_b32 v44, vcc_hi, 15
	v_readlane_b32 vcc_lo, v44, 16
	v_readlane_b32 vcc_hi, v44, 17
	s_andn2_b64 vcc, vcc, exec
	s_and_b64 s[60:61], s[62:63], exec
	s_or_b64 s[62:63], vcc, s[60:61]
	s_orn2_b64 s[78:79], s[84:85], exec
.LBB94_6:                               ;   in Loop: Header=BB94_17 Depth=1
	v_readlane_b32 vcc_lo, v44, 12
	v_readlane_b32 vcc_hi, v44, 13
	s_or_b64 exec, exec, vcc
	v_readlane_b32 vcc_lo, v44, 8
	v_readlane_b32 s60, v44, 14
	v_readlane_b32 vcc_hi, v44, 9
	v_readlane_b32 s61, v44, 15
	s_andn2_b64 vcc, vcc, exec
	s_and_b64 s[60:61], s[60:61], exec
	s_or_b64 vcc, vcc, s[60:61]
	v_writelane_b32 v44, vcc_lo, 8
	v_writelane_b32 v44, vcc_hi, 9
	v_readlane_b32 vcc_lo, v44, 10
	v_readlane_b32 vcc_hi, v44, 11
	s_andn2_b64 vcc, vcc, exec
	s_and_b64 s[60:61], s[62:63], exec
	s_or_b64 s[62:63], vcc, s[60:61]
	s_orn2_b64 s[72:73], s[78:79], exec
.LBB94_7:                               ;   in Loop: Header=BB94_17 Depth=1
	v_readlane_b32 vcc_lo, v44, 6
	v_readlane_b32 vcc_hi, v44, 7
	s_or_b64 exec, exec, vcc
	v_readlane_b32 vcc_lo, v44, 2
	v_readlane_b32 s60, v44, 8
	v_readlane_b32 vcc_hi, v44, 3
	v_readlane_b32 s61, v44, 9
	s_andn2_b64 vcc, vcc, exec
	s_and_b64 s[60:61], s[60:61], exec
	s_or_b64 vcc, vcc, s[60:61]
	v_writelane_b32 v44, vcc_lo, 2
	v_writelane_b32 v44, vcc_hi, 3
	v_readlane_b32 vcc_lo, v44, 4
	v_readlane_b32 vcc_hi, v44, 5
	s_andn2_b64 vcc, vcc, exec
	s_and_b64 s[60:61], s[62:63], exec
	s_or_b64 s[60:61], vcc, s[60:61]
	s_orn2_b64 s[66:67], s[72:73], exec
.LBB94_8:                               ;   in Loop: Header=BB94_17 Depth=1
	s_or_b64 exec, exec, s[64:65]
	s_andn2_b64 vcc, s[56:57], exec
	v_readlane_b32 s56, v44, 2
	v_readlane_b32 s57, v44, 3
	s_and_b64 s[56:57], s[56:57], exec
	s_or_b64 s[56:57], vcc, s[56:57]
	s_andn2_b64 vcc, s[54:55], exec
	s_and_b64 s[54:55], s[60:61], exec
	s_or_b64 s[54:55], vcc, s[54:55]
	s_orn2_b64 s[60:61], s[66:67], exec
.LBB94_9:                               ;   in Loop: Header=BB94_17 Depth=1
	s_or_b64 exec, exec, s[58:59]
	s_andn2_b64 vcc, s[50:51], exec
	s_and_b64 s[50:51], s[56:57], exec
	s_or_b64 s[50:51], vcc, s[50:51]
	s_andn2_b64 vcc, s[48:49], exec
	s_and_b64 s[48:49], s[54:55], exec
	s_or_b64 s[48:49], vcc, s[48:49]
	s_orn2_b64 s[54:55], s[60:61], exec
.LBB94_10:                              ;   in Loop: Header=BB94_17 Depth=1
	s_or_b64 exec, exec, s[52:53]
	s_andn2_b64 vcc, s[44:45], exec
	s_and_b64 s[44:45], s[50:51], exec
	s_or_b64 s[44:45], vcc, s[44:45]
	s_andn2_b64 vcc, s[42:43], exec
	s_and_b64 s[42:43], s[48:49], exec
	s_or_b64 s[42:43], vcc, s[42:43]
	s_orn2_b64 s[48:49], s[54:55], exec
.LBB94_11:                              ;   in Loop: Header=BB94_17 Depth=1
	s_or_b64 exec, exec, s[46:47]
	s_andn2_b64 vcc, s[38:39], exec
	s_and_b64 s[38:39], s[44:45], exec
	s_or_b64 s[38:39], vcc, s[38:39]
	s_andn2_b64 vcc, s[36:37], exec
	s_and_b64 s[36:37], s[42:43], exec
	s_or_b64 s[36:37], vcc, s[36:37]
	s_orn2_b64 s[42:43], s[48:49], exec
.LBB94_12:                              ;   in Loop: Header=BB94_17 Depth=1
	s_or_b64 exec, exec, s[40:41]
	s_andn2_b64 vcc, s[30:31], exec
	s_and_b64 s[30:31], s[38:39], exec
	s_or_b64 s[30:31], vcc, s[30:31]
	s_andn2_b64 s[28:29], s[28:29], exec
	s_and_b64 vcc, s[36:37], exec
	s_or_b64 s[28:29], s[28:29], vcc
	s_orn2_b64 s[36:37], s[42:43], exec
.LBB94_13:                              ;   in Loop: Header=BB94_17 Depth=1
	s_or_b64 exec, exec, s[34:35]
	s_andn2_b64 s[24:25], s[24:25], exec
	s_and_b64 vcc, s[30:31], exec
	s_andn2_b64 s[22:23], s[22:23], exec
	s_and_b64 s[28:29], s[28:29], exec
	s_or_b64 s[24:25], s[24:25], vcc
	s_or_b64 s[22:23], s[22:23], s[28:29]
	s_orn2_b64 s[28:29], s[36:37], exec
.LBB94_14:                              ;   in Loop: Header=BB94_17 Depth=1
	s_or_b64 exec, exec, s[26:27]
	s_andn2_b64 s[18:19], s[18:19], exec
	s_and_b64 s[24:25], s[24:25], exec
	s_andn2_b64 s[16:17], s[16:17], exec
	s_and_b64 s[22:23], s[22:23], exec
	s_or_b64 s[18:19], s[18:19], s[24:25]
	s_or_b64 s[16:17], s[16:17], s[22:23]
	s_orn2_b64 s[22:23], s[28:29], exec
.LBB94_15:                              ;   in Loop: Header=BB94_17 Depth=1
	s_or_b64 exec, exec, s[20:21]
	s_andn2_b64 s[12:13], s[12:13], exec
	s_and_b64 s[18:19], s[18:19], exec
	s_andn2_b64 s[10:11], s[10:11], exec
	s_and_b64 s[16:17], s[16:17], exec
	s_or_b64 s[12:13], s[12:13], s[18:19]
	s_or_b64 s[10:11], s[10:11], s[16:17]
	s_orn2_b64 s[16:17], s[22:23], exec
.LBB94_16:                              ;   in Loop: Header=BB94_17 Depth=1
	s_or_b64 exec, exec, s[14:15]
	s_and_b64 s[14:15], exec, s[16:17]
	s_or_b64 s[4:5], s[14:15], s[4:5]
	s_andn2_b64 s[8:9], s[8:9], exec
	s_and_b64 s[14:15], s[12:13], exec
	s_or_b64 s[8:9], s[8:9], s[14:15]
	s_andn2_b64 s[6:7], s[6:7], exec
	s_and_b64 s[14:15], s[10:11], exec
	s_or_b64 s[6:7], s[6:7], s[14:15]
	s_andn2_b64 exec, exec, s[4:5]
	s_cbranch_execz .LBB94_3650
.LBB94_17:                              ; =>This Inner Loop Header: Depth=1
	v_cmp_lt_i32_e32 vcc, v55, v6
	s_mov_b64 s[16:17], -1
	s_mov_b64 s[18:19], -1
                                        ; implicit-def: $sgpr20_sgpr21
                                        ; implicit-def: $sgpr22_sgpr23
	s_and_saveexec_b64 s[14:15], vcc
	s_cbranch_execz .LBB94_127
; %bb.18:                               ;   in Loop: Header=BB94_17 Depth=1
	v_readlane_b32 s18, v44, 1
	s_waitcnt vmcnt(0) lgkmcnt(0)
	v_add_u32_e32 v64, s18, v55
	v_mul_lo_u32 v14, v64, v9
	v_add_co_u32_e32 v14, vcc, v2, v14
	v_addc_co_u32_e32 v15, vcc, 0, v3, vcc
	v_cmp_gt_i16_sdwa s[22:23], v7, v18 src0_sel:BYTE_0 src1_sel:DWORD
	s_mov_b64 s[24:25], 0
                                        ; implicit-def: $sgpr18_sgpr19
                                        ; implicit-def: $sgpr20_sgpr21
                                        ; implicit-def: $vgpr66
	s_and_saveexec_b64 s[26:27], s[22:23]
	s_xor_b64 s[22:23], exec, s[26:27]
	s_cbranch_execnz .LBB94_21
; %bb.19:                               ;   in Loop: Header=BB94_17 Depth=1
	s_andn2_saveexec_b64 s[22:23], s[22:23]
	s_cbranch_execnz .LBB94_80
.LBB94_20:                              ;   in Loop: Header=BB94_17 Depth=1
	s_or_b64 exec, exec, s[22:23]
	s_mov_b64 s[26:27], 0
	s_and_saveexec_b64 s[22:23], s[24:25]
	s_cbranch_execnz .LBB94_121
	s_branch .LBB94_126
.LBB94_21:                              ;   in Loop: Header=BB94_17 Depth=1
	v_cmp_gt_i16_sdwa s[18:19], v7, v19 src0_sel:BYTE_0 src1_sel:DWORD
                                        ; implicit-def: $sgpr26_sgpr27
                                        ; implicit-def: $sgpr20_sgpr21
                                        ; implicit-def: $vgpr66
	s_and_saveexec_b64 s[28:29], s[18:19]
	s_xor_b64 s[18:19], exec, s[28:29]
	s_cbranch_execz .LBB94_53
; %bb.22:                               ;   in Loop: Header=BB94_17 Depth=1
	v_cmp_gt_i16_sdwa s[28:29], v7, v20 src0_sel:BYTE_0 src1_sel:DWORD
                                        ; implicit-def: $sgpr26_sgpr27
                                        ; implicit-def: $sgpr20_sgpr21
                                        ; implicit-def: $vgpr66
	s_and_saveexec_b64 vcc, s[28:29]
	s_xor_b64 s[28:29], exec, vcc
	s_cbranch_execz .LBB94_38
; %bb.23:                               ;   in Loop: Header=BB94_17 Depth=1
	v_cmp_gt_i16_sdwa s[20:21], v7, v21 src0_sel:BYTE_0 src1_sel:DWORD
	s_mov_b64 vcc, 0
                                        ; implicit-def: $sgpr24_sgpr25
                                        ; implicit-def: $sgpr26_sgpr27
                                        ; implicit-def: $vgpr66
	s_and_saveexec_b64 s[30:31], s[20:21]
	s_xor_b64 s[20:21], exec, s[30:31]
	s_cbranch_execz .LBB94_33
; %bb.24:                               ;   in Loop: Header=BB94_17 Depth=1
	v_cmp_gt_i16_sdwa s[26:27], v7, v22 src0_sel:BYTE_0 src1_sel:DWORD
	s_mov_b64 s[30:31], 0
                                        ; implicit-def: $sgpr24_sgpr25
                                        ; implicit-def: $sgpr34_sgpr35
                                        ; implicit-def: $vgpr66
	s_and_saveexec_b64 vcc, s[26:27]
	s_xor_b64 s[26:27], exec, vcc
	s_cbranch_execz .LBB94_28
; %bb.25:                               ;   in Loop: Header=BB94_17 Depth=1
	v_cmp_eq_u16_sdwa s[34:35], v7, v23 src0_sel:BYTE_0 src1_sel:DWORD
	s_mov_b64 s[24:25], 0
	s_mov_b64 vcc, 0
                                        ; implicit-def: $vgpr66
	s_and_saveexec_b64 s[30:31], s[34:35]
	s_cbranch_execz .LBB94_27
; %bb.26:                               ;   in Loop: Header=BB94_17 Depth=1
	flat_load_dword v14, v[14:15]
	s_mov_b64 vcc, exec
	s_waitcnt vmcnt(0) lgkmcnt(0)
	v_lshlrev_b32_e32 v66, 16, v14
.LBB94_27:                              ;   in Loop: Header=BB94_17 Depth=1
	s_or_b64 exec, exec, s[30:31]
	s_mov_b64 s[34:35], -1
	s_and_b64 s[30:31], vcc, exec
                                        ; implicit-def: $vgpr14_vgpr15
.LBB94_28:                              ;   in Loop: Header=BB94_17 Depth=1
	s_andn2_saveexec_b64 s[26:27], s[26:27]
	s_cbranch_execz .LBB94_32
; %bb.29:                               ;   in Loop: Header=BB94_17 Depth=1
	v_cmp_eq_u16_sdwa s[38:39], v7, v24 src0_sel:BYTE_0 src1_sel:DWORD
	s_mov_b64 vcc, s[30:31]
                                        ; implicit-def: $vgpr66
	s_and_saveexec_b64 s[36:37], s[38:39]
	s_cbranch_execz .LBB94_31
; %bb.30:                               ;   in Loop: Header=BB94_17 Depth=1
	flat_load_ubyte v14, v[14:15]
	s_movk_i32 vcc_lo, 0xff
	s_waitcnt vmcnt(0) lgkmcnt(0)
	v_lshlrev_b32_e32 v15, 23, v14
	v_cmp_ne_u32_e32 vcc, vcc_lo, v14
	v_cndmask_b32_e32 v15, v25, v15, vcc
	v_cmp_ne_u32_e32 vcc, 0, v14
	v_cndmask_b32_e32 v66, v26, v15, vcc
	s_or_b64 vcc, s[30:31], exec
.LBB94_31:                              ;   in Loop: Header=BB94_17 Depth=1
	s_or_b64 exec, exec, s[36:37]
	s_andn2_b64 s[30:31], s[30:31], exec
	s_and_b64 vcc, vcc, exec
	s_andn2_b64 s[24:25], s[24:25], exec
	s_or_b64 s[34:35], s[34:35], exec
	s_or_b64 s[30:31], s[30:31], vcc
.LBB94_32:                              ;   in Loop: Header=BB94_17 Depth=1
	s_or_b64 exec, exec, s[26:27]
	s_and_b64 s[26:27], s[24:25], exec
	s_and_b64 s[24:25], s[34:35], exec
	s_and_b64 vcc, s[30:31], exec
                                        ; implicit-def: $vgpr14_vgpr15
.LBB94_33:                              ;   in Loop: Header=BB94_17 Depth=1
	s_andn2_saveexec_b64 s[20:21], s[20:21]
	s_cbranch_execz .LBB94_37
; %bb.34:                               ;   in Loop: Header=BB94_17 Depth=1
	v_cmp_eq_u16_sdwa s[36:37], v7, v27 src0_sel:BYTE_0 src1_sel:DWORD
	s_mov_b64 s[34:35], vcc
                                        ; implicit-def: $vgpr66
	s_and_saveexec_b64 s[30:31], s[36:37]
	s_cbranch_execz .LBB94_36
; %bb.35:                               ;   in Loop: Header=BB94_17 Depth=1
	flat_load_dwordx2 v[14:15], v[14:15]
	s_or_b64 s[34:35], vcc, exec
	s_waitcnt vmcnt(0) lgkmcnt(0)
	v_ffbh_u32_e32 v65, v15
	v_min_u32_e32 v65, 32, v65
	v_lshlrev_b64 v[14:15], v65, v[14:15]
	v_min_u32_e32 v14, 1, v14
	v_or_b32_e32 v14, v15, v14
	v_cvt_f32_u32_e32 v14, v14
	v_sub_u32_e32 v15, 32, v65
	v_ldexp_f32 v66, v14, v15
.LBB94_36:                              ;   in Loop: Header=BB94_17 Depth=1
	s_or_b64 exec, exec, s[30:31]
	s_andn2_b64 vcc, vcc, exec
	s_and_b64 s[30:31], s[34:35], exec
	s_andn2_b64 s[26:27], s[26:27], exec
	s_or_b64 s[24:25], s[24:25], exec
	s_or_b64 vcc, vcc, s[30:31]
.LBB94_37:                              ;   in Loop: Header=BB94_17 Depth=1
	s_or_b64 exec, exec, s[20:21]
	s_and_b64 s[20:21], s[26:27], exec
	s_and_b64 s[26:27], s[24:25], exec
	s_and_b64 s[24:25], vcc, exec
                                        ; implicit-def: $vgpr14_vgpr15
.LBB94_38:                              ;   in Loop: Header=BB94_17 Depth=1
	s_andn2_saveexec_b64 s[28:29], s[28:29]
	s_cbranch_execz .LBB94_52
; %bb.39:                               ;   in Loop: Header=BB94_17 Depth=1
	v_cmp_gt_i16_sdwa vcc, v7, v28 src0_sel:BYTE_0 src1_sel:DWORD
                                        ; implicit-def: $vgpr66
	s_and_saveexec_b64 s[30:31], vcc
	s_xor_b64 vcc, exec, s[30:31]
	s_cbranch_execz .LBB94_45
; %bb.40:                               ;   in Loop: Header=BB94_17 Depth=1
	v_cmp_gt_i16_sdwa s[30:31], v7, v29 src0_sel:BYTE_0 src1_sel:DWORD
                                        ; implicit-def: $vgpr66
	s_and_saveexec_b64 s[34:35], s[30:31]
	s_xor_b64 s[30:31], exec, s[34:35]
	s_cbranch_execz .LBB94_42
; %bb.41:                               ;   in Loop: Header=BB94_17 Depth=1
	flat_load_dword v14, v[14:15]
	s_waitcnt vmcnt(0) lgkmcnt(0)
	v_cvt_f32_u32_e32 v66, v14
                                        ; implicit-def: $vgpr14_vgpr15
.LBB94_42:                              ;   in Loop: Header=BB94_17 Depth=1
	s_andn2_saveexec_b64 s[30:31], s[30:31]
	s_cbranch_execz .LBB94_44
; %bb.43:                               ;   in Loop: Header=BB94_17 Depth=1
	flat_load_ushort v14, v[14:15]
	s_waitcnt vmcnt(0) lgkmcnt(0)
	v_cvt_f32_u32_e32 v66, v14
.LBB94_44:                              ;   in Loop: Header=BB94_17 Depth=1
	s_or_b64 exec, exec, s[30:31]
                                        ; implicit-def: $vgpr14_vgpr15
.LBB94_45:                              ;   in Loop: Header=BB94_17 Depth=1
	s_andn2_saveexec_b64 s[30:31], vcc
	s_cbranch_execz .LBB94_51
; %bb.46:                               ;   in Loop: Header=BB94_17 Depth=1
	flat_load_ubyte v14, v[14:15]
	s_movk_i32 vcc_lo, 0x7f
	s_mov_b64 s[34:35], 0
                                        ; implicit-def: $sgpr40
	s_waitcnt vmcnt(0) lgkmcnt(0)
	v_cmp_lt_i16_e32 vcc, vcc_lo, v14
	s_and_saveexec_b64 s[36:37], vcc
	s_xor_b64 s[36:37], exec, s[36:37]
	s_cbranch_execnz .LBB94_765
; %bb.47:                               ;   in Loop: Header=BB94_17 Depth=1
	s_or_saveexec_b64 s[36:37], s[36:37]
	v_mov_b32_e32 v66, s40
	s_xor_b64 exec, exec, s[36:37]
	s_cbranch_execnz .LBB94_768
.LBB94_48:                              ;   in Loop: Header=BB94_17 Depth=1
	s_or_b64 exec, exec, s[36:37]
	s_and_saveexec_b64 s[36:37], s[34:35]
	s_cbranch_execz .LBB94_50
.LBB94_49:                              ;   in Loop: Header=BB94_17 Depth=1
	v_lshlrev_b32_e32 v15, 24, v14
	v_and_b32_e32 v14, 0xffff, v14
	v_and_b32_e32 v65, 7, v14
	v_ffbh_u32_e32 v67, v65
	v_min_u32_e32 v67, 32, v67
	v_subrev_u32_e32 v68, 28, v67
	v_bfe_u32 v66, v14, 3, 4
	v_lshlrev_b32_e32 v14, v68, v14
	v_sub_u32_e32 v67, 29, v67
	v_and_b32_e32 v14, 7, v14
	v_cmp_eq_u32_e32 vcc, 0, v66
	v_cndmask_b32_e32 v66, v66, v67, vcc
	v_cndmask_b32_e32 v14, v65, v14, vcc
	v_lshlrev_b32_e32 v14, 20, v14
	v_and_b32_e32 v15, 0x80000000, v15
	v_lshl_add_u32 v65, v66, 23, v30
	v_or3_b32 v66, v15, v65, v14
.LBB94_50:                              ;   in Loop: Header=BB94_17 Depth=1
	s_or_b64 exec, exec, s[36:37]
.LBB94_51:                              ;   in Loop: Header=BB94_17 Depth=1
	s_or_b64 exec, exec, s[30:31]
	s_andn2_b64 s[20:21], s[20:21], exec
	s_andn2_b64 s[26:27], s[26:27], exec
	s_or_b64 s[24:25], s[24:25], exec
.LBB94_52:                              ;   in Loop: Header=BB94_17 Depth=1
	s_or_b64 exec, exec, s[28:29]
	s_and_b64 s[20:21], s[20:21], exec
	s_and_b64 s[26:27], s[26:27], exec
	;; [unrolled: 1-line block ×3, first 2 shown]
                                        ; implicit-def: $vgpr14_vgpr15
.LBB94_53:                              ;   in Loop: Header=BB94_17 Depth=1
	s_andn2_saveexec_b64 s[18:19], s[18:19]
	s_cbranch_execz .LBB94_79
; %bb.54:                               ;   in Loop: Header=BB94_17 Depth=1
	v_cmp_gt_i16_sdwa s[28:29], v7, v31 src0_sel:BYTE_0 src1_sel:DWORD
	s_mov_b64 s[30:31], s[24:25]
                                        ; implicit-def: $vgpr66
	s_and_saveexec_b64 vcc, s[28:29]
	s_xor_b64 s[28:29], exec, vcc
	s_cbranch_execz .LBB94_68
; %bb.55:                               ;   in Loop: Header=BB94_17 Depth=1
	v_cmp_gt_i16_sdwa vcc, v7, v32 src0_sel:BYTE_0 src1_sel:DWORD
                                        ; implicit-def: $vgpr66
	s_and_saveexec_b64 s[30:31], vcc
	s_xor_b64 s[30:31], exec, s[30:31]
	s_cbranch_execz .LBB94_65
; %bb.56:                               ;   in Loop: Header=BB94_17 Depth=1
	v_cmp_gt_i16_sdwa vcc, v7, v33 src0_sel:BYTE_0 src1_sel:DWORD
                                        ; implicit-def: $vgpr66
	s_and_saveexec_b64 s[34:35], vcc
	s_xor_b64 s[34:35], exec, s[34:35]
	s_cbranch_execz .LBB94_62
; %bb.57:                               ;   in Loop: Header=BB94_17 Depth=1
	flat_load_ubyte v14, v[14:15]
	s_movk_i32 vcc_lo, 0x7f
	s_mov_b64 s[36:37], 0
                                        ; implicit-def: $sgpr42
	s_waitcnt vmcnt(0) lgkmcnt(0)
	v_cmp_lt_i16_e32 vcc, vcc_lo, v14
	s_and_saveexec_b64 s[38:39], vcc
	s_xor_b64 s[38:39], exec, s[38:39]
	s_cbranch_execnz .LBB94_980
; %bb.58:                               ;   in Loop: Header=BB94_17 Depth=1
	s_or_saveexec_b64 s[38:39], s[38:39]
	v_mov_b32_e32 v66, s42
	s_xor_b64 exec, exec, s[38:39]
	s_cbranch_execnz .LBB94_983
.LBB94_59:                              ;   in Loop: Header=BB94_17 Depth=1
	s_or_b64 exec, exec, s[38:39]
	s_and_saveexec_b64 s[38:39], s[36:37]
	s_cbranch_execz .LBB94_61
.LBB94_60:                              ;   in Loop: Header=BB94_17 Depth=1
	v_lshlrev_b32_e32 v15, 24, v14
	v_and_b32_e32 v14, 0xffff, v14
	v_and_b32_e32 v65, 3, v14
	v_ffbh_u32_e32 v67, v65
	v_min_u32_e32 v67, 32, v67
	v_subrev_u32_e32 v68, 29, v67
	v_bfe_u32 v66, v14, 2, 5
	v_lshlrev_b32_e32 v14, v68, v14
	v_sub_u32_e32 v67, 30, v67
	v_and_b32_e32 v14, 3, v14
	v_cmp_eq_u32_e32 vcc, 0, v66
	v_cndmask_b32_e32 v66, v66, v67, vcc
	v_cndmask_b32_e32 v14, v65, v14, vcc
	v_lshlrev_b32_e32 v14, 21, v14
	v_and_b32_e32 v15, 0x80000000, v15
	v_lshl_add_u32 v65, v66, 23, v34
	v_or3_b32 v66, v15, v65, v14
.LBB94_61:                              ;   in Loop: Header=BB94_17 Depth=1
	s_or_b64 exec, exec, s[38:39]
                                        ; implicit-def: $vgpr14_vgpr15
.LBB94_62:                              ;   in Loop: Header=BB94_17 Depth=1
	s_andn2_saveexec_b64 s[34:35], s[34:35]
	s_cbranch_execz .LBB94_64
; %bb.63:                               ;   in Loop: Header=BB94_17 Depth=1
	flat_load_ubyte v14, v[14:15]
	s_mov_b32 vcc_lo, 0x7f800000
	s_waitcnt vmcnt(0) lgkmcnt(0)
	v_lshlrev_b32_e32 v14, 24, v14
	v_and_b32_e32 v15, 0x7f000000, v14
	v_ffbh_u32_e32 v65, v15
	v_min_u32_e32 v65, 32, v65
	v_sub_u32_e64 v65, v65, 4 clamp
	v_lshlrev_b32_e32 v67, v65, v15
	v_lshlrev_b32_e32 v65, 23, v65
	v_lshrrev_b32_e32 v67, 4, v67
	v_add_u32_e32 v66, 0x1000000, v15
	v_sub_u32_e32 v65, v67, v65
	v_ashrrev_i32_e32 v66, 8, v66
	v_add_u32_e32 v65, 0x3c000000, v65
	v_and_or_b32 v65, v66, vcc_lo, v65
	v_cmp_ne_u32_e32 vcc, 0, v15
	v_cndmask_b32_e32 v15, 0, v65, vcc
	s_brev_b32 vcc_lo, 1
	v_and_or_b32 v66, v14, vcc_lo, v15
.LBB94_64:                              ;   in Loop: Header=BB94_17 Depth=1
	s_or_b64 exec, exec, s[34:35]
                                        ; implicit-def: $vgpr14_vgpr15
.LBB94_65:                              ;   in Loop: Header=BB94_17 Depth=1
	s_andn2_saveexec_b64 s[30:31], s[30:31]
	s_cbranch_execz .LBB94_67
; %bb.66:                               ;   in Loop: Header=BB94_17 Depth=1
	flat_load_ubyte v14, v[14:15]
	s_movk_i32 vcc_lo, 0x7f00
	s_waitcnt vmcnt(0) lgkmcnt(0)
	v_lshlrev_b16_e32 v15, 8, v14
	v_lshlrev_b32_e32 v14, 25, v14
	v_lshrrev_b32_e32 v65, 4, v14
	v_and_or_b32 v66, v15, vcc_lo, 0.5
	v_or_b32_e32 v65, 0x70000000, v65
	s_brev_b32 vcc_lo, 16
	v_add_f32_e32 v66, -0.5, v66
	v_mul_f32_e32 v65, 0x7800000, v65
	v_cmp_gt_u32_e32 vcc, vcc_lo, v14
	v_cndmask_b32_e32 v14, v65, v66, vcc
	v_bfe_i32 v15, v15, 0, 16
	s_brev_b32 vcc_lo, 1
	v_and_or_b32 v66, v15, vcc_lo, v14
.LBB94_67:                              ;   in Loop: Header=BB94_17 Depth=1
	s_or_b64 exec, exec, s[30:31]
	s_or_b64 s[30:31], s[24:25], exec
                                        ; implicit-def: $vgpr14_vgpr15
.LBB94_68:                              ;   in Loop: Header=BB94_17 Depth=1
	s_or_saveexec_b64 s[28:29], s[28:29]
                                        ; implicit-def: $vcc
                                        ; implicit-def: $sgpr38_sgpr39
	s_xor_b64 exec, exec, s[28:29]
	s_cbranch_execz .LBB94_78
; %bb.69:                               ;   in Loop: Header=BB94_17 Depth=1
	v_cmp_gt_i16_sdwa vcc, v7, v35 src0_sel:BYTE_0 src1_sel:DWORD
	s_mov_b64 s[36:37], s[30:31]
                                        ; implicit-def: $sgpr38_sgpr39
                                        ; implicit-def: $sgpr34_sgpr35
                                        ; implicit-def: $vgpr66
	s_and_saveexec_b64 s[40:41], vcc
	s_xor_b64 vcc, exec, s[40:41]
	s_cbranch_execz .LBB94_73
; %bb.70:                               ;   in Loop: Header=BB94_17 Depth=1
	v_cmp_eq_u16_sdwa s[38:39], v7, v36 src0_sel:BYTE_0 src1_sel:DWORD
	s_mov_b64 s[36:37], s[30:31]
                                        ; implicit-def: $vgpr66
	s_and_saveexec_b64 s[34:35], s[38:39]
	s_cbranch_execz .LBB94_72
; %bb.71:                               ;   in Loop: Header=BB94_17 Depth=1
	flat_load_ushort v14, v[14:15]
	s_or_b64 s[36:37], s[30:31], exec
	s_waitcnt vmcnt(0) lgkmcnt(0)
	v_lshlrev_b32_e32 v66, 16, v14
.LBB94_72:                              ;   in Loop: Header=BB94_17 Depth=1
	s_or_b64 exec, exec, s[34:35]
	s_andn2_b64 s[40:41], s[30:31], exec
	s_and_b64 s[36:37], s[36:37], exec
	s_mov_b64 s[34:35], -1
	s_mov_b64 s[38:39], 0
	s_or_b64 s[36:37], s[40:41], s[36:37]
                                        ; implicit-def: $vgpr14_vgpr15
.LBB94_73:                              ;   in Loop: Header=BB94_17 Depth=1
	s_andn2_saveexec_b64 s[40:41], vcc
	s_cbranch_execz .LBB94_77
; %bb.74:                               ;   in Loop: Header=BB94_17 Depth=1
	v_cmp_eq_u16_sdwa s[44:45], v7, v37 src0_sel:BYTE_0 src1_sel:DWORD
	s_mov_b64 vcc, s[36:37]
                                        ; implicit-def: $vgpr66
	s_and_saveexec_b64 s[42:43], s[44:45]
	s_cbranch_execz .LBB94_76
; %bb.75:                               ;   in Loop: Header=BB94_17 Depth=1
	flat_load_ubyte v14, v[14:15]
	s_waitcnt vmcnt(0) lgkmcnt(0)
	v_cmp_ne_u16_e32 vcc, 0, v14
	v_cndmask_b32_e64 v66, 0, 1.0, vcc
	s_or_b64 vcc, s[36:37], exec
.LBB94_76:                              ;   in Loop: Header=BB94_17 Depth=1
	s_or_b64 exec, exec, s[42:43]
	s_andn2_b64 s[36:37], s[36:37], exec
	s_and_b64 vcc, vcc, exec
	s_andn2_b64 s[38:39], s[38:39], exec
	s_or_b64 s[34:35], s[34:35], exec
	s_or_b64 s[36:37], s[36:37], vcc
.LBB94_77:                              ;   in Loop: Header=BB94_17 Depth=1
	s_or_b64 exec, exec, s[40:41]
	s_and_b64 vcc, s[34:35], exec
	s_andn2_b64 s[30:31], s[30:31], exec
	s_and_b64 s[34:35], s[36:37], exec
	s_and_b64 s[38:39], s[38:39], exec
	s_or_b64 s[30:31], s[30:31], s[34:35]
.LBB94_78:                              ;   in Loop: Header=BB94_17 Depth=1
	s_or_b64 exec, exec, s[28:29]
	s_andn2_b64 s[20:21], s[20:21], exec
	s_and_b64 s[28:29], s[38:39], exec
	s_or_b64 s[20:21], s[20:21], s[28:29]
	s_andn2_b64 s[26:27], s[26:27], exec
	s_and_b64 s[28:29], vcc, exec
	s_or_b64 s[26:27], s[26:27], s[28:29]
	s_andn2_b64 s[24:25], s[24:25], exec
	s_and_b64 s[28:29], s[30:31], exec
	s_or_b64 s[24:25], s[24:25], s[28:29]
.LBB94_79:                              ;   in Loop: Header=BB94_17 Depth=1
	s_or_b64 exec, exec, s[18:19]
	s_and_b64 s[20:21], s[20:21], exec
	s_and_b64 s[18:19], s[26:27], exec
	;; [unrolled: 1-line block ×3, first 2 shown]
                                        ; implicit-def: $vgpr14_vgpr15
	s_andn2_saveexec_b64 s[22:23], s[22:23]
	s_cbranch_execz .LBB94_20
.LBB94_80:                              ;   in Loop: Header=BB94_17 Depth=1
	v_cmp_gt_i16_sdwa s[26:27], v7, v38 src0_sel:BYTE_0 src1_sel:DWORD
                                        ; implicit-def: $vgpr66
	s_and_saveexec_b64 s[28:29], s[26:27]
	s_xor_b64 s[26:27], exec, s[28:29]
	s_cbranch_execz .LBB94_102
; %bb.81:                               ;   in Loop: Header=BB94_17 Depth=1
	v_cmp_gt_i16_sdwa s[28:29], v7, v39 src0_sel:BYTE_0 src1_sel:DWORD
                                        ; implicit-def: $vgpr66
	s_and_saveexec_b64 vcc, s[28:29]
	s_xor_b64 s[28:29], exec, vcc
	s_cbranch_execz .LBB94_91
; %bb.82:                               ;   in Loop: Header=BB94_17 Depth=1
	v_cmp_gt_i16_sdwa vcc, v7, v48 src0_sel:BYTE_0 src1_sel:DWORD
                                        ; implicit-def: $vgpr66
	s_and_saveexec_b64 s[30:31], vcc
	s_xor_b64 vcc, exec, s[30:31]
	s_cbranch_execz .LBB94_88
; %bb.83:                               ;   in Loop: Header=BB94_17 Depth=1
	v_cmp_gt_i16_sdwa s[30:31], v7, v49 src0_sel:BYTE_0 src1_sel:DWORD
                                        ; implicit-def: $vgpr66
	s_and_saveexec_b64 s[34:35], s[30:31]
	s_xor_b64 s[30:31], exec, s[34:35]
	s_cbranch_execz .LBB94_85
; %bb.84:                               ;   in Loop: Header=BB94_17 Depth=1
	flat_load_dwordx2 v[14:15], v[14:15]
	s_waitcnt vmcnt(0) lgkmcnt(0)
	v_cvt_f32_f64_e32 v66, v[14:15]
                                        ; implicit-def: $vgpr14_vgpr15
.LBB94_85:                              ;   in Loop: Header=BB94_17 Depth=1
	s_andn2_saveexec_b64 s[30:31], s[30:31]
	s_cbranch_execz .LBB94_87
; %bb.86:                               ;   in Loop: Header=BB94_17 Depth=1
	flat_load_dword v66, v[14:15]
.LBB94_87:                              ;   in Loop: Header=BB94_17 Depth=1
	s_or_b64 exec, exec, s[30:31]
                                        ; implicit-def: $vgpr14_vgpr15
.LBB94_88:                              ;   in Loop: Header=BB94_17 Depth=1
	s_andn2_saveexec_b64 vcc, vcc
	s_cbranch_execz .LBB94_90
; %bb.89:                               ;   in Loop: Header=BB94_17 Depth=1
	flat_load_dword v14, v[14:15]
	s_waitcnt vmcnt(0) lgkmcnt(0)
	v_cvt_f32_f16_e32 v66, v14
.LBB94_90:                              ;   in Loop: Header=BB94_17 Depth=1
	s_or_b64 exec, exec, vcc
                                        ; implicit-def: $vgpr14_vgpr15
.LBB94_91:                              ;   in Loop: Header=BB94_17 Depth=1
	s_andn2_saveexec_b64 s[28:29], s[28:29]
	s_cbranch_execz .LBB94_101
; %bb.92:                               ;   in Loop: Header=BB94_17 Depth=1
	v_cmp_gt_i16_sdwa vcc, v7, v50 src0_sel:BYTE_0 src1_sel:DWORD
                                        ; implicit-def: $vgpr66
	s_and_saveexec_b64 s[30:31], vcc
	s_xor_b64 vcc, exec, s[30:31]
	s_cbranch_execz .LBB94_98
; %bb.93:                               ;   in Loop: Header=BB94_17 Depth=1
	v_cmp_gt_i16_sdwa s[30:31], v7, v51 src0_sel:BYTE_0 src1_sel:DWORD
                                        ; implicit-def: $vgpr66
	s_and_saveexec_b64 s[34:35], s[30:31]
	s_xor_b64 s[30:31], exec, s[34:35]
	s_cbranch_execz .LBB94_95
; %bb.94:                               ;   in Loop: Header=BB94_17 Depth=1
	flat_load_dwordx2 v[14:15], v[14:15]
	s_waitcnt vmcnt(0) lgkmcnt(0)
	v_cvt_f32_f64_e32 v66, v[14:15]
                                        ; implicit-def: $vgpr14_vgpr15
.LBB94_95:                              ;   in Loop: Header=BB94_17 Depth=1
	s_andn2_saveexec_b64 s[30:31], s[30:31]
	s_cbranch_execz .LBB94_97
; %bb.96:                               ;   in Loop: Header=BB94_17 Depth=1
	s_waitcnt vmcnt(0) lgkmcnt(0)
	flat_load_dword v66, v[14:15]
.LBB94_97:                              ;   in Loop: Header=BB94_17 Depth=1
	s_or_b64 exec, exec, s[30:31]
                                        ; implicit-def: $vgpr14_vgpr15
.LBB94_98:                              ;   in Loop: Header=BB94_17 Depth=1
	s_andn2_saveexec_b64 vcc, vcc
	s_cbranch_execz .LBB94_100
; %bb.99:                               ;   in Loop: Header=BB94_17 Depth=1
	flat_load_ushort v14, v[14:15]
	s_waitcnt vmcnt(0) lgkmcnt(0)
	v_cvt_f32_f16_e32 v66, v14
.LBB94_100:                             ;   in Loop: Header=BB94_17 Depth=1
	s_or_b64 exec, exec, vcc
.LBB94_101:                             ;   in Loop: Header=BB94_17 Depth=1
	s_or_b64 exec, exec, s[28:29]
                                        ; implicit-def: $vgpr14_vgpr15
.LBB94_102:                             ;   in Loop: Header=BB94_17 Depth=1
	s_andn2_saveexec_b64 s[26:27], s[26:27]
	s_cbranch_execz .LBB94_120
; %bb.103:                              ;   in Loop: Header=BB94_17 Depth=1
	v_cmp_gt_i16_sdwa s[28:29], v7, v52 src0_sel:BYTE_0 src1_sel:DWORD
                                        ; implicit-def: $vgpr66
	s_and_saveexec_b64 vcc, s[28:29]
	s_xor_b64 s[28:29], exec, vcc
	s_cbranch_execz .LBB94_113
; %bb.104:                              ;   in Loop: Header=BB94_17 Depth=1
	v_cmp_gt_i16_sdwa vcc, v7, v53 src0_sel:BYTE_0 src1_sel:DWORD
                                        ; implicit-def: $vgpr66
	s_and_saveexec_b64 s[30:31], vcc
	s_xor_b64 vcc, exec, s[30:31]
	s_cbranch_execz .LBB94_110
; %bb.105:                              ;   in Loop: Header=BB94_17 Depth=1
	v_cmp_gt_i16_sdwa s[30:31], v7, v54 src0_sel:BYTE_0 src1_sel:DWORD
                                        ; implicit-def: $vgpr66
	s_and_saveexec_b64 s[34:35], s[30:31]
	s_xor_b64 s[30:31], exec, s[34:35]
	s_cbranch_execz .LBB94_107
; %bb.106:                              ;   in Loop: Header=BB94_17 Depth=1
	flat_load_dwordx2 v[14:15], v[14:15]
	s_waitcnt vmcnt(0) lgkmcnt(0)
	v_xor_b32_e32 v66, v14, v15
	v_ffbh_i32_e32 v65, v15
	v_ashrrev_i32_e32 v66, 31, v66
	v_add_u32_e32 v65, -1, v65
	v_add_u32_e32 v66, 32, v66
	v_min_u32_e32 v65, v65, v66
	v_lshlrev_b64 v[14:15], v65, v[14:15]
	v_min_u32_e32 v14, 1, v14
	v_or_b32_e32 v14, v15, v14
	v_cvt_f32_i32_e32 v14, v14
	v_sub_u32_e32 v15, 32, v65
	v_ldexp_f32 v66, v14, v15
                                        ; implicit-def: $vgpr14_vgpr15
.LBB94_107:                             ;   in Loop: Header=BB94_17 Depth=1
	s_andn2_saveexec_b64 s[30:31], s[30:31]
	s_cbranch_execz .LBB94_109
; %bb.108:                              ;   in Loop: Header=BB94_17 Depth=1
	flat_load_dword v14, v[14:15]
	s_waitcnt vmcnt(0) lgkmcnt(0)
	v_cvt_f32_i32_e32 v66, v14
.LBB94_109:                             ;   in Loop: Header=BB94_17 Depth=1
	s_or_b64 exec, exec, s[30:31]
                                        ; implicit-def: $vgpr14_vgpr15
.LBB94_110:                             ;   in Loop: Header=BB94_17 Depth=1
	s_andn2_saveexec_b64 vcc, vcc
	s_cbranch_execz .LBB94_112
; %bb.111:                              ;   in Loop: Header=BB94_17 Depth=1
	flat_load_sshort v14, v[14:15]
	s_waitcnt vmcnt(0) lgkmcnt(0)
	v_cvt_f32_i32_e32 v66, v14
.LBB94_112:                             ;   in Loop: Header=BB94_17 Depth=1
	s_or_b64 exec, exec, vcc
                                        ; implicit-def: $vgpr14_vgpr15
.LBB94_113:                             ;   in Loop: Header=BB94_17 Depth=1
	s_andn2_saveexec_b64 s[28:29], s[28:29]
	s_cbranch_execz .LBB94_119
; %bb.114:                              ;   in Loop: Header=BB94_17 Depth=1
	v_cmp_gt_i16_sdwa vcc, v7, v16 src0_sel:BYTE_0 src1_sel:DWORD
                                        ; implicit-def: $vgpr66
	s_and_saveexec_b64 s[30:31], vcc
	s_xor_b64 vcc, exec, s[30:31]
	s_cbranch_execz .LBB94_116
; %bb.115:                              ;   in Loop: Header=BB94_17 Depth=1
	flat_load_sbyte v14, v[14:15]
	s_waitcnt vmcnt(0) lgkmcnt(0)
	v_cvt_f32_i32_e32 v66, v14
                                        ; implicit-def: $vgpr14_vgpr15
.LBB94_116:                             ;   in Loop: Header=BB94_17 Depth=1
	s_andn2_saveexec_b64 vcc, vcc
	s_cbranch_execz .LBB94_118
; %bb.117:                              ;   in Loop: Header=BB94_17 Depth=1
	flat_load_ubyte v14, v[14:15]
	s_waitcnt vmcnt(0) lgkmcnt(0)
	v_cvt_f32_ubyte0_e32 v66, v14
.LBB94_118:                             ;   in Loop: Header=BB94_17 Depth=1
	s_or_b64 exec, exec, vcc
.LBB94_119:                             ;   in Loop: Header=BB94_17 Depth=1
	s_or_b64 exec, exec, s[28:29]
.LBB94_120:                             ;   in Loop: Header=BB94_17 Depth=1
	s_or_b64 exec, exec, s[26:27]
	s_andn2_b64 s[20:21], s[20:21], exec
	s_andn2_b64 s[18:19], s[18:19], exec
	s_or_b64 s[24:25], s[24:25], exec
	s_or_b64 exec, exec, s[22:23]
	s_mov_b64 s[26:27], 0
	s_and_saveexec_b64 s[22:23], s[24:25]
	s_cbranch_execz .LBB94_126
.LBB94_121:                             ;   in Loop: Header=BB94_17 Depth=1
	v_mul_lo_u32 v14, v64, v10
	v_add_co_u32_e32 v14, vcc, v4, v14
	v_readlane_b32 s24, v44, 0
	v_addc_co_u32_e32 v15, vcc, 0, v5, vcc
	v_add_u32_e32 v65, s24, v17
	v_cmp_gt_i16_sdwa s[24:25], v8, v18 src0_sel:BYTE_0 src1_sel:DWORD
	s_mov_b64 vcc, 0
	s_waitcnt vmcnt(0) lgkmcnt(0)
	buffer_store_dword v66, v65, s[0:3], 0 offen offset:4
                                        ; implicit-def: $sgpr26_sgpr27
                                        ; implicit-def: $sgpr28_sgpr29
                                        ; implicit-def: $vgpr64
	s_and_saveexec_b64 s[30:31], s[24:25]
	s_xor_b64 s[24:25], exec, s[30:31]
	s_cbranch_execnz .LBB94_132
; %bb.122:                              ;   in Loop: Header=BB94_17 Depth=1
	s_andn2_saveexec_b64 s[24:25], s[24:25]
	s_cbranch_execnz .LBB94_191
.LBB94_123:                             ;   in Loop: Header=BB94_17 Depth=1
	s_or_b64 exec, exec, s[24:25]
	s_mov_b64 s[24:25], 0
	s_and_saveexec_b64 s[30:31], vcc
	s_cbranch_execz .LBB94_125
.LBB94_124:                             ;   in Loop: Header=BB94_17 Depth=1
	s_mov_b64 s[24:25], exec
	v_add_u32_e32 v55, 0x200, v55
	s_andn2_b64 s[28:29], s[28:29], exec
	s_andn2_b64 s[26:27], s[26:27], exec
	s_waitcnt vmcnt(0) lgkmcnt(0)
	buffer_store_dword v64, v65, s[0:3], 0 offen
.LBB94_125:                             ;   in Loop: Header=BB94_17 Depth=1
	s_or_b64 exec, exec, s[30:31]
	s_andn2_b64 s[20:21], s[20:21], exec
	s_and_b64 s[28:29], s[28:29], exec
	s_andn2_b64 s[18:19], s[18:19], exec
	s_and_b64 s[26:27], s[26:27], exec
	s_or_b64 s[20:21], s[20:21], s[28:29]
	s_or_b64 s[18:19], s[18:19], s[26:27]
	s_and_b64 s[26:27], s[24:25], exec
.LBB94_126:                             ;   in Loop: Header=BB94_17 Depth=1
	s_or_b64 exec, exec, s[22:23]
	s_and_b64 s[22:23], s[20:21], exec
	s_and_b64 s[20:21], s[18:19], exec
	s_orn2_b64 s[18:19], s[26:27], exec
.LBB94_127:                             ;   in Loop: Header=BB94_17 Depth=1
	s_or_b64 exec, exec, s[14:15]
	s_andn2_b64 s[12:13], s[12:13], exec
	s_and_b64 s[14:15], s[22:23], exec
	s_or_b64 s[12:13], s[12:13], s[14:15]
	s_andn2_b64 s[10:11], s[10:11], exec
	s_and_b64 s[14:15], s[20:21], exec
	s_or_b64 s[10:11], s[10:11], s[14:15]
	s_and_saveexec_b64 s[14:15], s[18:19]
	s_cbranch_execz .LBB94_16
; %bb.128:                              ;   in Loop: Header=BB94_17 Depth=1
	v_cmp_lt_i32_e32 vcc, v55, v6
	s_mov_b64 s[22:23], -1
	s_mov_b64 s[24:25], -1
                                        ; implicit-def: $sgpr16_sgpr17
                                        ; implicit-def: $sgpr18_sgpr19
	s_and_saveexec_b64 s[20:21], vcc
	s_cbranch_execz .LBB94_338
; %bb.129:                              ;   in Loop: Header=BB94_17 Depth=1
	v_readlane_b32 s16, v44, 1
	s_waitcnt vmcnt(0) lgkmcnt(0)
	v_add_u32_e32 v64, s16, v55
	v_mul_lo_u32 v14, v64, v9
	v_add_co_u32_e32 v14, vcc, v2, v14
	v_addc_co_u32_e32 v15, vcc, 0, v3, vcc
	v_cmp_gt_i16_sdwa s[24:25], v7, v18 src0_sel:BYTE_0 src1_sel:DWORD
	s_mov_b64 s[26:27], 0
                                        ; implicit-def: $sgpr16_sgpr17
                                        ; implicit-def: $sgpr18_sgpr19
                                        ; implicit-def: $vgpr66
	s_and_saveexec_b64 s[28:29], s[24:25]
	s_xor_b64 s[24:25], exec, s[28:29]
	s_cbranch_execnz .LBB94_232
; %bb.130:                              ;   in Loop: Header=BB94_17 Depth=1
	s_andn2_saveexec_b64 s[24:25], s[24:25]
	s_cbranch_execnz .LBB94_291
.LBB94_131:                             ;   in Loop: Header=BB94_17 Depth=1
	s_or_b64 exec, exec, s[24:25]
	s_mov_b64 s[28:29], 0
	s_and_saveexec_b64 s[24:25], s[26:27]
	s_cbranch_execnz .LBB94_332
	s_branch .LBB94_337
.LBB94_132:                             ;   in Loop: Header=BB94_17 Depth=1
	v_cmp_gt_i16_sdwa s[26:27], v8, v19 src0_sel:BYTE_0 src1_sel:DWORD
	s_mov_b64 s[30:31], 0
                                        ; implicit-def: $sgpr34_sgpr35
                                        ; implicit-def: $sgpr28_sgpr29
                                        ; implicit-def: $vgpr64
	s_and_saveexec_b64 vcc, s[26:27]
	s_xor_b64 s[26:27], exec, vcc
	s_cbranch_execz .LBB94_164
; %bb.133:                              ;   in Loop: Header=BB94_17 Depth=1
	v_cmp_gt_i16_sdwa vcc, v8, v20 src0_sel:BYTE_0 src1_sel:DWORD
                                        ; implicit-def: $sgpr34_sgpr35
                                        ; implicit-def: $sgpr28_sgpr29
                                        ; implicit-def: $vgpr64
	s_and_saveexec_b64 s[36:37], vcc
	s_xor_b64 s[36:37], exec, s[36:37]
	s_cbranch_execz .LBB94_149
; %bb.134:                              ;   in Loop: Header=BB94_17 Depth=1
	v_cmp_gt_i16_sdwa s[28:29], v8, v21 src0_sel:BYTE_0 src1_sel:DWORD
                                        ; implicit-def: $vcc
                                        ; implicit-def: $sgpr34_sgpr35
                                        ; implicit-def: $vgpr64
	s_and_saveexec_b64 s[38:39], s[28:29]
	s_xor_b64 s[28:29], exec, s[38:39]
	s_cbranch_execz .LBB94_144
; %bb.135:                              ;   in Loop: Header=BB94_17 Depth=1
	v_cmp_gt_i16_sdwa vcc, v8, v22 src0_sel:BYTE_0 src1_sel:DWORD
	s_mov_b64 s[38:39], 0
                                        ; implicit-def: $sgpr34_sgpr35
                                        ; implicit-def: $sgpr30_sgpr31
                                        ; implicit-def: $vgpr64
	s_and_saveexec_b64 s[40:41], vcc
	s_xor_b64 vcc, exec, s[40:41]
	s_cbranch_execz .LBB94_139
; %bb.136:                              ;   in Loop: Header=BB94_17 Depth=1
	v_cmp_eq_u16_sdwa s[40:41], v8, v23 src0_sel:BYTE_0 src1_sel:DWORD
	s_mov_b64 s[30:31], 0
                                        ; implicit-def: $vgpr64
	s_and_saveexec_b64 s[34:35], s[40:41]
	s_cbranch_execz .LBB94_138
; %bb.137:                              ;   in Loop: Header=BB94_17 Depth=1
	flat_load_dword v14, v[14:15]
	s_mov_b64 s[38:39], exec
	s_waitcnt vmcnt(0) lgkmcnt(0)
	v_lshlrev_b32_e32 v64, 16, v14
.LBB94_138:                             ;   in Loop: Header=BB94_17 Depth=1
	s_or_b64 exec, exec, s[34:35]
	s_mov_b64 s[34:35], -1
	s_and_b64 s[38:39], s[38:39], exec
                                        ; implicit-def: $vgpr14_vgpr15
.LBB94_139:                             ;   in Loop: Header=BB94_17 Depth=1
	s_andn2_saveexec_b64 s[40:41], vcc
	s_cbranch_execz .LBB94_143
; %bb.140:                              ;   in Loop: Header=BB94_17 Depth=1
	v_cmp_eq_u16_sdwa s[44:45], v8, v24 src0_sel:BYTE_0 src1_sel:DWORD
	s_mov_b64 vcc, s[38:39]
                                        ; implicit-def: $vgpr64
	s_and_saveexec_b64 s[42:43], s[44:45]
	s_cbranch_execz .LBB94_142
; %bb.141:                              ;   in Loop: Header=BB94_17 Depth=1
	flat_load_ubyte v14, v[14:15]
	s_movk_i32 vcc_lo, 0xff
	s_waitcnt vmcnt(0) lgkmcnt(0)
	v_lshlrev_b32_e32 v15, 23, v14
	v_cmp_ne_u32_e32 vcc, vcc_lo, v14
	v_cndmask_b32_e32 v15, v25, v15, vcc
	v_cmp_ne_u32_e32 vcc, 0, v14
	v_cndmask_b32_e32 v64, v26, v15, vcc
	s_or_b64 vcc, s[38:39], exec
.LBB94_142:                             ;   in Loop: Header=BB94_17 Depth=1
	s_or_b64 exec, exec, s[42:43]
	s_andn2_b64 s[38:39], s[38:39], exec
	s_and_b64 vcc, vcc, exec
	s_or_b64 s[34:35], s[34:35], exec
	s_andn2_b64 s[30:31], s[30:31], exec
	s_or_b64 s[38:39], s[38:39], vcc
.LBB94_143:                             ;   in Loop: Header=BB94_17 Depth=1
	s_or_b64 exec, exec, s[40:41]
	s_and_b64 s[34:35], s[34:35], exec
	s_and_b64 vcc, s[30:31], exec
	s_and_b64 s[30:31], s[38:39], exec
                                        ; implicit-def: $vgpr14_vgpr15
.LBB94_144:                             ;   in Loop: Header=BB94_17 Depth=1
	s_andn2_saveexec_b64 s[28:29], s[28:29]
	s_cbranch_execz .LBB94_148
; %bb.145:                              ;   in Loop: Header=BB94_17 Depth=1
	v_cmp_eq_u16_sdwa s[42:43], v8, v27 src0_sel:BYTE_0 src1_sel:DWORD
	s_mov_b64 s[40:41], s[30:31]
                                        ; implicit-def: $vgpr64
	s_and_saveexec_b64 s[38:39], s[42:43]
	s_cbranch_execz .LBB94_147
; %bb.146:                              ;   in Loop: Header=BB94_17 Depth=1
	flat_load_dwordx2 v[14:15], v[14:15]
	s_or_b64 s[40:41], s[30:31], exec
	s_waitcnt vmcnt(0) lgkmcnt(0)
	v_ffbh_u32_e32 v64, v15
	v_min_u32_e32 v64, 32, v64
	v_lshlrev_b64 v[14:15], v64, v[14:15]
	v_min_u32_e32 v14, 1, v14
	v_or_b32_e32 v14, v15, v14
	v_cvt_f32_u32_e32 v14, v14
	v_sub_u32_e32 v15, 32, v64
	v_ldexp_f32 v64, v14, v15
.LBB94_147:                             ;   in Loop: Header=BB94_17 Depth=1
	s_or_b64 exec, exec, s[38:39]
	s_andn2_b64 s[30:31], s[30:31], exec
	s_and_b64 s[38:39], s[40:41], exec
	s_or_b64 s[34:35], s[34:35], exec
	s_andn2_b64 vcc, vcc, exec
	s_or_b64 s[30:31], s[30:31], s[38:39]
.LBB94_148:                             ;   in Loop: Header=BB94_17 Depth=1
	s_or_b64 exec, exec, s[28:29]
	s_and_b64 s[28:29], s[34:35], exec
	s_and_b64 s[34:35], vcc, exec
	s_and_b64 s[30:31], s[30:31], exec
                                        ; implicit-def: $vgpr14_vgpr15
.LBB94_149:                             ;   in Loop: Header=BB94_17 Depth=1
	s_andn2_saveexec_b64 s[36:37], s[36:37]
	s_cbranch_execz .LBB94_163
; %bb.150:                              ;   in Loop: Header=BB94_17 Depth=1
	v_cmp_gt_i16_sdwa vcc, v8, v28 src0_sel:BYTE_0 src1_sel:DWORD
                                        ; implicit-def: $vgpr64
	s_and_saveexec_b64 s[38:39], vcc
	s_xor_b64 vcc, exec, s[38:39]
	s_cbranch_execz .LBB94_156
; %bb.151:                              ;   in Loop: Header=BB94_17 Depth=1
	v_cmp_gt_i16_sdwa s[38:39], v8, v29 src0_sel:BYTE_0 src1_sel:DWORD
                                        ; implicit-def: $vgpr64
	s_and_saveexec_b64 s[40:41], s[38:39]
	s_xor_b64 s[38:39], exec, s[40:41]
	s_cbranch_execz .LBB94_153
; %bb.152:                              ;   in Loop: Header=BB94_17 Depth=1
	flat_load_dword v14, v[14:15]
	s_waitcnt vmcnt(0) lgkmcnt(0)
	v_cvt_f32_u32_e32 v64, v14
                                        ; implicit-def: $vgpr14_vgpr15
.LBB94_153:                             ;   in Loop: Header=BB94_17 Depth=1
	s_andn2_saveexec_b64 s[38:39], s[38:39]
	s_cbranch_execz .LBB94_155
; %bb.154:                              ;   in Loop: Header=BB94_17 Depth=1
	flat_load_ushort v14, v[14:15]
	s_waitcnt vmcnt(0) lgkmcnt(0)
	v_cvt_f32_u32_e32 v64, v14
.LBB94_155:                             ;   in Loop: Header=BB94_17 Depth=1
	s_or_b64 exec, exec, s[38:39]
                                        ; implicit-def: $vgpr14_vgpr15
.LBB94_156:                             ;   in Loop: Header=BB94_17 Depth=1
	s_andn2_saveexec_b64 s[38:39], vcc
	s_cbranch_execz .LBB94_162
; %bb.157:                              ;   in Loop: Header=BB94_17 Depth=1
	flat_load_ubyte v14, v[14:15]
	s_movk_i32 vcc_lo, 0x7f
	s_mov_b64 s[40:41], 0
                                        ; implicit-def: $sgpr46
	s_waitcnt vmcnt(0) lgkmcnt(0)
	v_cmp_lt_i16_e32 vcc, vcc_lo, v14
	s_and_saveexec_b64 s[42:43], vcc
	s_xor_b64 s[42:43], exec, s[42:43]
	s_cbranch_execnz .LBB94_984
; %bb.158:                              ;   in Loop: Header=BB94_17 Depth=1
	s_or_saveexec_b64 s[42:43], s[42:43]
	v_mov_b32_e32 v64, s46
	s_xor_b64 exec, exec, s[42:43]
	s_cbranch_execnz .LBB94_987
.LBB94_159:                             ;   in Loop: Header=BB94_17 Depth=1
	s_or_b64 exec, exec, s[42:43]
	s_and_saveexec_b64 s[42:43], s[40:41]
	s_cbranch_execz .LBB94_161
.LBB94_160:                             ;   in Loop: Header=BB94_17 Depth=1
	v_lshlrev_b32_e32 v15, 24, v14
	v_and_b32_e32 v14, 0xffff, v14
	v_and_b32_e32 v64, 7, v14
	v_ffbh_u32_e32 v67, v64
	v_min_u32_e32 v67, 32, v67
	v_subrev_u32_e32 v68, 28, v67
	v_bfe_u32 v66, v14, 3, 4
	v_lshlrev_b32_e32 v14, v68, v14
	v_sub_u32_e32 v67, 29, v67
	v_and_b32_e32 v14, 7, v14
	v_cmp_eq_u32_e32 vcc, 0, v66
	v_cndmask_b32_e32 v66, v66, v67, vcc
	v_cndmask_b32_e32 v14, v64, v14, vcc
	v_lshlrev_b32_e32 v14, 20, v14
	v_and_b32_e32 v15, 0x80000000, v15
	v_lshl_add_u32 v64, v66, 23, v30
	v_or3_b32 v64, v15, v64, v14
.LBB94_161:                             ;   in Loop: Header=BB94_17 Depth=1
	s_or_b64 exec, exec, s[42:43]
.LBB94_162:                             ;   in Loop: Header=BB94_17 Depth=1
	s_or_b64 exec, exec, s[38:39]
	s_andn2_b64 s[28:29], s[28:29], exec
	s_andn2_b64 s[34:35], s[34:35], exec
	s_or_b64 s[30:31], s[30:31], exec
.LBB94_163:                             ;   in Loop: Header=BB94_17 Depth=1
	s_or_b64 exec, exec, s[36:37]
	s_and_b64 s[28:29], s[28:29], exec
	s_and_b64 s[34:35], s[34:35], exec
	s_and_b64 s[30:31], s[30:31], exec
                                        ; implicit-def: $vgpr14_vgpr15
.LBB94_164:                             ;   in Loop: Header=BB94_17 Depth=1
	s_andn2_saveexec_b64 s[26:27], s[26:27]
	s_cbranch_execz .LBB94_190
; %bb.165:                              ;   in Loop: Header=BB94_17 Depth=1
	v_cmp_gt_i16_sdwa vcc, v8, v31 src0_sel:BYTE_0 src1_sel:DWORD
	s_mov_b64 s[38:39], s[30:31]
                                        ; implicit-def: $vgpr64
	s_and_saveexec_b64 s[36:37], vcc
	s_xor_b64 s[36:37], exec, s[36:37]
	s_cbranch_execz .LBB94_179
; %bb.166:                              ;   in Loop: Header=BB94_17 Depth=1
	v_cmp_gt_i16_sdwa vcc, v8, v32 src0_sel:BYTE_0 src1_sel:DWORD
                                        ; implicit-def: $vgpr64
	s_and_saveexec_b64 s[38:39], vcc
	s_xor_b64 s[38:39], exec, s[38:39]
	s_cbranch_execz .LBB94_176
; %bb.167:                              ;   in Loop: Header=BB94_17 Depth=1
	v_cmp_gt_i16_sdwa vcc, v8, v33 src0_sel:BYTE_0 src1_sel:DWORD
                                        ; implicit-def: $vgpr64
	s_and_saveexec_b64 s[40:41], vcc
	s_xor_b64 s[40:41], exec, s[40:41]
	s_cbranch_execz .LBB94_173
; %bb.168:                              ;   in Loop: Header=BB94_17 Depth=1
	flat_load_ubyte v14, v[14:15]
	s_movk_i32 vcc_lo, 0x7f
	s_mov_b64 s[42:43], 0
                                        ; implicit-def: $sgpr48
	s_waitcnt vmcnt(0) lgkmcnt(0)
	v_cmp_lt_i16_e32 vcc, vcc_lo, v14
	s_and_saveexec_b64 s[44:45], vcc
	s_xor_b64 s[44:45], exec, s[44:45]
	s_cbranch_execnz .LBB94_1203
; %bb.169:                              ;   in Loop: Header=BB94_17 Depth=1
	s_or_saveexec_b64 s[44:45], s[44:45]
	v_mov_b32_e32 v64, s48
	s_xor_b64 exec, exec, s[44:45]
	s_cbranch_execnz .LBB94_1206
.LBB94_170:                             ;   in Loop: Header=BB94_17 Depth=1
	s_or_b64 exec, exec, s[44:45]
	s_and_saveexec_b64 s[44:45], s[42:43]
	s_cbranch_execz .LBB94_172
.LBB94_171:                             ;   in Loop: Header=BB94_17 Depth=1
	v_lshlrev_b32_e32 v15, 24, v14
	v_and_b32_e32 v14, 0xffff, v14
	v_and_b32_e32 v64, 3, v14
	v_ffbh_u32_e32 v67, v64
	v_min_u32_e32 v67, 32, v67
	v_subrev_u32_e32 v68, 29, v67
	v_bfe_u32 v66, v14, 2, 5
	v_lshlrev_b32_e32 v14, v68, v14
	v_sub_u32_e32 v67, 30, v67
	v_and_b32_e32 v14, 3, v14
	v_cmp_eq_u32_e32 vcc, 0, v66
	v_cndmask_b32_e32 v66, v66, v67, vcc
	v_cndmask_b32_e32 v14, v64, v14, vcc
	v_lshlrev_b32_e32 v14, 21, v14
	v_and_b32_e32 v15, 0x80000000, v15
	v_lshl_add_u32 v64, v66, 23, v34
	v_or3_b32 v64, v15, v64, v14
.LBB94_172:                             ;   in Loop: Header=BB94_17 Depth=1
	s_or_b64 exec, exec, s[44:45]
                                        ; implicit-def: $vgpr14_vgpr15
.LBB94_173:                             ;   in Loop: Header=BB94_17 Depth=1
	s_andn2_saveexec_b64 s[40:41], s[40:41]
	s_cbranch_execz .LBB94_175
; %bb.174:                              ;   in Loop: Header=BB94_17 Depth=1
	flat_load_ubyte v14, v[14:15]
	s_mov_b32 vcc_lo, 0x7f800000
	s_waitcnt vmcnt(0) lgkmcnt(0)
	v_lshlrev_b32_e32 v14, 24, v14
	v_and_b32_e32 v15, 0x7f000000, v14
	v_ffbh_u32_e32 v64, v15
	v_min_u32_e32 v64, 32, v64
	v_sub_u32_e64 v64, v64, 4 clamp
	v_lshlrev_b32_e32 v67, v64, v15
	v_lshlrev_b32_e32 v64, 23, v64
	v_lshrrev_b32_e32 v67, 4, v67
	v_add_u32_e32 v66, 0x1000000, v15
	v_sub_u32_e32 v64, v67, v64
	v_ashrrev_i32_e32 v66, 8, v66
	v_add_u32_e32 v64, 0x3c000000, v64
	v_and_or_b32 v64, v66, vcc_lo, v64
	v_cmp_ne_u32_e32 vcc, 0, v15
	v_cndmask_b32_e32 v15, 0, v64, vcc
	s_brev_b32 vcc_lo, 1
	v_and_or_b32 v64, v14, vcc_lo, v15
.LBB94_175:                             ;   in Loop: Header=BB94_17 Depth=1
	s_or_b64 exec, exec, s[40:41]
                                        ; implicit-def: $vgpr14_vgpr15
.LBB94_176:                             ;   in Loop: Header=BB94_17 Depth=1
	s_andn2_saveexec_b64 s[38:39], s[38:39]
	s_cbranch_execz .LBB94_178
; %bb.177:                              ;   in Loop: Header=BB94_17 Depth=1
	flat_load_ubyte v14, v[14:15]
	s_movk_i32 vcc_lo, 0x7f00
	s_waitcnt vmcnt(0) lgkmcnt(0)
	v_lshlrev_b16_e32 v15, 8, v14
	v_lshlrev_b32_e32 v14, 25, v14
	v_lshrrev_b32_e32 v64, 4, v14
	v_and_or_b32 v66, v15, vcc_lo, 0.5
	v_or_b32_e32 v64, 0x70000000, v64
	s_brev_b32 vcc_lo, 16
	v_add_f32_e32 v66, -0.5, v66
	v_mul_f32_e32 v64, 0x7800000, v64
	v_cmp_gt_u32_e32 vcc, vcc_lo, v14
	v_cndmask_b32_e32 v14, v64, v66, vcc
	v_bfe_i32 v15, v15, 0, 16
	s_brev_b32 vcc_lo, 1
	v_and_or_b32 v64, v15, vcc_lo, v14
.LBB94_178:                             ;   in Loop: Header=BB94_17 Depth=1
	s_or_b64 exec, exec, s[38:39]
	s_or_b64 s[38:39], s[30:31], exec
                                        ; implicit-def: $vgpr14_vgpr15
.LBB94_179:                             ;   in Loop: Header=BB94_17 Depth=1
	s_or_saveexec_b64 s[36:37], s[36:37]
                                        ; implicit-def: $vcc
                                        ; implicit-def: $sgpr44_sgpr45
	s_xor_b64 exec, exec, s[36:37]
	s_cbranch_execz .LBB94_189
; %bb.180:                              ;   in Loop: Header=BB94_17 Depth=1
	v_cmp_gt_i16_sdwa vcc, v8, v35 src0_sel:BYTE_0 src1_sel:DWORD
	s_mov_b64 s[42:43], s[38:39]
                                        ; implicit-def: $sgpr44_sgpr45
                                        ; implicit-def: $sgpr40_sgpr41
                                        ; implicit-def: $vgpr64
	s_and_saveexec_b64 s[46:47], vcc
	s_xor_b64 vcc, exec, s[46:47]
	s_cbranch_execz .LBB94_184
; %bb.181:                              ;   in Loop: Header=BB94_17 Depth=1
	v_cmp_eq_u16_sdwa s[44:45], v8, v36 src0_sel:BYTE_0 src1_sel:DWORD
	s_mov_b64 s[42:43], s[38:39]
                                        ; implicit-def: $vgpr64
	s_and_saveexec_b64 s[40:41], s[44:45]
	s_cbranch_execz .LBB94_183
; %bb.182:                              ;   in Loop: Header=BB94_17 Depth=1
	flat_load_ushort v14, v[14:15]
	s_or_b64 s[42:43], s[38:39], exec
	s_waitcnt vmcnt(0) lgkmcnt(0)
	v_lshlrev_b32_e32 v64, 16, v14
.LBB94_183:                             ;   in Loop: Header=BB94_17 Depth=1
	s_or_b64 exec, exec, s[40:41]
	s_andn2_b64 s[46:47], s[38:39], exec
	s_and_b64 s[42:43], s[42:43], exec
	s_mov_b64 s[40:41], 0
	s_mov_b64 s[44:45], -1
	s_or_b64 s[42:43], s[46:47], s[42:43]
                                        ; implicit-def: $vgpr14_vgpr15
.LBB94_184:                             ;   in Loop: Header=BB94_17 Depth=1
	s_andn2_saveexec_b64 s[46:47], vcc
	s_cbranch_execz .LBB94_188
; %bb.185:                              ;   in Loop: Header=BB94_17 Depth=1
	v_cmp_eq_u16_sdwa s[50:51], v8, v37 src0_sel:BYTE_0 src1_sel:DWORD
	s_mov_b64 vcc, s[42:43]
                                        ; implicit-def: $vgpr64
	s_and_saveexec_b64 s[48:49], s[50:51]
	s_cbranch_execz .LBB94_187
; %bb.186:                              ;   in Loop: Header=BB94_17 Depth=1
	flat_load_ubyte v14, v[14:15]
	s_waitcnt vmcnt(0) lgkmcnt(0)
	v_cmp_ne_u16_e32 vcc, 0, v14
	v_cndmask_b32_e64 v64, 0, 1.0, vcc
	s_or_b64 vcc, s[42:43], exec
.LBB94_187:                             ;   in Loop: Header=BB94_17 Depth=1
	s_or_b64 exec, exec, s[48:49]
	s_andn2_b64 s[42:43], s[42:43], exec
	s_and_b64 vcc, vcc, exec
	s_or_b64 s[44:45], s[44:45], exec
	s_andn2_b64 s[40:41], s[40:41], exec
	s_or_b64 s[42:43], s[42:43], vcc
.LBB94_188:                             ;   in Loop: Header=BB94_17 Depth=1
	s_or_b64 exec, exec, s[46:47]
	s_and_b64 vcc, s[40:41], exec
	s_andn2_b64 s[38:39], s[38:39], exec
	s_and_b64 s[40:41], s[42:43], exec
	s_and_b64 s[44:45], s[44:45], exec
	s_or_b64 s[38:39], s[38:39], s[40:41]
.LBB94_189:                             ;   in Loop: Header=BB94_17 Depth=1
	s_or_b64 exec, exec, s[36:37]
	s_andn2_b64 s[34:35], s[34:35], exec
	s_and_b64 vcc, vcc, exec
	s_andn2_b64 s[28:29], s[28:29], exec
	s_and_b64 s[36:37], s[44:45], exec
	s_or_b64 s[34:35], s[34:35], vcc
	s_andn2_b64 vcc, s[30:31], exec
	s_and_b64 s[30:31], s[38:39], exec
	s_or_b64 s[28:29], s[28:29], s[36:37]
	s_or_b64 s[30:31], vcc, s[30:31]
.LBB94_190:                             ;   in Loop: Header=BB94_17 Depth=1
	s_or_b64 exec, exec, s[26:27]
	s_and_b64 s[28:29], s[28:29], exec
	s_and_b64 s[26:27], s[34:35], exec
	s_and_b64 vcc, s[30:31], exec
                                        ; implicit-def: $vgpr14_vgpr15
	s_andn2_saveexec_b64 s[24:25], s[24:25]
	s_cbranch_execz .LBB94_123
.LBB94_191:                             ;   in Loop: Header=BB94_17 Depth=1
	v_cmp_gt_i16_sdwa s[30:31], v8, v38 src0_sel:BYTE_0 src1_sel:DWORD
                                        ; implicit-def: $vgpr64
	s_and_saveexec_b64 s[34:35], s[30:31]
	s_xor_b64 s[30:31], exec, s[34:35]
	s_cbranch_execz .LBB94_213
; %bb.192:                              ;   in Loop: Header=BB94_17 Depth=1
	v_cmp_gt_i16_sdwa s[34:35], v8, v39 src0_sel:BYTE_0 src1_sel:DWORD
                                        ; implicit-def: $vgpr64
	s_and_saveexec_b64 s[36:37], s[34:35]
	s_xor_b64 s[34:35], exec, s[36:37]
	s_cbranch_execz .LBB94_202
; %bb.193:                              ;   in Loop: Header=BB94_17 Depth=1
	;; [unrolled: 6-line block ×4, first 2 shown]
	flat_load_dwordx2 v[14:15], v[14:15]
	s_waitcnt vmcnt(0) lgkmcnt(0)
	v_cvt_f32_f64_e32 v64, v[14:15]
                                        ; implicit-def: $vgpr14_vgpr15
.LBB94_196:                             ;   in Loop: Header=BB94_17 Depth=1
	s_andn2_saveexec_b64 s[38:39], s[38:39]
	s_cbranch_execz .LBB94_198
; %bb.197:                              ;   in Loop: Header=BB94_17 Depth=1
	flat_load_dword v64, v[14:15]
.LBB94_198:                             ;   in Loop: Header=BB94_17 Depth=1
	s_or_b64 exec, exec, s[38:39]
                                        ; implicit-def: $vgpr14_vgpr15
.LBB94_199:                             ;   in Loop: Header=BB94_17 Depth=1
	s_andn2_saveexec_b64 s[36:37], s[36:37]
	s_cbranch_execz .LBB94_201
; %bb.200:                              ;   in Loop: Header=BB94_17 Depth=1
	flat_load_dword v14, v[14:15]
	s_waitcnt vmcnt(0) lgkmcnt(0)
	v_cvt_f32_f16_e32 v64, v14
.LBB94_201:                             ;   in Loop: Header=BB94_17 Depth=1
	s_or_b64 exec, exec, s[36:37]
                                        ; implicit-def: $vgpr14_vgpr15
.LBB94_202:                             ;   in Loop: Header=BB94_17 Depth=1
	s_andn2_saveexec_b64 s[34:35], s[34:35]
	s_cbranch_execz .LBB94_212
; %bb.203:                              ;   in Loop: Header=BB94_17 Depth=1
	v_cmp_gt_i16_sdwa s[36:37], v8, v50 src0_sel:BYTE_0 src1_sel:DWORD
                                        ; implicit-def: $vgpr64
	s_and_saveexec_b64 s[38:39], s[36:37]
	s_xor_b64 s[36:37], exec, s[38:39]
	s_cbranch_execz .LBB94_209
; %bb.204:                              ;   in Loop: Header=BB94_17 Depth=1
	v_cmp_gt_i16_sdwa s[38:39], v8, v51 src0_sel:BYTE_0 src1_sel:DWORD
                                        ; implicit-def: $vgpr64
	s_and_saveexec_b64 s[40:41], s[38:39]
	s_xor_b64 s[38:39], exec, s[40:41]
	s_cbranch_execz .LBB94_206
; %bb.205:                              ;   in Loop: Header=BB94_17 Depth=1
	flat_load_dwordx2 v[14:15], v[14:15]
	s_waitcnt vmcnt(0) lgkmcnt(0)
	v_cvt_f32_f64_e32 v64, v[14:15]
                                        ; implicit-def: $vgpr14_vgpr15
.LBB94_206:                             ;   in Loop: Header=BB94_17 Depth=1
	s_andn2_saveexec_b64 s[38:39], s[38:39]
	s_cbranch_execz .LBB94_208
; %bb.207:                              ;   in Loop: Header=BB94_17 Depth=1
	s_waitcnt vmcnt(0) lgkmcnt(0)
	flat_load_dword v64, v[14:15]
.LBB94_208:                             ;   in Loop: Header=BB94_17 Depth=1
	s_or_b64 exec, exec, s[38:39]
                                        ; implicit-def: $vgpr14_vgpr15
.LBB94_209:                             ;   in Loop: Header=BB94_17 Depth=1
	s_andn2_saveexec_b64 s[36:37], s[36:37]
	s_cbranch_execz .LBB94_211
; %bb.210:                              ;   in Loop: Header=BB94_17 Depth=1
	flat_load_ushort v14, v[14:15]
	s_waitcnt vmcnt(0) lgkmcnt(0)
	v_cvt_f32_f16_e32 v64, v14
.LBB94_211:                             ;   in Loop: Header=BB94_17 Depth=1
	s_or_b64 exec, exec, s[36:37]
.LBB94_212:                             ;   in Loop: Header=BB94_17 Depth=1
	s_or_b64 exec, exec, s[34:35]
                                        ; implicit-def: $vgpr14_vgpr15
.LBB94_213:                             ;   in Loop: Header=BB94_17 Depth=1
	s_andn2_saveexec_b64 s[30:31], s[30:31]
	s_cbranch_execz .LBB94_231
; %bb.214:                              ;   in Loop: Header=BB94_17 Depth=1
	v_cmp_gt_i16_sdwa s[34:35], v8, v52 src0_sel:BYTE_0 src1_sel:DWORD
                                        ; implicit-def: $vgpr64
	s_and_saveexec_b64 s[36:37], s[34:35]
	s_xor_b64 s[34:35], exec, s[36:37]
	s_cbranch_execz .LBB94_224
; %bb.215:                              ;   in Loop: Header=BB94_17 Depth=1
	v_cmp_gt_i16_sdwa s[36:37], v8, v53 src0_sel:BYTE_0 src1_sel:DWORD
                                        ; implicit-def: $vgpr64
	s_and_saveexec_b64 s[38:39], s[36:37]
	s_xor_b64 s[36:37], exec, s[38:39]
	;; [unrolled: 6-line block ×3, first 2 shown]
	s_cbranch_execz .LBB94_218
; %bb.217:                              ;   in Loop: Header=BB94_17 Depth=1
	flat_load_dwordx2 v[14:15], v[14:15]
	s_waitcnt vmcnt(0) lgkmcnt(0)
	v_xor_b32_e32 v66, v14, v15
	v_ffbh_i32_e32 v64, v15
	v_ashrrev_i32_e32 v66, 31, v66
	v_add_u32_e32 v64, -1, v64
	v_add_u32_e32 v66, 32, v66
	v_min_u32_e32 v64, v64, v66
	v_lshlrev_b64 v[14:15], v64, v[14:15]
	v_min_u32_e32 v14, 1, v14
	v_or_b32_e32 v14, v15, v14
	v_cvt_f32_i32_e32 v14, v14
	v_sub_u32_e32 v15, 32, v64
	v_ldexp_f32 v64, v14, v15
                                        ; implicit-def: $vgpr14_vgpr15
.LBB94_218:                             ;   in Loop: Header=BB94_17 Depth=1
	s_andn2_saveexec_b64 s[38:39], s[38:39]
	s_cbranch_execz .LBB94_220
; %bb.219:                              ;   in Loop: Header=BB94_17 Depth=1
	flat_load_dword v14, v[14:15]
	s_waitcnt vmcnt(0) lgkmcnt(0)
	v_cvt_f32_i32_e32 v64, v14
.LBB94_220:                             ;   in Loop: Header=BB94_17 Depth=1
	s_or_b64 exec, exec, s[38:39]
                                        ; implicit-def: $vgpr14_vgpr15
.LBB94_221:                             ;   in Loop: Header=BB94_17 Depth=1
	s_andn2_saveexec_b64 s[36:37], s[36:37]
	s_cbranch_execz .LBB94_223
; %bb.222:                              ;   in Loop: Header=BB94_17 Depth=1
	flat_load_sshort v14, v[14:15]
	s_waitcnt vmcnt(0) lgkmcnt(0)
	v_cvt_f32_i32_e32 v64, v14
.LBB94_223:                             ;   in Loop: Header=BB94_17 Depth=1
	s_or_b64 exec, exec, s[36:37]
                                        ; implicit-def: $vgpr14_vgpr15
.LBB94_224:                             ;   in Loop: Header=BB94_17 Depth=1
	s_andn2_saveexec_b64 s[34:35], s[34:35]
	s_cbranch_execz .LBB94_230
; %bb.225:                              ;   in Loop: Header=BB94_17 Depth=1
	v_cmp_gt_i16_sdwa s[36:37], v8, v16 src0_sel:BYTE_0 src1_sel:DWORD
                                        ; implicit-def: $vgpr64
	s_and_saveexec_b64 s[38:39], s[36:37]
	s_xor_b64 s[36:37], exec, s[38:39]
	s_cbranch_execz .LBB94_227
; %bb.226:                              ;   in Loop: Header=BB94_17 Depth=1
	flat_load_sbyte v14, v[14:15]
	s_waitcnt vmcnt(0) lgkmcnt(0)
	v_cvt_f32_i32_e32 v64, v14
                                        ; implicit-def: $vgpr14_vgpr15
.LBB94_227:                             ;   in Loop: Header=BB94_17 Depth=1
	s_andn2_saveexec_b64 s[36:37], s[36:37]
	s_cbranch_execz .LBB94_229
; %bb.228:                              ;   in Loop: Header=BB94_17 Depth=1
	flat_load_ubyte v14, v[14:15]
	s_waitcnt vmcnt(0) lgkmcnt(0)
	v_cvt_f32_ubyte0_e32 v64, v14
.LBB94_229:                             ;   in Loop: Header=BB94_17 Depth=1
	s_or_b64 exec, exec, s[36:37]
.LBB94_230:                             ;   in Loop: Header=BB94_17 Depth=1
	s_or_b64 exec, exec, s[34:35]
.LBB94_231:                             ;   in Loop: Header=BB94_17 Depth=1
	s_or_b64 exec, exec, s[30:31]
	s_andn2_b64 s[28:29], s[28:29], exec
	s_andn2_b64 s[26:27], s[26:27], exec
	s_or_b64 vcc, vcc, exec
	s_or_b64 exec, exec, s[24:25]
	s_mov_b64 s[24:25], 0
	s_and_saveexec_b64 s[30:31], vcc
	s_cbranch_execnz .LBB94_124
	s_branch .LBB94_125
.LBB94_232:                             ;   in Loop: Header=BB94_17 Depth=1
	v_cmp_gt_i16_sdwa s[16:17], v7, v19 src0_sel:BYTE_0 src1_sel:DWORD
                                        ; implicit-def: $sgpr28_sgpr29
                                        ; implicit-def: $sgpr18_sgpr19
                                        ; implicit-def: $vgpr66
	s_and_saveexec_b64 vcc, s[16:17]
	s_xor_b64 s[16:17], exec, vcc
	s_cbranch_execz .LBB94_264
; %bb.233:                              ;   in Loop: Header=BB94_17 Depth=1
	v_cmp_gt_i16_sdwa s[18:19], v7, v20 src0_sel:BYTE_0 src1_sel:DWORD
                                        ; implicit-def: $sgpr28_sgpr29
                                        ; implicit-def: $sgpr30_sgpr31
                                        ; implicit-def: $vgpr66
	s_and_saveexec_b64 vcc, s[18:19]
	s_xor_b64 s[18:19], exec, vcc
	s_cbranch_execz .LBB94_249
; %bb.234:                              ;   in Loop: Header=BB94_17 Depth=1
	v_cmp_gt_i16_sdwa s[26:27], v7, v21 src0_sel:BYTE_0 src1_sel:DWORD
	s_mov_b64 vcc, 0
                                        ; implicit-def: $sgpr28_sgpr29
                                        ; implicit-def: $sgpr30_sgpr31
                                        ; implicit-def: $vgpr66
	s_and_saveexec_b64 s[34:35], s[26:27]
	s_xor_b64 s[26:27], exec, s[34:35]
	s_cbranch_execz .LBB94_244
; %bb.235:                              ;   in Loop: Header=BB94_17 Depth=1
	v_cmp_gt_i16_sdwa vcc, v7, v22 src0_sel:BYTE_0 src1_sel:DWORD
	s_mov_b64 s[34:35], 0
                                        ; implicit-def: $sgpr28_sgpr29
                                        ; implicit-def: $sgpr36_sgpr37
                                        ; implicit-def: $vgpr66
	s_and_saveexec_b64 s[30:31], vcc
	s_xor_b64 vcc, exec, s[30:31]
	s_cbranch_execz .LBB94_239
; %bb.236:                              ;   in Loop: Header=BB94_17 Depth=1
	v_cmp_eq_u16_sdwa s[36:37], v7, v23 src0_sel:BYTE_0 src1_sel:DWORD
	s_mov_b64 s[28:29], 0
	s_mov_b64 s[30:31], 0
                                        ; implicit-def: $vgpr66
	s_and_saveexec_b64 s[34:35], s[36:37]
	s_cbranch_execz .LBB94_238
; %bb.237:                              ;   in Loop: Header=BB94_17 Depth=1
	flat_load_dword v14, v[14:15]
	s_mov_b64 s[30:31], exec
	s_waitcnt vmcnt(0) lgkmcnt(0)
	v_lshlrev_b32_e32 v66, 16, v14
.LBB94_238:                             ;   in Loop: Header=BB94_17 Depth=1
	s_or_b64 exec, exec, s[34:35]
	s_mov_b64 s[36:37], -1
	s_and_b64 s[34:35], s[30:31], exec
                                        ; implicit-def: $vgpr14_vgpr15
.LBB94_239:                             ;   in Loop: Header=BB94_17 Depth=1
	s_andn2_saveexec_b64 s[30:31], vcc
	s_cbranch_execz .LBB94_243
; %bb.240:                              ;   in Loop: Header=BB94_17 Depth=1
	v_cmp_eq_u16_sdwa s[40:41], v7, v24 src0_sel:BYTE_0 src1_sel:DWORD
	s_mov_b64 vcc, s[34:35]
                                        ; implicit-def: $vgpr66
	s_and_saveexec_b64 s[38:39], s[40:41]
	s_cbranch_execz .LBB94_242
; %bb.241:                              ;   in Loop: Header=BB94_17 Depth=1
	flat_load_ubyte v14, v[14:15]
	s_movk_i32 vcc_lo, 0xff
	s_waitcnt vmcnt(0) lgkmcnt(0)
	v_lshlrev_b32_e32 v15, 23, v14
	v_cmp_ne_u32_e32 vcc, vcc_lo, v14
	v_cndmask_b32_e32 v15, v25, v15, vcc
	v_cmp_ne_u32_e32 vcc, 0, v14
	v_cndmask_b32_e32 v66, v26, v15, vcc
	s_or_b64 vcc, s[34:35], exec
.LBB94_242:                             ;   in Loop: Header=BB94_17 Depth=1
	s_or_b64 exec, exec, s[38:39]
	s_andn2_b64 s[34:35], s[34:35], exec
	s_and_b64 vcc, vcc, exec
	s_andn2_b64 s[28:29], s[28:29], exec
	s_or_b64 s[36:37], s[36:37], exec
	s_or_b64 s[34:35], s[34:35], vcc
.LBB94_243:                             ;   in Loop: Header=BB94_17 Depth=1
	s_or_b64 exec, exec, s[30:31]
	s_and_b64 s[30:31], s[28:29], exec
	s_and_b64 s[28:29], s[36:37], exec
	s_and_b64 vcc, s[34:35], exec
                                        ; implicit-def: $vgpr14_vgpr15
.LBB94_244:                             ;   in Loop: Header=BB94_17 Depth=1
	s_andn2_saveexec_b64 s[26:27], s[26:27]
	s_cbranch_execz .LBB94_248
; %bb.245:                              ;   in Loop: Header=BB94_17 Depth=1
	v_cmp_eq_u16_sdwa s[38:39], v7, v27 src0_sel:BYTE_0 src1_sel:DWORD
	s_mov_b64 s[36:37], vcc
                                        ; implicit-def: $vgpr66
	s_and_saveexec_b64 s[34:35], s[38:39]
	s_cbranch_execz .LBB94_247
; %bb.246:                              ;   in Loop: Header=BB94_17 Depth=1
	flat_load_dwordx2 v[14:15], v[14:15]
	s_or_b64 s[36:37], vcc, exec
	s_waitcnt vmcnt(0) lgkmcnt(0)
	v_ffbh_u32_e32 v65, v15
	v_min_u32_e32 v65, 32, v65
	v_lshlrev_b64 v[14:15], v65, v[14:15]
	v_min_u32_e32 v14, 1, v14
	v_or_b32_e32 v14, v15, v14
	v_cvt_f32_u32_e32 v14, v14
	v_sub_u32_e32 v15, 32, v65
	v_ldexp_f32 v66, v14, v15
.LBB94_247:                             ;   in Loop: Header=BB94_17 Depth=1
	s_or_b64 exec, exec, s[34:35]
	s_andn2_b64 vcc, vcc, exec
	s_and_b64 s[34:35], s[36:37], exec
	s_andn2_b64 s[30:31], s[30:31], exec
	s_or_b64 s[28:29], s[28:29], exec
	s_or_b64 vcc, vcc, s[34:35]
.LBB94_248:                             ;   in Loop: Header=BB94_17 Depth=1
	s_or_b64 exec, exec, s[26:27]
	s_and_b64 s[30:31], s[30:31], exec
	s_and_b64 s[28:29], s[28:29], exec
	s_and_b64 s[26:27], vcc, exec
                                        ; implicit-def: $vgpr14_vgpr15
.LBB94_249:                             ;   in Loop: Header=BB94_17 Depth=1
	s_andn2_saveexec_b64 s[18:19], s[18:19]
	s_cbranch_execz .LBB94_263
; %bb.250:                              ;   in Loop: Header=BB94_17 Depth=1
	v_cmp_gt_i16_sdwa vcc, v7, v28 src0_sel:BYTE_0 src1_sel:DWORD
                                        ; implicit-def: $vgpr66
	s_and_saveexec_b64 s[34:35], vcc
	s_xor_b64 vcc, exec, s[34:35]
	s_cbranch_execz .LBB94_256
; %bb.251:                              ;   in Loop: Header=BB94_17 Depth=1
	v_cmp_gt_i16_sdwa s[34:35], v7, v29 src0_sel:BYTE_0 src1_sel:DWORD
                                        ; implicit-def: $vgpr66
	s_and_saveexec_b64 s[36:37], s[34:35]
	s_xor_b64 s[34:35], exec, s[36:37]
	s_cbranch_execz .LBB94_253
; %bb.252:                              ;   in Loop: Header=BB94_17 Depth=1
	flat_load_dword v14, v[14:15]
	s_waitcnt vmcnt(0) lgkmcnt(0)
	v_cvt_f32_u32_e32 v66, v14
                                        ; implicit-def: $vgpr14_vgpr15
.LBB94_253:                             ;   in Loop: Header=BB94_17 Depth=1
	s_andn2_saveexec_b64 s[34:35], s[34:35]
	s_cbranch_execz .LBB94_255
; %bb.254:                              ;   in Loop: Header=BB94_17 Depth=1
	flat_load_ushort v14, v[14:15]
	s_waitcnt vmcnt(0) lgkmcnt(0)
	v_cvt_f32_u32_e32 v66, v14
.LBB94_255:                             ;   in Loop: Header=BB94_17 Depth=1
	s_or_b64 exec, exec, s[34:35]
                                        ; implicit-def: $vgpr14_vgpr15
.LBB94_256:                             ;   in Loop: Header=BB94_17 Depth=1
	s_andn2_saveexec_b64 s[34:35], vcc
	s_cbranch_execz .LBB94_262
; %bb.257:                              ;   in Loop: Header=BB94_17 Depth=1
	flat_load_ubyte v14, v[14:15]
	s_movk_i32 vcc_lo, 0x7f
	s_mov_b64 s[36:37], 0
                                        ; implicit-def: $sgpr42
	s_waitcnt vmcnt(0) lgkmcnt(0)
	v_cmp_lt_i16_e32 vcc, vcc_lo, v14
	s_and_saveexec_b64 s[38:39], vcc
	s_xor_b64 s[38:39], exec, s[38:39]
	s_cbranch_execnz .LBB94_988
; %bb.258:                              ;   in Loop: Header=BB94_17 Depth=1
	s_or_saveexec_b64 s[38:39], s[38:39]
	v_mov_b32_e32 v66, s42
	s_xor_b64 exec, exec, s[38:39]
	s_cbranch_execnz .LBB94_991
.LBB94_259:                             ;   in Loop: Header=BB94_17 Depth=1
	s_or_b64 exec, exec, s[38:39]
	s_and_saveexec_b64 s[38:39], s[36:37]
	s_cbranch_execz .LBB94_261
.LBB94_260:                             ;   in Loop: Header=BB94_17 Depth=1
	v_lshlrev_b32_e32 v15, 24, v14
	v_and_b32_e32 v14, 0xffff, v14
	v_and_b32_e32 v65, 7, v14
	v_ffbh_u32_e32 v67, v65
	v_min_u32_e32 v67, 32, v67
	v_subrev_u32_e32 v68, 28, v67
	v_bfe_u32 v66, v14, 3, 4
	v_lshlrev_b32_e32 v14, v68, v14
	v_sub_u32_e32 v67, 29, v67
	v_and_b32_e32 v14, 7, v14
	v_cmp_eq_u32_e32 vcc, 0, v66
	v_cndmask_b32_e32 v66, v66, v67, vcc
	v_cndmask_b32_e32 v14, v65, v14, vcc
	v_lshlrev_b32_e32 v14, 20, v14
	v_and_b32_e32 v15, 0x80000000, v15
	v_lshl_add_u32 v65, v66, 23, v30
	v_or3_b32 v66, v15, v65, v14
.LBB94_261:                             ;   in Loop: Header=BB94_17 Depth=1
	s_or_b64 exec, exec, s[38:39]
.LBB94_262:                             ;   in Loop: Header=BB94_17 Depth=1
	s_or_b64 exec, exec, s[34:35]
	s_andn2_b64 s[30:31], s[30:31], exec
	s_andn2_b64 s[28:29], s[28:29], exec
	s_or_b64 s[26:27], s[26:27], exec
.LBB94_263:                             ;   in Loop: Header=BB94_17 Depth=1
	s_or_b64 exec, exec, s[18:19]
	s_and_b64 s[18:19], s[30:31], exec
	s_and_b64 s[28:29], s[28:29], exec
	;; [unrolled: 1-line block ×3, first 2 shown]
                                        ; implicit-def: $vgpr14_vgpr15
.LBB94_264:                             ;   in Loop: Header=BB94_17 Depth=1
	s_andn2_saveexec_b64 s[16:17], s[16:17]
	s_cbranch_execz .LBB94_290
; %bb.265:                              ;   in Loop: Header=BB94_17 Depth=1
	v_cmp_gt_i16_sdwa vcc, v7, v31 src0_sel:BYTE_0 src1_sel:DWORD
	s_mov_b64 s[34:35], s[26:27]
                                        ; implicit-def: $vgpr66
	s_and_saveexec_b64 s[30:31], vcc
	s_xor_b64 s[30:31], exec, s[30:31]
	s_cbranch_execz .LBB94_279
; %bb.266:                              ;   in Loop: Header=BB94_17 Depth=1
	v_cmp_gt_i16_sdwa vcc, v7, v32 src0_sel:BYTE_0 src1_sel:DWORD
                                        ; implicit-def: $vgpr66
	s_and_saveexec_b64 s[34:35], vcc
	s_xor_b64 s[34:35], exec, s[34:35]
	s_cbranch_execz .LBB94_276
; %bb.267:                              ;   in Loop: Header=BB94_17 Depth=1
	v_cmp_gt_i16_sdwa vcc, v7, v33 src0_sel:BYTE_0 src1_sel:DWORD
                                        ; implicit-def: $vgpr66
	s_and_saveexec_b64 s[36:37], vcc
	s_xor_b64 s[36:37], exec, s[36:37]
	s_cbranch_execz .LBB94_273
; %bb.268:                              ;   in Loop: Header=BB94_17 Depth=1
	flat_load_ubyte v14, v[14:15]
	s_movk_i32 vcc_lo, 0x7f
	s_mov_b64 s[38:39], 0
                                        ; implicit-def: $sgpr44
	s_waitcnt vmcnt(0) lgkmcnt(0)
	v_cmp_lt_i16_e32 vcc, vcc_lo, v14
	s_and_saveexec_b64 s[40:41], vcc
	s_xor_b64 s[40:41], exec, s[40:41]
	s_cbranch_execnz .LBB94_1207
; %bb.269:                              ;   in Loop: Header=BB94_17 Depth=1
	s_or_saveexec_b64 s[40:41], s[40:41]
	v_mov_b32_e32 v66, s44
	s_xor_b64 exec, exec, s[40:41]
	s_cbranch_execnz .LBB94_1210
.LBB94_270:                             ;   in Loop: Header=BB94_17 Depth=1
	s_or_b64 exec, exec, s[40:41]
	s_and_saveexec_b64 s[40:41], s[38:39]
	s_cbranch_execz .LBB94_272
.LBB94_271:                             ;   in Loop: Header=BB94_17 Depth=1
	v_lshlrev_b32_e32 v15, 24, v14
	v_and_b32_e32 v14, 0xffff, v14
	v_and_b32_e32 v65, 3, v14
	v_ffbh_u32_e32 v67, v65
	v_min_u32_e32 v67, 32, v67
	v_subrev_u32_e32 v68, 29, v67
	v_bfe_u32 v66, v14, 2, 5
	v_lshlrev_b32_e32 v14, v68, v14
	v_sub_u32_e32 v67, 30, v67
	v_and_b32_e32 v14, 3, v14
	v_cmp_eq_u32_e32 vcc, 0, v66
	v_cndmask_b32_e32 v66, v66, v67, vcc
	v_cndmask_b32_e32 v14, v65, v14, vcc
	v_lshlrev_b32_e32 v14, 21, v14
	v_and_b32_e32 v15, 0x80000000, v15
	v_lshl_add_u32 v65, v66, 23, v34
	v_or3_b32 v66, v15, v65, v14
.LBB94_272:                             ;   in Loop: Header=BB94_17 Depth=1
	s_or_b64 exec, exec, s[40:41]
                                        ; implicit-def: $vgpr14_vgpr15
.LBB94_273:                             ;   in Loop: Header=BB94_17 Depth=1
	s_andn2_saveexec_b64 s[36:37], s[36:37]
	s_cbranch_execz .LBB94_275
; %bb.274:                              ;   in Loop: Header=BB94_17 Depth=1
	flat_load_ubyte v14, v[14:15]
	s_mov_b32 vcc_lo, 0x7f800000
	s_waitcnt vmcnt(0) lgkmcnt(0)
	v_lshlrev_b32_e32 v14, 24, v14
	v_and_b32_e32 v15, 0x7f000000, v14
	v_ffbh_u32_e32 v65, v15
	v_min_u32_e32 v65, 32, v65
	v_sub_u32_e64 v65, v65, 4 clamp
	v_lshlrev_b32_e32 v67, v65, v15
	v_lshlrev_b32_e32 v65, 23, v65
	v_lshrrev_b32_e32 v67, 4, v67
	v_add_u32_e32 v66, 0x1000000, v15
	v_sub_u32_e32 v65, v67, v65
	v_ashrrev_i32_e32 v66, 8, v66
	v_add_u32_e32 v65, 0x3c000000, v65
	v_and_or_b32 v65, v66, vcc_lo, v65
	v_cmp_ne_u32_e32 vcc, 0, v15
	v_cndmask_b32_e32 v15, 0, v65, vcc
	s_brev_b32 vcc_lo, 1
	v_and_or_b32 v66, v14, vcc_lo, v15
.LBB94_275:                             ;   in Loop: Header=BB94_17 Depth=1
	s_or_b64 exec, exec, s[36:37]
                                        ; implicit-def: $vgpr14_vgpr15
.LBB94_276:                             ;   in Loop: Header=BB94_17 Depth=1
	s_andn2_saveexec_b64 s[34:35], s[34:35]
	s_cbranch_execz .LBB94_278
; %bb.277:                              ;   in Loop: Header=BB94_17 Depth=1
	flat_load_ubyte v14, v[14:15]
	s_movk_i32 vcc_lo, 0x7f00
	s_waitcnt vmcnt(0) lgkmcnt(0)
	v_lshlrev_b16_e32 v15, 8, v14
	v_lshlrev_b32_e32 v14, 25, v14
	v_lshrrev_b32_e32 v65, 4, v14
	v_and_or_b32 v66, v15, vcc_lo, 0.5
	v_or_b32_e32 v65, 0x70000000, v65
	s_brev_b32 vcc_lo, 16
	v_add_f32_e32 v66, -0.5, v66
	v_mul_f32_e32 v65, 0x7800000, v65
	v_cmp_gt_u32_e32 vcc, vcc_lo, v14
	v_cndmask_b32_e32 v14, v65, v66, vcc
	v_bfe_i32 v15, v15, 0, 16
	s_brev_b32 vcc_lo, 1
	v_and_or_b32 v66, v15, vcc_lo, v14
.LBB94_278:                             ;   in Loop: Header=BB94_17 Depth=1
	s_or_b64 exec, exec, s[34:35]
	s_or_b64 s[34:35], s[26:27], exec
                                        ; implicit-def: $vgpr14_vgpr15
.LBB94_279:                             ;   in Loop: Header=BB94_17 Depth=1
	s_or_saveexec_b64 s[30:31], s[30:31]
                                        ; implicit-def: $vcc
                                        ; implicit-def: $sgpr40_sgpr41
	s_xor_b64 exec, exec, s[30:31]
	s_cbranch_execz .LBB94_289
; %bb.280:                              ;   in Loop: Header=BB94_17 Depth=1
	v_cmp_gt_i16_sdwa vcc, v7, v35 src0_sel:BYTE_0 src1_sel:DWORD
	s_mov_b64 s[38:39], s[34:35]
                                        ; implicit-def: $sgpr40_sgpr41
                                        ; implicit-def: $sgpr36_sgpr37
                                        ; implicit-def: $vgpr66
	s_and_saveexec_b64 s[42:43], vcc
	s_xor_b64 vcc, exec, s[42:43]
	s_cbranch_execz .LBB94_284
; %bb.281:                              ;   in Loop: Header=BB94_17 Depth=1
	v_cmp_eq_u16_sdwa s[40:41], v7, v36 src0_sel:BYTE_0 src1_sel:DWORD
	s_mov_b64 s[38:39], s[34:35]
                                        ; implicit-def: $vgpr66
	s_and_saveexec_b64 s[36:37], s[40:41]
	s_cbranch_execz .LBB94_283
; %bb.282:                              ;   in Loop: Header=BB94_17 Depth=1
	flat_load_ushort v14, v[14:15]
	s_or_b64 s[38:39], s[34:35], exec
	s_waitcnt vmcnt(0) lgkmcnt(0)
	v_lshlrev_b32_e32 v66, 16, v14
.LBB94_283:                             ;   in Loop: Header=BB94_17 Depth=1
	s_or_b64 exec, exec, s[36:37]
	s_andn2_b64 s[42:43], s[34:35], exec
	s_and_b64 s[38:39], s[38:39], exec
	s_mov_b64 s[36:37], -1
	s_mov_b64 s[40:41], 0
	s_or_b64 s[38:39], s[42:43], s[38:39]
                                        ; implicit-def: $vgpr14_vgpr15
.LBB94_284:                             ;   in Loop: Header=BB94_17 Depth=1
	s_andn2_saveexec_b64 s[42:43], vcc
	s_cbranch_execz .LBB94_288
; %bb.285:                              ;   in Loop: Header=BB94_17 Depth=1
	v_cmp_eq_u16_sdwa s[46:47], v7, v37 src0_sel:BYTE_0 src1_sel:DWORD
	s_mov_b64 vcc, s[38:39]
                                        ; implicit-def: $vgpr66
	s_and_saveexec_b64 s[44:45], s[46:47]
	s_cbranch_execz .LBB94_287
; %bb.286:                              ;   in Loop: Header=BB94_17 Depth=1
	flat_load_ubyte v14, v[14:15]
	s_waitcnt vmcnt(0) lgkmcnt(0)
	v_cmp_ne_u16_e32 vcc, 0, v14
	v_cndmask_b32_e64 v66, 0, 1.0, vcc
	s_or_b64 vcc, s[38:39], exec
.LBB94_287:                             ;   in Loop: Header=BB94_17 Depth=1
	s_or_b64 exec, exec, s[44:45]
	s_andn2_b64 s[38:39], s[38:39], exec
	s_and_b64 vcc, vcc, exec
	s_andn2_b64 s[40:41], s[40:41], exec
	s_or_b64 s[36:37], s[36:37], exec
	s_or_b64 s[38:39], s[38:39], vcc
.LBB94_288:                             ;   in Loop: Header=BB94_17 Depth=1
	s_or_b64 exec, exec, s[42:43]
	s_and_b64 vcc, s[36:37], exec
	s_andn2_b64 s[34:35], s[34:35], exec
	s_and_b64 s[36:37], s[38:39], exec
	s_and_b64 s[40:41], s[40:41], exec
	s_or_b64 s[34:35], s[34:35], s[36:37]
.LBB94_289:                             ;   in Loop: Header=BB94_17 Depth=1
	s_or_b64 exec, exec, s[30:31]
	s_andn2_b64 s[28:29], s[28:29], exec
	s_and_b64 vcc, vcc, exec
	s_andn2_b64 s[18:19], s[18:19], exec
	s_and_b64 s[30:31], s[40:41], exec
	s_or_b64 s[28:29], s[28:29], vcc
	s_andn2_b64 s[26:27], s[26:27], exec
	s_and_b64 vcc, s[34:35], exec
	s_or_b64 s[18:19], s[18:19], s[30:31]
	s_or_b64 s[26:27], s[26:27], vcc
.LBB94_290:                             ;   in Loop: Header=BB94_17 Depth=1
	s_or_b64 exec, exec, s[16:17]
	s_and_b64 s[18:19], s[18:19], exec
	s_and_b64 s[16:17], s[28:29], exec
	;; [unrolled: 1-line block ×3, first 2 shown]
                                        ; implicit-def: $vgpr14_vgpr15
	s_andn2_saveexec_b64 s[24:25], s[24:25]
	s_cbranch_execz .LBB94_131
.LBB94_291:                             ;   in Loop: Header=BB94_17 Depth=1
	v_cmp_gt_i16_sdwa s[28:29], v7, v38 src0_sel:BYTE_0 src1_sel:DWORD
                                        ; implicit-def: $vgpr66
	s_and_saveexec_b64 vcc, s[28:29]
	s_xor_b64 s[28:29], exec, vcc
	s_cbranch_execz .LBB94_313
; %bb.292:                              ;   in Loop: Header=BB94_17 Depth=1
	v_cmp_gt_i16_sdwa vcc, v7, v39 src0_sel:BYTE_0 src1_sel:DWORD
                                        ; implicit-def: $vgpr66
	s_and_saveexec_b64 s[30:31], vcc
	s_xor_b64 vcc, exec, s[30:31]
	s_cbranch_execz .LBB94_302
; %bb.293:                              ;   in Loop: Header=BB94_17 Depth=1
	v_cmp_gt_i16_sdwa s[30:31], v7, v48 src0_sel:BYTE_0 src1_sel:DWORD
                                        ; implicit-def: $vgpr66
	s_and_saveexec_b64 s[34:35], s[30:31]
	s_xor_b64 s[30:31], exec, s[34:35]
	s_cbranch_execz .LBB94_299
; %bb.294:                              ;   in Loop: Header=BB94_17 Depth=1
	v_cmp_gt_i16_sdwa s[34:35], v7, v49 src0_sel:BYTE_0 src1_sel:DWORD
                                        ; implicit-def: $vgpr66
	s_and_saveexec_b64 s[36:37], s[34:35]
	s_xor_b64 s[34:35], exec, s[36:37]
	s_cbranch_execz .LBB94_296
; %bb.295:                              ;   in Loop: Header=BB94_17 Depth=1
	flat_load_dwordx2 v[14:15], v[14:15]
	s_waitcnt vmcnt(0) lgkmcnt(0)
	v_cvt_f32_f64_e32 v66, v[14:15]
                                        ; implicit-def: $vgpr14_vgpr15
.LBB94_296:                             ;   in Loop: Header=BB94_17 Depth=1
	s_andn2_saveexec_b64 s[34:35], s[34:35]
	s_cbranch_execz .LBB94_298
; %bb.297:                              ;   in Loop: Header=BB94_17 Depth=1
	flat_load_dword v66, v[14:15]
.LBB94_298:                             ;   in Loop: Header=BB94_17 Depth=1
	s_or_b64 exec, exec, s[34:35]
                                        ; implicit-def: $vgpr14_vgpr15
.LBB94_299:                             ;   in Loop: Header=BB94_17 Depth=1
	s_andn2_saveexec_b64 s[30:31], s[30:31]
	s_cbranch_execz .LBB94_301
; %bb.300:                              ;   in Loop: Header=BB94_17 Depth=1
	flat_load_dword v14, v[14:15]
	s_waitcnt vmcnt(0) lgkmcnt(0)
	v_cvt_f32_f16_e32 v66, v14
.LBB94_301:                             ;   in Loop: Header=BB94_17 Depth=1
	s_or_b64 exec, exec, s[30:31]
                                        ; implicit-def: $vgpr14_vgpr15
.LBB94_302:                             ;   in Loop: Header=BB94_17 Depth=1
	s_andn2_saveexec_b64 vcc, vcc
	s_cbranch_execz .LBB94_312
; %bb.303:                              ;   in Loop: Header=BB94_17 Depth=1
	v_cmp_gt_i16_sdwa s[30:31], v7, v50 src0_sel:BYTE_0 src1_sel:DWORD
                                        ; implicit-def: $vgpr66
	s_and_saveexec_b64 s[34:35], s[30:31]
	s_xor_b64 s[30:31], exec, s[34:35]
	s_cbranch_execz .LBB94_309
; %bb.304:                              ;   in Loop: Header=BB94_17 Depth=1
	v_cmp_gt_i16_sdwa s[34:35], v7, v51 src0_sel:BYTE_0 src1_sel:DWORD
                                        ; implicit-def: $vgpr66
	s_and_saveexec_b64 s[36:37], s[34:35]
	s_xor_b64 s[34:35], exec, s[36:37]
	s_cbranch_execz .LBB94_306
; %bb.305:                              ;   in Loop: Header=BB94_17 Depth=1
	flat_load_dwordx2 v[14:15], v[14:15]
	s_waitcnt vmcnt(0) lgkmcnt(0)
	v_cvt_f32_f64_e32 v66, v[14:15]
                                        ; implicit-def: $vgpr14_vgpr15
.LBB94_306:                             ;   in Loop: Header=BB94_17 Depth=1
	s_andn2_saveexec_b64 s[34:35], s[34:35]
	s_cbranch_execz .LBB94_308
; %bb.307:                              ;   in Loop: Header=BB94_17 Depth=1
	s_waitcnt vmcnt(0) lgkmcnt(0)
	flat_load_dword v66, v[14:15]
.LBB94_308:                             ;   in Loop: Header=BB94_17 Depth=1
	s_or_b64 exec, exec, s[34:35]
                                        ; implicit-def: $vgpr14_vgpr15
.LBB94_309:                             ;   in Loop: Header=BB94_17 Depth=1
	s_andn2_saveexec_b64 s[30:31], s[30:31]
	s_cbranch_execz .LBB94_311
; %bb.310:                              ;   in Loop: Header=BB94_17 Depth=1
	flat_load_ushort v14, v[14:15]
	s_waitcnt vmcnt(0) lgkmcnt(0)
	v_cvt_f32_f16_e32 v66, v14
.LBB94_311:                             ;   in Loop: Header=BB94_17 Depth=1
	s_or_b64 exec, exec, s[30:31]
.LBB94_312:                             ;   in Loop: Header=BB94_17 Depth=1
	s_or_b64 exec, exec, vcc
                                        ; implicit-def: $vgpr14_vgpr15
.LBB94_313:                             ;   in Loop: Header=BB94_17 Depth=1
	s_andn2_saveexec_b64 s[28:29], s[28:29]
	s_cbranch_execz .LBB94_331
; %bb.314:                              ;   in Loop: Header=BB94_17 Depth=1
	v_cmp_gt_i16_sdwa vcc, v7, v52 src0_sel:BYTE_0 src1_sel:DWORD
                                        ; implicit-def: $vgpr66
	s_and_saveexec_b64 s[30:31], vcc
	s_xor_b64 vcc, exec, s[30:31]
	s_cbranch_execz .LBB94_324
; %bb.315:                              ;   in Loop: Header=BB94_17 Depth=1
	v_cmp_gt_i16_sdwa s[30:31], v7, v53 src0_sel:BYTE_0 src1_sel:DWORD
                                        ; implicit-def: $vgpr66
	s_and_saveexec_b64 s[34:35], s[30:31]
	s_xor_b64 s[30:31], exec, s[34:35]
	s_cbranch_execz .LBB94_321
; %bb.316:                              ;   in Loop: Header=BB94_17 Depth=1
	v_cmp_gt_i16_sdwa s[34:35], v7, v54 src0_sel:BYTE_0 src1_sel:DWORD
                                        ; implicit-def: $vgpr66
	s_and_saveexec_b64 s[36:37], s[34:35]
	s_xor_b64 s[34:35], exec, s[36:37]
	s_cbranch_execz .LBB94_318
; %bb.317:                              ;   in Loop: Header=BB94_17 Depth=1
	flat_load_dwordx2 v[14:15], v[14:15]
	s_waitcnt vmcnt(0) lgkmcnt(0)
	v_xor_b32_e32 v66, v14, v15
	v_ffbh_i32_e32 v65, v15
	v_ashrrev_i32_e32 v66, 31, v66
	v_add_u32_e32 v65, -1, v65
	v_add_u32_e32 v66, 32, v66
	v_min_u32_e32 v65, v65, v66
	v_lshlrev_b64 v[14:15], v65, v[14:15]
	v_min_u32_e32 v14, 1, v14
	v_or_b32_e32 v14, v15, v14
	v_cvt_f32_i32_e32 v14, v14
	v_sub_u32_e32 v15, 32, v65
	v_ldexp_f32 v66, v14, v15
                                        ; implicit-def: $vgpr14_vgpr15
.LBB94_318:                             ;   in Loop: Header=BB94_17 Depth=1
	s_andn2_saveexec_b64 s[34:35], s[34:35]
	s_cbranch_execz .LBB94_320
; %bb.319:                              ;   in Loop: Header=BB94_17 Depth=1
	flat_load_dword v14, v[14:15]
	s_waitcnt vmcnt(0) lgkmcnt(0)
	v_cvt_f32_i32_e32 v66, v14
.LBB94_320:                             ;   in Loop: Header=BB94_17 Depth=1
	s_or_b64 exec, exec, s[34:35]
                                        ; implicit-def: $vgpr14_vgpr15
.LBB94_321:                             ;   in Loop: Header=BB94_17 Depth=1
	s_andn2_saveexec_b64 s[30:31], s[30:31]
	s_cbranch_execz .LBB94_323
; %bb.322:                              ;   in Loop: Header=BB94_17 Depth=1
	flat_load_sshort v14, v[14:15]
	s_waitcnt vmcnt(0) lgkmcnt(0)
	v_cvt_f32_i32_e32 v66, v14
.LBB94_323:                             ;   in Loop: Header=BB94_17 Depth=1
	s_or_b64 exec, exec, s[30:31]
                                        ; implicit-def: $vgpr14_vgpr15
.LBB94_324:                             ;   in Loop: Header=BB94_17 Depth=1
	s_andn2_saveexec_b64 vcc, vcc
	s_cbranch_execz .LBB94_330
; %bb.325:                              ;   in Loop: Header=BB94_17 Depth=1
	v_cmp_gt_i16_sdwa s[30:31], v7, v16 src0_sel:BYTE_0 src1_sel:DWORD
                                        ; implicit-def: $vgpr66
	s_and_saveexec_b64 s[34:35], s[30:31]
	s_xor_b64 s[30:31], exec, s[34:35]
	s_cbranch_execz .LBB94_327
; %bb.326:                              ;   in Loop: Header=BB94_17 Depth=1
	flat_load_sbyte v14, v[14:15]
	s_waitcnt vmcnt(0) lgkmcnt(0)
	v_cvt_f32_i32_e32 v66, v14
                                        ; implicit-def: $vgpr14_vgpr15
.LBB94_327:                             ;   in Loop: Header=BB94_17 Depth=1
	s_andn2_saveexec_b64 s[30:31], s[30:31]
	s_cbranch_execz .LBB94_329
; %bb.328:                              ;   in Loop: Header=BB94_17 Depth=1
	flat_load_ubyte v14, v[14:15]
	s_waitcnt vmcnt(0) lgkmcnt(0)
	v_cvt_f32_ubyte0_e32 v66, v14
.LBB94_329:                             ;   in Loop: Header=BB94_17 Depth=1
	s_or_b64 exec, exec, s[30:31]
.LBB94_330:                             ;   in Loop: Header=BB94_17 Depth=1
	s_or_b64 exec, exec, vcc
.LBB94_331:                             ;   in Loop: Header=BB94_17 Depth=1
	s_or_b64 exec, exec, s[28:29]
	s_andn2_b64 s[18:19], s[18:19], exec
	s_andn2_b64 s[16:17], s[16:17], exec
	s_or_b64 s[26:27], s[26:27], exec
	s_or_b64 exec, exec, s[24:25]
	s_mov_b64 s[28:29], 0
	s_and_saveexec_b64 s[24:25], s[26:27]
	s_cbranch_execz .LBB94_337
.LBB94_332:                             ;   in Loop: Header=BB94_17 Depth=1
	v_mul_lo_u32 v14, v64, v10
	v_readlane_b32 s26, v44, 0
	v_add_co_u32_e32 v14, vcc, v4, v14
	v_add_u32_e32 v65, s26, v17
	v_addc_co_u32_e32 v15, vcc, 0, v5, vcc
	v_cmp_gt_i16_sdwa s[26:27], v8, v18 src0_sel:BYTE_0 src1_sel:DWORD
	s_mov_b64 s[30:31], 0
	s_waitcnt vmcnt(0) lgkmcnt(0)
	buffer_store_dword v66, v65, s[0:3], 0 offen offset:12
                                        ; implicit-def: $sgpr28_sgpr29
                                        ; implicit-def: $vcc
                                        ; implicit-def: $vgpr64
	s_and_saveexec_b64 s[34:35], s[26:27]
	s_xor_b64 s[26:27], exec, s[34:35]
	s_cbranch_execnz .LBB94_343
; %bb.333:                              ;   in Loop: Header=BB94_17 Depth=1
	s_andn2_saveexec_b64 s[26:27], s[26:27]
	s_cbranch_execnz .LBB94_402
.LBB94_334:                             ;   in Loop: Header=BB94_17 Depth=1
	s_or_b64 exec, exec, s[26:27]
	s_mov_b64 s[26:27], 0
	s_and_saveexec_b64 s[34:35], s[30:31]
	s_cbranch_execz .LBB94_336
.LBB94_335:                             ;   in Loop: Header=BB94_17 Depth=1
	s_mov_b64 s[26:27], exec
	v_add_u32_e32 v55, 0x200, v55
	s_andn2_b64 vcc, vcc, exec
	s_andn2_b64 s[28:29], s[28:29], exec
	s_waitcnt vmcnt(0) lgkmcnt(0)
	buffer_store_dword v64, v65, s[0:3], 0 offen offset:8
.LBB94_336:                             ;   in Loop: Header=BB94_17 Depth=1
	s_or_b64 exec, exec, s[34:35]
	s_andn2_b64 s[18:19], s[18:19], exec
	s_and_b64 vcc, vcc, exec
	s_andn2_b64 s[16:17], s[16:17], exec
	s_and_b64 s[28:29], s[28:29], exec
	s_or_b64 s[18:19], s[18:19], vcc
	s_or_b64 s[16:17], s[16:17], s[28:29]
	s_and_b64 s[28:29], s[26:27], exec
.LBB94_337:                             ;   in Loop: Header=BB94_17 Depth=1
	s_or_b64 exec, exec, s[24:25]
	s_and_b64 s[18:19], s[18:19], exec
	s_and_b64 s[16:17], s[16:17], exec
	s_orn2_b64 s[24:25], s[28:29], exec
.LBB94_338:                             ;   in Loop: Header=BB94_17 Depth=1
	s_or_b64 exec, exec, s[20:21]
	s_and_saveexec_b64 s[20:21], s[24:25]
	s_cbranch_execz .LBB94_15
; %bb.339:                              ;   in Loop: Header=BB94_17 Depth=1
	v_cmp_lt_i32_e32 vcc, v55, v6
	s_mov_b64 s[28:29], -1
	s_mov_b64 s[30:31], -1
                                        ; implicit-def: $sgpr22_sgpr23
                                        ; implicit-def: $sgpr24_sgpr25
	s_and_saveexec_b64 s[26:27], vcc
	s_cbranch_execz .LBB94_549
; %bb.340:                              ;   in Loop: Header=BB94_17 Depth=1
	v_readlane_b32 s22, v44, 1
	s_waitcnt vmcnt(0) lgkmcnt(0)
	v_add_u32_e32 v64, s22, v55
	v_mul_lo_u32 v14, v64, v9
	v_add_co_u32_e32 v14, vcc, v2, v14
	v_addc_co_u32_e32 v15, vcc, 0, v3, vcc
	v_cmp_gt_i16_sdwa s[30:31], v7, v18 src0_sel:BYTE_0 src1_sel:DWORD
	s_mov_b64 vcc, 0
                                        ; implicit-def: $sgpr22_sgpr23
                                        ; implicit-def: $sgpr24_sgpr25
                                        ; implicit-def: $vgpr66
	s_and_saveexec_b64 s[34:35], s[30:31]
	s_xor_b64 s[30:31], exec, s[34:35]
	s_cbranch_execnz .LBB94_443
; %bb.341:                              ;   in Loop: Header=BB94_17 Depth=1
	s_andn2_saveexec_b64 s[30:31], s[30:31]
	s_cbranch_execnz .LBB94_502
.LBB94_342:                             ;   in Loop: Header=BB94_17 Depth=1
	s_or_b64 exec, exec, s[30:31]
	s_mov_b64 s[34:35], 0
	s_and_saveexec_b64 s[30:31], vcc
	s_cbranch_execnz .LBB94_543
	s_branch .LBB94_548
.LBB94_343:                             ;   in Loop: Header=BB94_17 Depth=1
	v_cmp_gt_i16_sdwa s[28:29], v8, v19 src0_sel:BYTE_0 src1_sel:DWORD
                                        ; implicit-def: $sgpr34_sgpr35
                                        ; implicit-def: $sgpr36_sgpr37
                                        ; implicit-def: $vgpr64
	s_and_saveexec_b64 vcc, s[28:29]
	s_xor_b64 s[28:29], exec, vcc
	s_cbranch_execz .LBB94_375
; %bb.344:                              ;   in Loop: Header=BB94_17 Depth=1
	v_cmp_gt_i16_sdwa vcc, v8, v20 src0_sel:BYTE_0 src1_sel:DWORD
                                        ; implicit-def: $sgpr34_sgpr35
                                        ; implicit-def: $sgpr38_sgpr39
                                        ; implicit-def: $vgpr64
	s_and_saveexec_b64 s[36:37], vcc
	s_xor_b64 s[36:37], exec, s[36:37]
	s_cbranch_execz .LBB94_360
; %bb.345:                              ;   in Loop: Header=BB94_17 Depth=1
	v_cmp_gt_i16_sdwa s[30:31], v8, v21 src0_sel:BYTE_0 src1_sel:DWORD
	s_mov_b64 s[40:41], 0
                                        ; implicit-def: $vcc
                                        ; implicit-def: $sgpr38_sgpr39
                                        ; implicit-def: $vgpr64
	s_and_saveexec_b64 s[34:35], s[30:31]
	s_xor_b64 s[30:31], exec, s[34:35]
	s_cbranch_execz .LBB94_355
; %bb.346:                              ;   in Loop: Header=BB94_17 Depth=1
	v_cmp_gt_i16_sdwa vcc, v8, v22 src0_sel:BYTE_0 src1_sel:DWORD
                                        ; implicit-def: $sgpr38_sgpr39
                                        ; implicit-def: $sgpr34_sgpr35
                                        ; implicit-def: $vgpr64
	s_and_saveexec_b64 s[42:43], vcc
	s_xor_b64 vcc, exec, s[42:43]
	s_cbranch_execz .LBB94_350
; %bb.347:                              ;   in Loop: Header=BB94_17 Depth=1
	v_cmp_eq_u16_sdwa s[42:43], v8, v23 src0_sel:BYTE_0 src1_sel:DWORD
	s_mov_b64 s[34:35], 0
                                        ; implicit-def: $vgpr64
	s_and_saveexec_b64 s[38:39], s[42:43]
	s_cbranch_execz .LBB94_349
; %bb.348:                              ;   in Loop: Header=BB94_17 Depth=1
	flat_load_dword v14, v[14:15]
	s_mov_b64 s[40:41], exec
	s_waitcnt vmcnt(0) lgkmcnt(0)
	v_lshlrev_b32_e32 v64, 16, v14
.LBB94_349:                             ;   in Loop: Header=BB94_17 Depth=1
	s_or_b64 exec, exec, s[38:39]
	s_mov_b64 s[38:39], -1
	s_and_b64 s[40:41], s[40:41], exec
                                        ; implicit-def: $vgpr14_vgpr15
.LBB94_350:                             ;   in Loop: Header=BB94_17 Depth=1
	s_andn2_saveexec_b64 s[42:43], vcc
	s_cbranch_execz .LBB94_354
; %bb.351:                              ;   in Loop: Header=BB94_17 Depth=1
	v_cmp_eq_u16_sdwa s[46:47], v8, v24 src0_sel:BYTE_0 src1_sel:DWORD
	s_mov_b64 vcc, s[40:41]
                                        ; implicit-def: $vgpr64
	s_and_saveexec_b64 s[44:45], s[46:47]
	s_cbranch_execz .LBB94_353
; %bb.352:                              ;   in Loop: Header=BB94_17 Depth=1
	flat_load_ubyte v14, v[14:15]
	s_movk_i32 vcc_lo, 0xff
	s_waitcnt vmcnt(0) lgkmcnt(0)
	v_lshlrev_b32_e32 v15, 23, v14
	v_cmp_ne_u32_e32 vcc, vcc_lo, v14
	v_cndmask_b32_e32 v15, v25, v15, vcc
	v_cmp_ne_u32_e32 vcc, 0, v14
	v_cndmask_b32_e32 v64, v26, v15, vcc
	s_or_b64 vcc, s[40:41], exec
.LBB94_353:                             ;   in Loop: Header=BB94_17 Depth=1
	s_or_b64 exec, exec, s[44:45]
	s_andn2_b64 s[40:41], s[40:41], exec
	s_and_b64 vcc, vcc, exec
	s_or_b64 s[38:39], s[38:39], exec
	s_andn2_b64 s[34:35], s[34:35], exec
	s_or_b64 s[40:41], s[40:41], vcc
.LBB94_354:                             ;   in Loop: Header=BB94_17 Depth=1
	s_or_b64 exec, exec, s[42:43]
	s_and_b64 s[38:39], s[38:39], exec
	s_and_b64 vcc, s[34:35], exec
	s_and_b64 s[40:41], s[40:41], exec
                                        ; implicit-def: $vgpr14_vgpr15
.LBB94_355:                             ;   in Loop: Header=BB94_17 Depth=1
	s_andn2_saveexec_b64 s[30:31], s[30:31]
	s_cbranch_execz .LBB94_359
; %bb.356:                              ;   in Loop: Header=BB94_17 Depth=1
	v_cmp_eq_u16_sdwa s[44:45], v8, v27 src0_sel:BYTE_0 src1_sel:DWORD
	s_mov_b64 s[42:43], s[40:41]
                                        ; implicit-def: $vgpr64
	s_and_saveexec_b64 s[34:35], s[44:45]
	s_cbranch_execz .LBB94_358
; %bb.357:                              ;   in Loop: Header=BB94_17 Depth=1
	flat_load_dwordx2 v[14:15], v[14:15]
	s_or_b64 s[42:43], s[40:41], exec
	s_waitcnt vmcnt(0) lgkmcnt(0)
	v_ffbh_u32_e32 v64, v15
	v_min_u32_e32 v64, 32, v64
	v_lshlrev_b64 v[14:15], v64, v[14:15]
	v_min_u32_e32 v14, 1, v14
	v_or_b32_e32 v14, v15, v14
	v_cvt_f32_u32_e32 v14, v14
	v_sub_u32_e32 v15, 32, v64
	v_ldexp_f32 v64, v14, v15
.LBB94_358:                             ;   in Loop: Header=BB94_17 Depth=1
	s_or_b64 exec, exec, s[34:35]
	s_andn2_b64 s[34:35], s[40:41], exec
	s_and_b64 s[40:41], s[42:43], exec
	s_or_b64 s[38:39], s[38:39], exec
	s_andn2_b64 vcc, vcc, exec
	s_or_b64 s[40:41], s[34:35], s[40:41]
.LBB94_359:                             ;   in Loop: Header=BB94_17 Depth=1
	s_or_b64 exec, exec, s[30:31]
	s_and_b64 s[38:39], s[38:39], exec
	s_and_b64 s[34:35], vcc, exec
	s_and_b64 s[30:31], s[40:41], exec
                                        ; implicit-def: $vgpr14_vgpr15
.LBB94_360:                             ;   in Loop: Header=BB94_17 Depth=1
	s_andn2_saveexec_b64 s[36:37], s[36:37]
	s_cbranch_execz .LBB94_374
; %bb.361:                              ;   in Loop: Header=BB94_17 Depth=1
	v_cmp_gt_i16_sdwa vcc, v8, v28 src0_sel:BYTE_0 src1_sel:DWORD
                                        ; implicit-def: $vgpr64
	s_and_saveexec_b64 s[40:41], vcc
	s_xor_b64 vcc, exec, s[40:41]
	s_cbranch_execz .LBB94_367
; %bb.362:                              ;   in Loop: Header=BB94_17 Depth=1
	v_cmp_gt_i16_sdwa s[40:41], v8, v29 src0_sel:BYTE_0 src1_sel:DWORD
                                        ; implicit-def: $vgpr64
	s_and_saveexec_b64 s[42:43], s[40:41]
	s_xor_b64 s[40:41], exec, s[42:43]
	s_cbranch_execz .LBB94_364
; %bb.363:                              ;   in Loop: Header=BB94_17 Depth=1
	flat_load_dword v14, v[14:15]
	s_waitcnt vmcnt(0) lgkmcnt(0)
	v_cvt_f32_u32_e32 v64, v14
                                        ; implicit-def: $vgpr14_vgpr15
.LBB94_364:                             ;   in Loop: Header=BB94_17 Depth=1
	s_andn2_saveexec_b64 s[40:41], s[40:41]
	s_cbranch_execz .LBB94_366
; %bb.365:                              ;   in Loop: Header=BB94_17 Depth=1
	flat_load_ushort v14, v[14:15]
	s_waitcnt vmcnt(0) lgkmcnt(0)
	v_cvt_f32_u32_e32 v64, v14
.LBB94_366:                             ;   in Loop: Header=BB94_17 Depth=1
	s_or_b64 exec, exec, s[40:41]
                                        ; implicit-def: $vgpr14_vgpr15
.LBB94_367:                             ;   in Loop: Header=BB94_17 Depth=1
	s_andn2_saveexec_b64 s[40:41], vcc
	s_cbranch_execz .LBB94_373
; %bb.368:                              ;   in Loop: Header=BB94_17 Depth=1
	flat_load_ubyte v14, v[14:15]
	s_movk_i32 vcc_lo, 0x7f
	s_mov_b64 s[42:43], 0
                                        ; implicit-def: $sgpr48
	s_waitcnt vmcnt(0) lgkmcnt(0)
	v_cmp_lt_i16_e32 vcc, vcc_lo, v14
	s_and_saveexec_b64 s[44:45], vcc
	s_xor_b64 s[44:45], exec, s[44:45]
	s_cbranch_execnz .LBB94_1211
; %bb.369:                              ;   in Loop: Header=BB94_17 Depth=1
	s_or_saveexec_b64 s[44:45], s[44:45]
	v_mov_b32_e32 v64, s48
	s_xor_b64 exec, exec, s[44:45]
	s_cbranch_execnz .LBB94_1214
.LBB94_370:                             ;   in Loop: Header=BB94_17 Depth=1
	s_or_b64 exec, exec, s[44:45]
	s_and_saveexec_b64 s[44:45], s[42:43]
	s_cbranch_execz .LBB94_372
.LBB94_371:                             ;   in Loop: Header=BB94_17 Depth=1
	v_lshlrev_b32_e32 v15, 24, v14
	v_and_b32_e32 v14, 0xffff, v14
	v_and_b32_e32 v64, 7, v14
	v_ffbh_u32_e32 v67, v64
	v_min_u32_e32 v67, 32, v67
	v_subrev_u32_e32 v68, 28, v67
	v_bfe_u32 v66, v14, 3, 4
	v_lshlrev_b32_e32 v14, v68, v14
	v_sub_u32_e32 v67, 29, v67
	v_and_b32_e32 v14, 7, v14
	v_cmp_eq_u32_e32 vcc, 0, v66
	v_cndmask_b32_e32 v66, v66, v67, vcc
	v_cndmask_b32_e32 v14, v64, v14, vcc
	v_lshlrev_b32_e32 v14, 20, v14
	v_and_b32_e32 v15, 0x80000000, v15
	v_lshl_add_u32 v64, v66, 23, v30
	v_or3_b32 v64, v15, v64, v14
.LBB94_372:                             ;   in Loop: Header=BB94_17 Depth=1
	s_or_b64 exec, exec, s[44:45]
.LBB94_373:                             ;   in Loop: Header=BB94_17 Depth=1
	s_or_b64 exec, exec, s[40:41]
	s_andn2_b64 s[38:39], s[38:39], exec
	s_andn2_b64 s[34:35], s[34:35], exec
	s_or_b64 s[30:31], s[30:31], exec
.LBB94_374:                             ;   in Loop: Header=BB94_17 Depth=1
	s_or_b64 exec, exec, s[36:37]
	s_and_b64 s[36:37], s[38:39], exec
	s_and_b64 s[34:35], s[34:35], exec
	;; [unrolled: 1-line block ×3, first 2 shown]
                                        ; implicit-def: $vgpr14_vgpr15
.LBB94_375:                             ;   in Loop: Header=BB94_17 Depth=1
	s_andn2_saveexec_b64 s[28:29], s[28:29]
	s_cbranch_execz .LBB94_401
; %bb.376:                              ;   in Loop: Header=BB94_17 Depth=1
	v_cmp_gt_i16_sdwa vcc, v8, v31 src0_sel:BYTE_0 src1_sel:DWORD
	s_mov_b64 s[40:41], s[30:31]
                                        ; implicit-def: $vgpr64
	s_and_saveexec_b64 s[38:39], vcc
	s_xor_b64 s[38:39], exec, s[38:39]
	s_cbranch_execz .LBB94_390
; %bb.377:                              ;   in Loop: Header=BB94_17 Depth=1
	v_cmp_gt_i16_sdwa vcc, v8, v32 src0_sel:BYTE_0 src1_sel:DWORD
                                        ; implicit-def: $vgpr64
	s_and_saveexec_b64 s[40:41], vcc
	s_xor_b64 s[40:41], exec, s[40:41]
	s_cbranch_execz .LBB94_387
; %bb.378:                              ;   in Loop: Header=BB94_17 Depth=1
	v_cmp_gt_i16_sdwa vcc, v8, v33 src0_sel:BYTE_0 src1_sel:DWORD
                                        ; implicit-def: $vgpr64
	s_and_saveexec_b64 s[42:43], vcc
	s_xor_b64 s[42:43], exec, s[42:43]
	s_cbranch_execz .LBB94_384
; %bb.379:                              ;   in Loop: Header=BB94_17 Depth=1
	flat_load_ubyte v14, v[14:15]
	s_movk_i32 vcc_lo, 0x7f
	s_mov_b64 s[44:45], 0
                                        ; implicit-def: $sgpr50
	s_waitcnt vmcnt(0) lgkmcnt(0)
	v_cmp_lt_i16_e32 vcc, vcc_lo, v14
	s_and_saveexec_b64 s[46:47], vcc
	s_xor_b64 s[46:47], exec, s[46:47]
	s_cbranch_execnz .LBB94_1430
; %bb.380:                              ;   in Loop: Header=BB94_17 Depth=1
	s_or_saveexec_b64 s[46:47], s[46:47]
	v_mov_b32_e32 v64, s50
	s_xor_b64 exec, exec, s[46:47]
	s_cbranch_execnz .LBB94_1433
.LBB94_381:                             ;   in Loop: Header=BB94_17 Depth=1
	s_or_b64 exec, exec, s[46:47]
	s_and_saveexec_b64 s[46:47], s[44:45]
	s_cbranch_execz .LBB94_383
.LBB94_382:                             ;   in Loop: Header=BB94_17 Depth=1
	v_lshlrev_b32_e32 v15, 24, v14
	v_and_b32_e32 v14, 0xffff, v14
	v_and_b32_e32 v64, 3, v14
	v_ffbh_u32_e32 v67, v64
	v_min_u32_e32 v67, 32, v67
	v_subrev_u32_e32 v68, 29, v67
	v_bfe_u32 v66, v14, 2, 5
	v_lshlrev_b32_e32 v14, v68, v14
	v_sub_u32_e32 v67, 30, v67
	v_and_b32_e32 v14, 3, v14
	v_cmp_eq_u32_e32 vcc, 0, v66
	v_cndmask_b32_e32 v66, v66, v67, vcc
	v_cndmask_b32_e32 v14, v64, v14, vcc
	v_lshlrev_b32_e32 v14, 21, v14
	v_and_b32_e32 v15, 0x80000000, v15
	v_lshl_add_u32 v64, v66, 23, v34
	v_or3_b32 v64, v15, v64, v14
.LBB94_383:                             ;   in Loop: Header=BB94_17 Depth=1
	s_or_b64 exec, exec, s[46:47]
                                        ; implicit-def: $vgpr14_vgpr15
.LBB94_384:                             ;   in Loop: Header=BB94_17 Depth=1
	s_andn2_saveexec_b64 s[42:43], s[42:43]
	s_cbranch_execz .LBB94_386
; %bb.385:                              ;   in Loop: Header=BB94_17 Depth=1
	flat_load_ubyte v14, v[14:15]
	s_mov_b32 vcc_lo, 0x7f800000
	s_waitcnt vmcnt(0) lgkmcnt(0)
	v_lshlrev_b32_e32 v14, 24, v14
	v_and_b32_e32 v15, 0x7f000000, v14
	v_ffbh_u32_e32 v64, v15
	v_min_u32_e32 v64, 32, v64
	v_sub_u32_e64 v64, v64, 4 clamp
	v_lshlrev_b32_e32 v67, v64, v15
	v_lshlrev_b32_e32 v64, 23, v64
	v_lshrrev_b32_e32 v67, 4, v67
	v_add_u32_e32 v66, 0x1000000, v15
	v_sub_u32_e32 v64, v67, v64
	v_ashrrev_i32_e32 v66, 8, v66
	v_add_u32_e32 v64, 0x3c000000, v64
	v_and_or_b32 v64, v66, vcc_lo, v64
	v_cmp_ne_u32_e32 vcc, 0, v15
	v_cndmask_b32_e32 v15, 0, v64, vcc
	s_brev_b32 vcc_lo, 1
	v_and_or_b32 v64, v14, vcc_lo, v15
.LBB94_386:                             ;   in Loop: Header=BB94_17 Depth=1
	s_or_b64 exec, exec, s[42:43]
                                        ; implicit-def: $vgpr14_vgpr15
.LBB94_387:                             ;   in Loop: Header=BB94_17 Depth=1
	s_andn2_saveexec_b64 s[40:41], s[40:41]
	s_cbranch_execz .LBB94_389
; %bb.388:                              ;   in Loop: Header=BB94_17 Depth=1
	flat_load_ubyte v14, v[14:15]
	s_movk_i32 vcc_lo, 0x7f00
	s_waitcnt vmcnt(0) lgkmcnt(0)
	v_lshlrev_b16_e32 v15, 8, v14
	v_lshlrev_b32_e32 v14, 25, v14
	v_lshrrev_b32_e32 v64, 4, v14
	v_and_or_b32 v66, v15, vcc_lo, 0.5
	v_or_b32_e32 v64, 0x70000000, v64
	s_brev_b32 vcc_lo, 16
	v_add_f32_e32 v66, -0.5, v66
	v_mul_f32_e32 v64, 0x7800000, v64
	v_cmp_gt_u32_e32 vcc, vcc_lo, v14
	v_cndmask_b32_e32 v14, v64, v66, vcc
	v_bfe_i32 v15, v15, 0, 16
	s_brev_b32 vcc_lo, 1
	v_and_or_b32 v64, v15, vcc_lo, v14
.LBB94_389:                             ;   in Loop: Header=BB94_17 Depth=1
	s_or_b64 exec, exec, s[40:41]
	s_or_b64 s[40:41], s[30:31], exec
                                        ; implicit-def: $vgpr14_vgpr15
.LBB94_390:                             ;   in Loop: Header=BB94_17 Depth=1
	s_or_saveexec_b64 s[38:39], s[38:39]
                                        ; implicit-def: $vcc
                                        ; implicit-def: $sgpr46_sgpr47
	s_xor_b64 exec, exec, s[38:39]
	s_cbranch_execz .LBB94_400
; %bb.391:                              ;   in Loop: Header=BB94_17 Depth=1
	v_cmp_gt_i16_sdwa vcc, v8, v35 src0_sel:BYTE_0 src1_sel:DWORD
	s_mov_b64 s[44:45], s[40:41]
                                        ; implicit-def: $sgpr46_sgpr47
                                        ; implicit-def: $sgpr42_sgpr43
                                        ; implicit-def: $vgpr64
	s_and_saveexec_b64 s[48:49], vcc
	s_xor_b64 vcc, exec, s[48:49]
	s_cbranch_execz .LBB94_395
; %bb.392:                              ;   in Loop: Header=BB94_17 Depth=1
	v_cmp_eq_u16_sdwa s[46:47], v8, v36 src0_sel:BYTE_0 src1_sel:DWORD
	s_mov_b64 s[44:45], s[40:41]
                                        ; implicit-def: $vgpr64
	s_and_saveexec_b64 s[42:43], s[46:47]
	s_cbranch_execz .LBB94_394
; %bb.393:                              ;   in Loop: Header=BB94_17 Depth=1
	flat_load_ushort v14, v[14:15]
	s_or_b64 s[44:45], s[40:41], exec
	s_waitcnt vmcnt(0) lgkmcnt(0)
	v_lshlrev_b32_e32 v64, 16, v14
.LBB94_394:                             ;   in Loop: Header=BB94_17 Depth=1
	s_or_b64 exec, exec, s[42:43]
	s_andn2_b64 s[48:49], s[40:41], exec
	s_and_b64 s[44:45], s[44:45], exec
	s_mov_b64 s[42:43], 0
	s_mov_b64 s[46:47], -1
	s_or_b64 s[44:45], s[48:49], s[44:45]
                                        ; implicit-def: $vgpr14_vgpr15
.LBB94_395:                             ;   in Loop: Header=BB94_17 Depth=1
	s_andn2_saveexec_b64 s[48:49], vcc
	s_cbranch_execz .LBB94_399
; %bb.396:                              ;   in Loop: Header=BB94_17 Depth=1
	v_cmp_eq_u16_sdwa s[52:53], v8, v37 src0_sel:BYTE_0 src1_sel:DWORD
	s_mov_b64 vcc, s[44:45]
                                        ; implicit-def: $vgpr64
	s_and_saveexec_b64 s[50:51], s[52:53]
	s_cbranch_execz .LBB94_398
; %bb.397:                              ;   in Loop: Header=BB94_17 Depth=1
	flat_load_ubyte v14, v[14:15]
	s_waitcnt vmcnt(0) lgkmcnt(0)
	v_cmp_ne_u16_e32 vcc, 0, v14
	v_cndmask_b32_e64 v64, 0, 1.0, vcc
	s_or_b64 vcc, s[44:45], exec
.LBB94_398:                             ;   in Loop: Header=BB94_17 Depth=1
	s_or_b64 exec, exec, s[50:51]
	s_andn2_b64 s[44:45], s[44:45], exec
	s_and_b64 vcc, vcc, exec
	s_or_b64 s[46:47], s[46:47], exec
	s_andn2_b64 s[42:43], s[42:43], exec
	s_or_b64 s[44:45], s[44:45], vcc
.LBB94_399:                             ;   in Loop: Header=BB94_17 Depth=1
	s_or_b64 exec, exec, s[48:49]
	s_and_b64 vcc, s[42:43], exec
	s_andn2_b64 s[40:41], s[40:41], exec
	s_and_b64 s[42:43], s[44:45], exec
	s_and_b64 s[46:47], s[46:47], exec
	s_or_b64 s[40:41], s[40:41], s[42:43]
.LBB94_400:                             ;   in Loop: Header=BB94_17 Depth=1
	s_or_b64 exec, exec, s[38:39]
	s_andn2_b64 s[34:35], s[34:35], exec
	s_and_b64 vcc, vcc, exec
	s_andn2_b64 s[36:37], s[36:37], exec
	s_and_b64 s[38:39], s[46:47], exec
	s_or_b64 s[34:35], s[34:35], vcc
	s_andn2_b64 vcc, s[30:31], exec
	s_and_b64 s[30:31], s[40:41], exec
	s_or_b64 s[36:37], s[36:37], s[38:39]
	s_or_b64 s[30:31], vcc, s[30:31]
.LBB94_401:                             ;   in Loop: Header=BB94_17 Depth=1
	s_or_b64 exec, exec, s[28:29]
	s_and_b64 vcc, s[36:37], exec
	s_and_b64 s[28:29], s[34:35], exec
	s_and_b64 s[30:31], s[30:31], exec
                                        ; implicit-def: $vgpr14_vgpr15
	s_andn2_saveexec_b64 s[26:27], s[26:27]
	s_cbranch_execz .LBB94_334
.LBB94_402:                             ;   in Loop: Header=BB94_17 Depth=1
	v_cmp_gt_i16_sdwa s[34:35], v8, v38 src0_sel:BYTE_0 src1_sel:DWORD
                                        ; implicit-def: $vgpr64
	s_and_saveexec_b64 s[36:37], s[34:35]
	s_xor_b64 s[34:35], exec, s[36:37]
	s_cbranch_execz .LBB94_424
; %bb.403:                              ;   in Loop: Header=BB94_17 Depth=1
	v_cmp_gt_i16_sdwa s[36:37], v8, v39 src0_sel:BYTE_0 src1_sel:DWORD
                                        ; implicit-def: $vgpr64
	s_and_saveexec_b64 s[38:39], s[36:37]
	s_xor_b64 s[36:37], exec, s[38:39]
	s_cbranch_execz .LBB94_413
; %bb.404:                              ;   in Loop: Header=BB94_17 Depth=1
	;; [unrolled: 6-line block ×4, first 2 shown]
	flat_load_dwordx2 v[14:15], v[14:15]
	s_waitcnt vmcnt(0) lgkmcnt(0)
	v_cvt_f32_f64_e32 v64, v[14:15]
                                        ; implicit-def: $vgpr14_vgpr15
.LBB94_407:                             ;   in Loop: Header=BB94_17 Depth=1
	s_andn2_saveexec_b64 s[40:41], s[40:41]
	s_cbranch_execz .LBB94_409
; %bb.408:                              ;   in Loop: Header=BB94_17 Depth=1
	flat_load_dword v64, v[14:15]
.LBB94_409:                             ;   in Loop: Header=BB94_17 Depth=1
	s_or_b64 exec, exec, s[40:41]
                                        ; implicit-def: $vgpr14_vgpr15
.LBB94_410:                             ;   in Loop: Header=BB94_17 Depth=1
	s_andn2_saveexec_b64 s[38:39], s[38:39]
	s_cbranch_execz .LBB94_412
; %bb.411:                              ;   in Loop: Header=BB94_17 Depth=1
	flat_load_dword v14, v[14:15]
	s_waitcnt vmcnt(0) lgkmcnt(0)
	v_cvt_f32_f16_e32 v64, v14
.LBB94_412:                             ;   in Loop: Header=BB94_17 Depth=1
	s_or_b64 exec, exec, s[38:39]
                                        ; implicit-def: $vgpr14_vgpr15
.LBB94_413:                             ;   in Loop: Header=BB94_17 Depth=1
	s_andn2_saveexec_b64 s[36:37], s[36:37]
	s_cbranch_execz .LBB94_423
; %bb.414:                              ;   in Loop: Header=BB94_17 Depth=1
	v_cmp_gt_i16_sdwa s[38:39], v8, v50 src0_sel:BYTE_0 src1_sel:DWORD
                                        ; implicit-def: $vgpr64
	s_and_saveexec_b64 s[40:41], s[38:39]
	s_xor_b64 s[38:39], exec, s[40:41]
	s_cbranch_execz .LBB94_420
; %bb.415:                              ;   in Loop: Header=BB94_17 Depth=1
	v_cmp_gt_i16_sdwa s[40:41], v8, v51 src0_sel:BYTE_0 src1_sel:DWORD
                                        ; implicit-def: $vgpr64
	s_and_saveexec_b64 s[42:43], s[40:41]
	s_xor_b64 s[40:41], exec, s[42:43]
	s_cbranch_execz .LBB94_417
; %bb.416:                              ;   in Loop: Header=BB94_17 Depth=1
	flat_load_dwordx2 v[14:15], v[14:15]
	s_waitcnt vmcnt(0) lgkmcnt(0)
	v_cvt_f32_f64_e32 v64, v[14:15]
                                        ; implicit-def: $vgpr14_vgpr15
.LBB94_417:                             ;   in Loop: Header=BB94_17 Depth=1
	s_andn2_saveexec_b64 s[40:41], s[40:41]
	s_cbranch_execz .LBB94_419
; %bb.418:                              ;   in Loop: Header=BB94_17 Depth=1
	s_waitcnt vmcnt(0) lgkmcnt(0)
	flat_load_dword v64, v[14:15]
.LBB94_419:                             ;   in Loop: Header=BB94_17 Depth=1
	s_or_b64 exec, exec, s[40:41]
                                        ; implicit-def: $vgpr14_vgpr15
.LBB94_420:                             ;   in Loop: Header=BB94_17 Depth=1
	s_andn2_saveexec_b64 s[38:39], s[38:39]
	s_cbranch_execz .LBB94_422
; %bb.421:                              ;   in Loop: Header=BB94_17 Depth=1
	flat_load_ushort v14, v[14:15]
	s_waitcnt vmcnt(0) lgkmcnt(0)
	v_cvt_f32_f16_e32 v64, v14
.LBB94_422:                             ;   in Loop: Header=BB94_17 Depth=1
	s_or_b64 exec, exec, s[38:39]
.LBB94_423:                             ;   in Loop: Header=BB94_17 Depth=1
	s_or_b64 exec, exec, s[36:37]
                                        ; implicit-def: $vgpr14_vgpr15
.LBB94_424:                             ;   in Loop: Header=BB94_17 Depth=1
	s_andn2_saveexec_b64 s[34:35], s[34:35]
	s_cbranch_execz .LBB94_442
; %bb.425:                              ;   in Loop: Header=BB94_17 Depth=1
	v_cmp_gt_i16_sdwa s[36:37], v8, v52 src0_sel:BYTE_0 src1_sel:DWORD
                                        ; implicit-def: $vgpr64
	s_and_saveexec_b64 s[38:39], s[36:37]
	s_xor_b64 s[36:37], exec, s[38:39]
	s_cbranch_execz .LBB94_435
; %bb.426:                              ;   in Loop: Header=BB94_17 Depth=1
	v_cmp_gt_i16_sdwa s[38:39], v8, v53 src0_sel:BYTE_0 src1_sel:DWORD
                                        ; implicit-def: $vgpr64
	s_and_saveexec_b64 s[40:41], s[38:39]
	s_xor_b64 s[38:39], exec, s[40:41]
	;; [unrolled: 6-line block ×3, first 2 shown]
	s_cbranch_execz .LBB94_429
; %bb.428:                              ;   in Loop: Header=BB94_17 Depth=1
	flat_load_dwordx2 v[14:15], v[14:15]
	s_waitcnt vmcnt(0) lgkmcnt(0)
	v_xor_b32_e32 v66, v14, v15
	v_ffbh_i32_e32 v64, v15
	v_ashrrev_i32_e32 v66, 31, v66
	v_add_u32_e32 v64, -1, v64
	v_add_u32_e32 v66, 32, v66
	v_min_u32_e32 v64, v64, v66
	v_lshlrev_b64 v[14:15], v64, v[14:15]
	v_min_u32_e32 v14, 1, v14
	v_or_b32_e32 v14, v15, v14
	v_cvt_f32_i32_e32 v14, v14
	v_sub_u32_e32 v15, 32, v64
	v_ldexp_f32 v64, v14, v15
                                        ; implicit-def: $vgpr14_vgpr15
.LBB94_429:                             ;   in Loop: Header=BB94_17 Depth=1
	s_andn2_saveexec_b64 s[40:41], s[40:41]
	s_cbranch_execz .LBB94_431
; %bb.430:                              ;   in Loop: Header=BB94_17 Depth=1
	flat_load_dword v14, v[14:15]
	s_waitcnt vmcnt(0) lgkmcnt(0)
	v_cvt_f32_i32_e32 v64, v14
.LBB94_431:                             ;   in Loop: Header=BB94_17 Depth=1
	s_or_b64 exec, exec, s[40:41]
                                        ; implicit-def: $vgpr14_vgpr15
.LBB94_432:                             ;   in Loop: Header=BB94_17 Depth=1
	s_andn2_saveexec_b64 s[38:39], s[38:39]
	s_cbranch_execz .LBB94_434
; %bb.433:                              ;   in Loop: Header=BB94_17 Depth=1
	flat_load_sshort v14, v[14:15]
	s_waitcnt vmcnt(0) lgkmcnt(0)
	v_cvt_f32_i32_e32 v64, v14
.LBB94_434:                             ;   in Loop: Header=BB94_17 Depth=1
	s_or_b64 exec, exec, s[38:39]
                                        ; implicit-def: $vgpr14_vgpr15
.LBB94_435:                             ;   in Loop: Header=BB94_17 Depth=1
	s_andn2_saveexec_b64 s[36:37], s[36:37]
	s_cbranch_execz .LBB94_441
; %bb.436:                              ;   in Loop: Header=BB94_17 Depth=1
	v_cmp_gt_i16_sdwa s[38:39], v8, v16 src0_sel:BYTE_0 src1_sel:DWORD
                                        ; implicit-def: $vgpr64
	s_and_saveexec_b64 s[40:41], s[38:39]
	s_xor_b64 s[38:39], exec, s[40:41]
	s_cbranch_execz .LBB94_438
; %bb.437:                              ;   in Loop: Header=BB94_17 Depth=1
	flat_load_sbyte v14, v[14:15]
	s_waitcnt vmcnt(0) lgkmcnt(0)
	v_cvt_f32_i32_e32 v64, v14
                                        ; implicit-def: $vgpr14_vgpr15
.LBB94_438:                             ;   in Loop: Header=BB94_17 Depth=1
	s_andn2_saveexec_b64 s[38:39], s[38:39]
	s_cbranch_execz .LBB94_440
; %bb.439:                              ;   in Loop: Header=BB94_17 Depth=1
	flat_load_ubyte v14, v[14:15]
	s_waitcnt vmcnt(0) lgkmcnt(0)
	v_cvt_f32_ubyte0_e32 v64, v14
.LBB94_440:                             ;   in Loop: Header=BB94_17 Depth=1
	s_or_b64 exec, exec, s[38:39]
.LBB94_441:                             ;   in Loop: Header=BB94_17 Depth=1
	s_or_b64 exec, exec, s[36:37]
.LBB94_442:                             ;   in Loop: Header=BB94_17 Depth=1
	s_or_b64 exec, exec, s[34:35]
	s_andn2_b64 vcc, vcc, exec
	s_andn2_b64 s[28:29], s[28:29], exec
	s_or_b64 s[30:31], s[30:31], exec
	s_or_b64 exec, exec, s[26:27]
	s_mov_b64 s[26:27], 0
	s_and_saveexec_b64 s[34:35], s[30:31]
	s_cbranch_execnz .LBB94_335
	s_branch .LBB94_336
.LBB94_443:                             ;   in Loop: Header=BB94_17 Depth=1
	v_cmp_gt_i16_sdwa s[22:23], v7, v19 src0_sel:BYTE_0 src1_sel:DWORD
	s_mov_b64 s[34:35], 0
                                        ; implicit-def: $sgpr36_sgpr37
                                        ; implicit-def: $sgpr24_sgpr25
                                        ; implicit-def: $vgpr66
	s_and_saveexec_b64 vcc, s[22:23]
	s_xor_b64 s[22:23], exec, vcc
	s_cbranch_execz .LBB94_475
; %bb.444:                              ;   in Loop: Header=BB94_17 Depth=1
	v_cmp_gt_i16_sdwa s[24:25], v7, v20 src0_sel:BYTE_0 src1_sel:DWORD
                                        ; implicit-def: $sgpr36_sgpr37
                                        ; implicit-def: $sgpr38_sgpr39
                                        ; implicit-def: $vgpr66
	s_and_saveexec_b64 vcc, s[24:25]
	s_xor_b64 s[24:25], exec, vcc
	s_cbranch_execz .LBB94_460
; %bb.445:                              ;   in Loop: Header=BB94_17 Depth=1
	v_cmp_gt_i16_sdwa s[34:35], v7, v21 src0_sel:BYTE_0 src1_sel:DWORD
	s_mov_b64 s[40:41], 0
                                        ; implicit-def: $vcc
                                        ; implicit-def: $sgpr36_sgpr37
                                        ; implicit-def: $vgpr66
	s_and_saveexec_b64 s[38:39], s[34:35]
	s_xor_b64 s[34:35], exec, s[38:39]
	s_cbranch_execz .LBB94_455
; %bb.446:                              ;   in Loop: Header=BB94_17 Depth=1
	v_cmp_gt_i16_sdwa vcc, v7, v22 src0_sel:BYTE_0 src1_sel:DWORD
	s_mov_b64 s[38:39], 0
                                        ; implicit-def: $sgpr36_sgpr37
                                        ; implicit-def: $sgpr40_sgpr41
                                        ; implicit-def: $vgpr66
	s_and_saveexec_b64 s[42:43], vcc
	s_xor_b64 vcc, exec, s[42:43]
	s_cbranch_execz .LBB94_450
; %bb.447:                              ;   in Loop: Header=BB94_17 Depth=1
	v_cmp_eq_u16_sdwa s[42:43], v7, v23 src0_sel:BYTE_0 src1_sel:DWORD
	s_mov_b64 s[36:37], 0
                                        ; implicit-def: $vgpr66
	s_and_saveexec_b64 s[40:41], s[42:43]
	s_cbranch_execz .LBB94_449
; %bb.448:                              ;   in Loop: Header=BB94_17 Depth=1
	flat_load_dword v14, v[14:15]
	s_mov_b64 s[38:39], exec
	s_waitcnt vmcnt(0) lgkmcnt(0)
	v_lshlrev_b32_e32 v66, 16, v14
.LBB94_449:                             ;   in Loop: Header=BB94_17 Depth=1
	s_or_b64 exec, exec, s[40:41]
	s_mov_b64 s[40:41], -1
	s_and_b64 s[38:39], s[38:39], exec
                                        ; implicit-def: $vgpr14_vgpr15
.LBB94_450:                             ;   in Loop: Header=BB94_17 Depth=1
	s_andn2_saveexec_b64 s[42:43], vcc
	s_cbranch_execz .LBB94_454
; %bb.451:                              ;   in Loop: Header=BB94_17 Depth=1
	v_cmp_eq_u16_sdwa s[46:47], v7, v24 src0_sel:BYTE_0 src1_sel:DWORD
	s_mov_b64 vcc, s[38:39]
                                        ; implicit-def: $vgpr66
	s_and_saveexec_b64 s[44:45], s[46:47]
	s_cbranch_execz .LBB94_453
; %bb.452:                              ;   in Loop: Header=BB94_17 Depth=1
	flat_load_ubyte v14, v[14:15]
	s_movk_i32 vcc_lo, 0xff
	s_waitcnt vmcnt(0) lgkmcnt(0)
	v_lshlrev_b32_e32 v15, 23, v14
	v_cmp_ne_u32_e32 vcc, vcc_lo, v14
	v_cndmask_b32_e32 v15, v25, v15, vcc
	v_cmp_ne_u32_e32 vcc, 0, v14
	v_cndmask_b32_e32 v66, v26, v15, vcc
	s_or_b64 vcc, s[38:39], exec
.LBB94_453:                             ;   in Loop: Header=BB94_17 Depth=1
	s_or_b64 exec, exec, s[44:45]
	s_andn2_b64 s[38:39], s[38:39], exec
	s_and_b64 vcc, vcc, exec
	s_andn2_b64 s[36:37], s[36:37], exec
	s_or_b64 s[40:41], s[40:41], exec
	s_or_b64 s[38:39], s[38:39], vcc
.LBB94_454:                             ;   in Loop: Header=BB94_17 Depth=1
	s_or_b64 exec, exec, s[42:43]
	s_and_b64 s[36:37], s[36:37], exec
	s_and_b64 vcc, s[40:41], exec
	s_and_b64 s[40:41], s[38:39], exec
                                        ; implicit-def: $vgpr14_vgpr15
.LBB94_455:                             ;   in Loop: Header=BB94_17 Depth=1
	s_andn2_saveexec_b64 s[34:35], s[34:35]
	s_cbranch_execz .LBB94_459
; %bb.456:                              ;   in Loop: Header=BB94_17 Depth=1
	v_cmp_eq_u16_sdwa s[44:45], v7, v27 src0_sel:BYTE_0 src1_sel:DWORD
	s_mov_b64 s[42:43], s[40:41]
                                        ; implicit-def: $vgpr66
	s_and_saveexec_b64 s[38:39], s[44:45]
	s_cbranch_execz .LBB94_458
; %bb.457:                              ;   in Loop: Header=BB94_17 Depth=1
	flat_load_dwordx2 v[14:15], v[14:15]
	s_or_b64 s[42:43], s[40:41], exec
	s_waitcnt vmcnt(0) lgkmcnt(0)
	v_ffbh_u32_e32 v65, v15
	v_min_u32_e32 v65, 32, v65
	v_lshlrev_b64 v[14:15], v65, v[14:15]
	v_min_u32_e32 v14, 1, v14
	v_or_b32_e32 v14, v15, v14
	v_cvt_f32_u32_e32 v14, v14
	v_sub_u32_e32 v15, 32, v65
	v_ldexp_f32 v66, v14, v15
.LBB94_458:                             ;   in Loop: Header=BB94_17 Depth=1
	s_or_b64 exec, exec, s[38:39]
	s_andn2_b64 s[38:39], s[40:41], exec
	s_and_b64 s[40:41], s[42:43], exec
	s_andn2_b64 s[36:37], s[36:37], exec
	s_or_b64 vcc, vcc, exec
	s_or_b64 s[40:41], s[38:39], s[40:41]
.LBB94_459:                             ;   in Loop: Header=BB94_17 Depth=1
	s_or_b64 exec, exec, s[34:35]
	s_and_b64 s[38:39], s[36:37], exec
	s_and_b64 s[36:37], vcc, exec
	s_and_b64 s[34:35], s[40:41], exec
                                        ; implicit-def: $vgpr14_vgpr15
.LBB94_460:                             ;   in Loop: Header=BB94_17 Depth=1
	s_andn2_saveexec_b64 s[24:25], s[24:25]
	s_cbranch_execz .LBB94_474
; %bb.461:                              ;   in Loop: Header=BB94_17 Depth=1
	v_cmp_gt_i16_sdwa vcc, v7, v28 src0_sel:BYTE_0 src1_sel:DWORD
                                        ; implicit-def: $vgpr66
	s_and_saveexec_b64 s[40:41], vcc
	s_xor_b64 vcc, exec, s[40:41]
	s_cbranch_execz .LBB94_467
; %bb.462:                              ;   in Loop: Header=BB94_17 Depth=1
	v_cmp_gt_i16_sdwa s[40:41], v7, v29 src0_sel:BYTE_0 src1_sel:DWORD
                                        ; implicit-def: $vgpr66
	s_and_saveexec_b64 s[42:43], s[40:41]
	s_xor_b64 s[40:41], exec, s[42:43]
	s_cbranch_execz .LBB94_464
; %bb.463:                              ;   in Loop: Header=BB94_17 Depth=1
	flat_load_dword v14, v[14:15]
	s_waitcnt vmcnt(0) lgkmcnt(0)
	v_cvt_f32_u32_e32 v66, v14
                                        ; implicit-def: $vgpr14_vgpr15
.LBB94_464:                             ;   in Loop: Header=BB94_17 Depth=1
	s_andn2_saveexec_b64 s[40:41], s[40:41]
	s_cbranch_execz .LBB94_466
; %bb.465:                              ;   in Loop: Header=BB94_17 Depth=1
	flat_load_ushort v14, v[14:15]
	s_waitcnt vmcnt(0) lgkmcnt(0)
	v_cvt_f32_u32_e32 v66, v14
.LBB94_466:                             ;   in Loop: Header=BB94_17 Depth=1
	s_or_b64 exec, exec, s[40:41]
                                        ; implicit-def: $vgpr14_vgpr15
.LBB94_467:                             ;   in Loop: Header=BB94_17 Depth=1
	s_andn2_saveexec_b64 s[40:41], vcc
	s_cbranch_execz .LBB94_473
; %bb.468:                              ;   in Loop: Header=BB94_17 Depth=1
	flat_load_ubyte v14, v[14:15]
	s_movk_i32 vcc_lo, 0x7f
	s_mov_b64 s[42:43], 0
                                        ; implicit-def: $sgpr48
	s_waitcnt vmcnt(0) lgkmcnt(0)
	v_cmp_lt_i16_e32 vcc, vcc_lo, v14
	s_and_saveexec_b64 s[44:45], vcc
	s_xor_b64 s[44:45], exec, s[44:45]
	s_cbranch_execnz .LBB94_1215
; %bb.469:                              ;   in Loop: Header=BB94_17 Depth=1
	s_or_saveexec_b64 s[44:45], s[44:45]
	v_mov_b32_e32 v66, s48
	s_xor_b64 exec, exec, s[44:45]
	s_cbranch_execnz .LBB94_1218
.LBB94_470:                             ;   in Loop: Header=BB94_17 Depth=1
	s_or_b64 exec, exec, s[44:45]
	s_and_saveexec_b64 s[44:45], s[42:43]
	s_cbranch_execz .LBB94_472
.LBB94_471:                             ;   in Loop: Header=BB94_17 Depth=1
	v_lshlrev_b32_e32 v15, 24, v14
	v_and_b32_e32 v14, 0xffff, v14
	v_and_b32_e32 v65, 7, v14
	v_ffbh_u32_e32 v67, v65
	v_min_u32_e32 v67, 32, v67
	v_subrev_u32_e32 v68, 28, v67
	v_bfe_u32 v66, v14, 3, 4
	v_lshlrev_b32_e32 v14, v68, v14
	v_sub_u32_e32 v67, 29, v67
	v_and_b32_e32 v14, 7, v14
	v_cmp_eq_u32_e32 vcc, 0, v66
	v_cndmask_b32_e32 v66, v66, v67, vcc
	v_cndmask_b32_e32 v14, v65, v14, vcc
	v_lshlrev_b32_e32 v14, 20, v14
	v_and_b32_e32 v15, 0x80000000, v15
	v_lshl_add_u32 v65, v66, 23, v30
	v_or3_b32 v66, v15, v65, v14
.LBB94_472:                             ;   in Loop: Header=BB94_17 Depth=1
	s_or_b64 exec, exec, s[44:45]
.LBB94_473:                             ;   in Loop: Header=BB94_17 Depth=1
	s_or_b64 exec, exec, s[40:41]
	s_andn2_b64 s[38:39], s[38:39], exec
	s_andn2_b64 s[36:37], s[36:37], exec
	s_or_b64 s[34:35], s[34:35], exec
.LBB94_474:                             ;   in Loop: Header=BB94_17 Depth=1
	s_or_b64 exec, exec, s[24:25]
	s_and_b64 s[24:25], s[38:39], exec
	s_and_b64 s[36:37], s[36:37], exec
	;; [unrolled: 1-line block ×3, first 2 shown]
                                        ; implicit-def: $vgpr14_vgpr15
.LBB94_475:                             ;   in Loop: Header=BB94_17 Depth=1
	s_andn2_saveexec_b64 s[22:23], s[22:23]
	s_cbranch_execz .LBB94_501
; %bb.476:                              ;   in Loop: Header=BB94_17 Depth=1
	v_cmp_gt_i16_sdwa vcc, v7, v31 src0_sel:BYTE_0 src1_sel:DWORD
	s_mov_b64 s[40:41], s[34:35]
                                        ; implicit-def: $vgpr66
	s_and_saveexec_b64 s[38:39], vcc
	s_xor_b64 s[38:39], exec, s[38:39]
	s_cbranch_execz .LBB94_490
; %bb.477:                              ;   in Loop: Header=BB94_17 Depth=1
	v_cmp_gt_i16_sdwa vcc, v7, v32 src0_sel:BYTE_0 src1_sel:DWORD
                                        ; implicit-def: $vgpr66
	s_and_saveexec_b64 s[40:41], vcc
	s_xor_b64 s[40:41], exec, s[40:41]
	s_cbranch_execz .LBB94_487
; %bb.478:                              ;   in Loop: Header=BB94_17 Depth=1
	v_cmp_gt_i16_sdwa vcc, v7, v33 src0_sel:BYTE_0 src1_sel:DWORD
                                        ; implicit-def: $vgpr66
	s_and_saveexec_b64 s[42:43], vcc
	s_xor_b64 s[42:43], exec, s[42:43]
	s_cbranch_execz .LBB94_484
; %bb.479:                              ;   in Loop: Header=BB94_17 Depth=1
	flat_load_ubyte v14, v[14:15]
	s_movk_i32 vcc_lo, 0x7f
	s_mov_b64 s[44:45], 0
                                        ; implicit-def: $sgpr50
	s_waitcnt vmcnt(0) lgkmcnt(0)
	v_cmp_lt_i16_e32 vcc, vcc_lo, v14
	s_and_saveexec_b64 s[46:47], vcc
	s_xor_b64 s[46:47], exec, s[46:47]
	s_cbranch_execnz .LBB94_1434
; %bb.480:                              ;   in Loop: Header=BB94_17 Depth=1
	s_or_saveexec_b64 s[46:47], s[46:47]
	v_mov_b32_e32 v66, s50
	s_xor_b64 exec, exec, s[46:47]
	s_cbranch_execnz .LBB94_1437
.LBB94_481:                             ;   in Loop: Header=BB94_17 Depth=1
	s_or_b64 exec, exec, s[46:47]
	s_and_saveexec_b64 s[46:47], s[44:45]
	s_cbranch_execz .LBB94_483
.LBB94_482:                             ;   in Loop: Header=BB94_17 Depth=1
	v_lshlrev_b32_e32 v15, 24, v14
	v_and_b32_e32 v14, 0xffff, v14
	v_and_b32_e32 v65, 3, v14
	v_ffbh_u32_e32 v67, v65
	v_min_u32_e32 v67, 32, v67
	v_subrev_u32_e32 v68, 29, v67
	v_bfe_u32 v66, v14, 2, 5
	v_lshlrev_b32_e32 v14, v68, v14
	v_sub_u32_e32 v67, 30, v67
	v_and_b32_e32 v14, 3, v14
	v_cmp_eq_u32_e32 vcc, 0, v66
	v_cndmask_b32_e32 v66, v66, v67, vcc
	v_cndmask_b32_e32 v14, v65, v14, vcc
	v_lshlrev_b32_e32 v14, 21, v14
	v_and_b32_e32 v15, 0x80000000, v15
	v_lshl_add_u32 v65, v66, 23, v34
	v_or3_b32 v66, v15, v65, v14
.LBB94_483:                             ;   in Loop: Header=BB94_17 Depth=1
	s_or_b64 exec, exec, s[46:47]
                                        ; implicit-def: $vgpr14_vgpr15
.LBB94_484:                             ;   in Loop: Header=BB94_17 Depth=1
	s_andn2_saveexec_b64 s[42:43], s[42:43]
	s_cbranch_execz .LBB94_486
; %bb.485:                              ;   in Loop: Header=BB94_17 Depth=1
	flat_load_ubyte v14, v[14:15]
	s_mov_b32 vcc_lo, 0x7f800000
	s_waitcnt vmcnt(0) lgkmcnt(0)
	v_lshlrev_b32_e32 v14, 24, v14
	v_and_b32_e32 v15, 0x7f000000, v14
	v_ffbh_u32_e32 v65, v15
	v_min_u32_e32 v65, 32, v65
	v_sub_u32_e64 v65, v65, 4 clamp
	v_lshlrev_b32_e32 v67, v65, v15
	v_lshlrev_b32_e32 v65, 23, v65
	v_lshrrev_b32_e32 v67, 4, v67
	v_add_u32_e32 v66, 0x1000000, v15
	v_sub_u32_e32 v65, v67, v65
	v_ashrrev_i32_e32 v66, 8, v66
	v_add_u32_e32 v65, 0x3c000000, v65
	v_and_or_b32 v65, v66, vcc_lo, v65
	v_cmp_ne_u32_e32 vcc, 0, v15
	v_cndmask_b32_e32 v15, 0, v65, vcc
	s_brev_b32 vcc_lo, 1
	v_and_or_b32 v66, v14, vcc_lo, v15
.LBB94_486:                             ;   in Loop: Header=BB94_17 Depth=1
	s_or_b64 exec, exec, s[42:43]
                                        ; implicit-def: $vgpr14_vgpr15
.LBB94_487:                             ;   in Loop: Header=BB94_17 Depth=1
	s_andn2_saveexec_b64 s[40:41], s[40:41]
	s_cbranch_execz .LBB94_489
; %bb.488:                              ;   in Loop: Header=BB94_17 Depth=1
	flat_load_ubyte v14, v[14:15]
	s_movk_i32 vcc_lo, 0x7f00
	s_waitcnt vmcnt(0) lgkmcnt(0)
	v_lshlrev_b16_e32 v15, 8, v14
	v_lshlrev_b32_e32 v14, 25, v14
	v_lshrrev_b32_e32 v65, 4, v14
	v_and_or_b32 v66, v15, vcc_lo, 0.5
	v_or_b32_e32 v65, 0x70000000, v65
	s_brev_b32 vcc_lo, 16
	v_add_f32_e32 v66, -0.5, v66
	v_mul_f32_e32 v65, 0x7800000, v65
	v_cmp_gt_u32_e32 vcc, vcc_lo, v14
	v_cndmask_b32_e32 v14, v65, v66, vcc
	v_bfe_i32 v15, v15, 0, 16
	s_brev_b32 vcc_lo, 1
	v_and_or_b32 v66, v15, vcc_lo, v14
.LBB94_489:                             ;   in Loop: Header=BB94_17 Depth=1
	s_or_b64 exec, exec, s[40:41]
	s_or_b64 s[40:41], s[34:35], exec
                                        ; implicit-def: $vgpr14_vgpr15
.LBB94_490:                             ;   in Loop: Header=BB94_17 Depth=1
	s_or_saveexec_b64 s[38:39], s[38:39]
                                        ; implicit-def: $vcc
                                        ; implicit-def: $sgpr46_sgpr47
	s_xor_b64 exec, exec, s[38:39]
	s_cbranch_execz .LBB94_500
; %bb.491:                              ;   in Loop: Header=BB94_17 Depth=1
	v_cmp_gt_i16_sdwa vcc, v7, v35 src0_sel:BYTE_0 src1_sel:DWORD
	s_mov_b64 s[44:45], s[40:41]
                                        ; implicit-def: $sgpr46_sgpr47
                                        ; implicit-def: $sgpr42_sgpr43
                                        ; implicit-def: $vgpr66
	s_and_saveexec_b64 s[48:49], vcc
	s_xor_b64 vcc, exec, s[48:49]
	s_cbranch_execz .LBB94_495
; %bb.492:                              ;   in Loop: Header=BB94_17 Depth=1
	v_cmp_eq_u16_sdwa s[46:47], v7, v36 src0_sel:BYTE_0 src1_sel:DWORD
	s_mov_b64 s[44:45], s[40:41]
                                        ; implicit-def: $vgpr66
	s_and_saveexec_b64 s[42:43], s[46:47]
	s_cbranch_execz .LBB94_494
; %bb.493:                              ;   in Loop: Header=BB94_17 Depth=1
	flat_load_ushort v14, v[14:15]
	s_or_b64 s[44:45], s[40:41], exec
	s_waitcnt vmcnt(0) lgkmcnt(0)
	v_lshlrev_b32_e32 v66, 16, v14
.LBB94_494:                             ;   in Loop: Header=BB94_17 Depth=1
	s_or_b64 exec, exec, s[42:43]
	s_andn2_b64 s[48:49], s[40:41], exec
	s_and_b64 s[44:45], s[44:45], exec
	s_mov_b64 s[42:43], -1
	s_mov_b64 s[46:47], 0
	s_or_b64 s[44:45], s[48:49], s[44:45]
                                        ; implicit-def: $vgpr14_vgpr15
.LBB94_495:                             ;   in Loop: Header=BB94_17 Depth=1
	s_andn2_saveexec_b64 s[48:49], vcc
	s_cbranch_execz .LBB94_499
; %bb.496:                              ;   in Loop: Header=BB94_17 Depth=1
	v_cmp_eq_u16_sdwa s[52:53], v7, v37 src0_sel:BYTE_0 src1_sel:DWORD
	s_mov_b64 vcc, s[44:45]
                                        ; implicit-def: $vgpr66
	s_and_saveexec_b64 s[50:51], s[52:53]
	s_cbranch_execz .LBB94_498
; %bb.497:                              ;   in Loop: Header=BB94_17 Depth=1
	flat_load_ubyte v14, v[14:15]
	s_waitcnt vmcnt(0) lgkmcnt(0)
	v_cmp_ne_u16_e32 vcc, 0, v14
	v_cndmask_b32_e64 v66, 0, 1.0, vcc
	s_or_b64 vcc, s[44:45], exec
.LBB94_498:                             ;   in Loop: Header=BB94_17 Depth=1
	s_or_b64 exec, exec, s[50:51]
	s_andn2_b64 s[44:45], s[44:45], exec
	s_and_b64 vcc, vcc, exec
	s_andn2_b64 s[46:47], s[46:47], exec
	s_or_b64 s[42:43], s[42:43], exec
	s_or_b64 s[44:45], s[44:45], vcc
.LBB94_499:                             ;   in Loop: Header=BB94_17 Depth=1
	s_or_b64 exec, exec, s[48:49]
	s_and_b64 vcc, s[42:43], exec
	s_andn2_b64 s[40:41], s[40:41], exec
	s_and_b64 s[42:43], s[44:45], exec
	s_and_b64 s[46:47], s[46:47], exec
	s_or_b64 s[40:41], s[40:41], s[42:43]
.LBB94_500:                             ;   in Loop: Header=BB94_17 Depth=1
	s_or_b64 exec, exec, s[38:39]
	s_andn2_b64 s[36:37], s[36:37], exec
	s_and_b64 vcc, vcc, exec
	s_andn2_b64 s[24:25], s[24:25], exec
	s_and_b64 s[38:39], s[46:47], exec
	s_or_b64 s[36:37], s[36:37], vcc
	s_andn2_b64 vcc, s[34:35], exec
	s_and_b64 s[34:35], s[40:41], exec
	s_or_b64 s[24:25], s[24:25], s[38:39]
	s_or_b64 s[34:35], vcc, s[34:35]
.LBB94_501:                             ;   in Loop: Header=BB94_17 Depth=1
	s_or_b64 exec, exec, s[22:23]
	s_and_b64 s[24:25], s[24:25], exec
	s_and_b64 s[22:23], s[36:37], exec
	s_and_b64 vcc, s[34:35], exec
                                        ; implicit-def: $vgpr14_vgpr15
	s_andn2_saveexec_b64 s[30:31], s[30:31]
	s_cbranch_execz .LBB94_342
.LBB94_502:                             ;   in Loop: Header=BB94_17 Depth=1
	v_cmp_gt_i16_sdwa s[34:35], v7, v38 src0_sel:BYTE_0 src1_sel:DWORD
                                        ; implicit-def: $vgpr66
	s_and_saveexec_b64 s[36:37], s[34:35]
	s_xor_b64 s[34:35], exec, s[36:37]
	s_cbranch_execz .LBB94_524
; %bb.503:                              ;   in Loop: Header=BB94_17 Depth=1
	v_cmp_gt_i16_sdwa s[36:37], v7, v39 src0_sel:BYTE_0 src1_sel:DWORD
                                        ; implicit-def: $vgpr66
	s_and_saveexec_b64 s[38:39], s[36:37]
	s_xor_b64 s[36:37], exec, s[38:39]
	s_cbranch_execz .LBB94_513
; %bb.504:                              ;   in Loop: Header=BB94_17 Depth=1
	v_cmp_gt_i16_sdwa s[38:39], v7, v48 src0_sel:BYTE_0 src1_sel:DWORD
                                        ; implicit-def: $vgpr66
	s_and_saveexec_b64 s[40:41], s[38:39]
	s_xor_b64 s[38:39], exec, s[40:41]
	s_cbranch_execz .LBB94_510
; %bb.505:                              ;   in Loop: Header=BB94_17 Depth=1
	v_cmp_gt_i16_sdwa s[40:41], v7, v49 src0_sel:BYTE_0 src1_sel:DWORD
                                        ; implicit-def: $vgpr66
	s_and_saveexec_b64 s[42:43], s[40:41]
	s_xor_b64 s[40:41], exec, s[42:43]
	s_cbranch_execz .LBB94_507
; %bb.506:                              ;   in Loop: Header=BB94_17 Depth=1
	flat_load_dwordx2 v[14:15], v[14:15]
	s_waitcnt vmcnt(0) lgkmcnt(0)
	v_cvt_f32_f64_e32 v66, v[14:15]
                                        ; implicit-def: $vgpr14_vgpr15
.LBB94_507:                             ;   in Loop: Header=BB94_17 Depth=1
	s_andn2_saveexec_b64 s[40:41], s[40:41]
	s_cbranch_execz .LBB94_509
; %bb.508:                              ;   in Loop: Header=BB94_17 Depth=1
	flat_load_dword v66, v[14:15]
.LBB94_509:                             ;   in Loop: Header=BB94_17 Depth=1
	s_or_b64 exec, exec, s[40:41]
                                        ; implicit-def: $vgpr14_vgpr15
.LBB94_510:                             ;   in Loop: Header=BB94_17 Depth=1
	s_andn2_saveexec_b64 s[38:39], s[38:39]
	s_cbranch_execz .LBB94_512
; %bb.511:                              ;   in Loop: Header=BB94_17 Depth=1
	flat_load_dword v14, v[14:15]
	s_waitcnt vmcnt(0) lgkmcnt(0)
	v_cvt_f32_f16_e32 v66, v14
.LBB94_512:                             ;   in Loop: Header=BB94_17 Depth=1
	s_or_b64 exec, exec, s[38:39]
                                        ; implicit-def: $vgpr14_vgpr15
.LBB94_513:                             ;   in Loop: Header=BB94_17 Depth=1
	s_andn2_saveexec_b64 s[36:37], s[36:37]
	s_cbranch_execz .LBB94_523
; %bb.514:                              ;   in Loop: Header=BB94_17 Depth=1
	v_cmp_gt_i16_sdwa s[38:39], v7, v50 src0_sel:BYTE_0 src1_sel:DWORD
                                        ; implicit-def: $vgpr66
	s_and_saveexec_b64 s[40:41], s[38:39]
	s_xor_b64 s[38:39], exec, s[40:41]
	s_cbranch_execz .LBB94_520
; %bb.515:                              ;   in Loop: Header=BB94_17 Depth=1
	v_cmp_gt_i16_sdwa s[40:41], v7, v51 src0_sel:BYTE_0 src1_sel:DWORD
                                        ; implicit-def: $vgpr66
	s_and_saveexec_b64 s[42:43], s[40:41]
	s_xor_b64 s[40:41], exec, s[42:43]
	s_cbranch_execz .LBB94_517
; %bb.516:                              ;   in Loop: Header=BB94_17 Depth=1
	flat_load_dwordx2 v[14:15], v[14:15]
	s_waitcnt vmcnt(0) lgkmcnt(0)
	v_cvt_f32_f64_e32 v66, v[14:15]
                                        ; implicit-def: $vgpr14_vgpr15
.LBB94_517:                             ;   in Loop: Header=BB94_17 Depth=1
	s_andn2_saveexec_b64 s[40:41], s[40:41]
	s_cbranch_execz .LBB94_519
; %bb.518:                              ;   in Loop: Header=BB94_17 Depth=1
	s_waitcnt vmcnt(0) lgkmcnt(0)
	flat_load_dword v66, v[14:15]
.LBB94_519:                             ;   in Loop: Header=BB94_17 Depth=1
	s_or_b64 exec, exec, s[40:41]
                                        ; implicit-def: $vgpr14_vgpr15
.LBB94_520:                             ;   in Loop: Header=BB94_17 Depth=1
	s_andn2_saveexec_b64 s[38:39], s[38:39]
	s_cbranch_execz .LBB94_522
; %bb.521:                              ;   in Loop: Header=BB94_17 Depth=1
	flat_load_ushort v14, v[14:15]
	s_waitcnt vmcnt(0) lgkmcnt(0)
	v_cvt_f32_f16_e32 v66, v14
.LBB94_522:                             ;   in Loop: Header=BB94_17 Depth=1
	s_or_b64 exec, exec, s[38:39]
.LBB94_523:                             ;   in Loop: Header=BB94_17 Depth=1
	s_or_b64 exec, exec, s[36:37]
                                        ; implicit-def: $vgpr14_vgpr15
.LBB94_524:                             ;   in Loop: Header=BB94_17 Depth=1
	s_andn2_saveexec_b64 s[34:35], s[34:35]
	s_cbranch_execz .LBB94_542
; %bb.525:                              ;   in Loop: Header=BB94_17 Depth=1
	v_cmp_gt_i16_sdwa s[36:37], v7, v52 src0_sel:BYTE_0 src1_sel:DWORD
                                        ; implicit-def: $vgpr66
	s_and_saveexec_b64 s[38:39], s[36:37]
	s_xor_b64 s[36:37], exec, s[38:39]
	s_cbranch_execz .LBB94_535
; %bb.526:                              ;   in Loop: Header=BB94_17 Depth=1
	v_cmp_gt_i16_sdwa s[38:39], v7, v53 src0_sel:BYTE_0 src1_sel:DWORD
                                        ; implicit-def: $vgpr66
	s_and_saveexec_b64 s[40:41], s[38:39]
	s_xor_b64 s[38:39], exec, s[40:41]
	;; [unrolled: 6-line block ×3, first 2 shown]
	s_cbranch_execz .LBB94_529
; %bb.528:                              ;   in Loop: Header=BB94_17 Depth=1
	flat_load_dwordx2 v[14:15], v[14:15]
	s_waitcnt vmcnt(0) lgkmcnt(0)
	v_xor_b32_e32 v66, v14, v15
	v_ffbh_i32_e32 v65, v15
	v_ashrrev_i32_e32 v66, 31, v66
	v_add_u32_e32 v65, -1, v65
	v_add_u32_e32 v66, 32, v66
	v_min_u32_e32 v65, v65, v66
	v_lshlrev_b64 v[14:15], v65, v[14:15]
	v_min_u32_e32 v14, 1, v14
	v_or_b32_e32 v14, v15, v14
	v_cvt_f32_i32_e32 v14, v14
	v_sub_u32_e32 v15, 32, v65
	v_ldexp_f32 v66, v14, v15
                                        ; implicit-def: $vgpr14_vgpr15
.LBB94_529:                             ;   in Loop: Header=BB94_17 Depth=1
	s_andn2_saveexec_b64 s[40:41], s[40:41]
	s_cbranch_execz .LBB94_531
; %bb.530:                              ;   in Loop: Header=BB94_17 Depth=1
	flat_load_dword v14, v[14:15]
	s_waitcnt vmcnt(0) lgkmcnt(0)
	v_cvt_f32_i32_e32 v66, v14
.LBB94_531:                             ;   in Loop: Header=BB94_17 Depth=1
	s_or_b64 exec, exec, s[40:41]
                                        ; implicit-def: $vgpr14_vgpr15
.LBB94_532:                             ;   in Loop: Header=BB94_17 Depth=1
	s_andn2_saveexec_b64 s[38:39], s[38:39]
	s_cbranch_execz .LBB94_534
; %bb.533:                              ;   in Loop: Header=BB94_17 Depth=1
	flat_load_sshort v14, v[14:15]
	s_waitcnt vmcnt(0) lgkmcnt(0)
	v_cvt_f32_i32_e32 v66, v14
.LBB94_534:                             ;   in Loop: Header=BB94_17 Depth=1
	s_or_b64 exec, exec, s[38:39]
                                        ; implicit-def: $vgpr14_vgpr15
.LBB94_535:                             ;   in Loop: Header=BB94_17 Depth=1
	s_andn2_saveexec_b64 s[36:37], s[36:37]
	s_cbranch_execz .LBB94_541
; %bb.536:                              ;   in Loop: Header=BB94_17 Depth=1
	v_cmp_gt_i16_sdwa s[38:39], v7, v16 src0_sel:BYTE_0 src1_sel:DWORD
                                        ; implicit-def: $vgpr66
	s_and_saveexec_b64 s[40:41], s[38:39]
	s_xor_b64 s[38:39], exec, s[40:41]
	s_cbranch_execz .LBB94_538
; %bb.537:                              ;   in Loop: Header=BB94_17 Depth=1
	flat_load_sbyte v14, v[14:15]
	s_waitcnt vmcnt(0) lgkmcnt(0)
	v_cvt_f32_i32_e32 v66, v14
                                        ; implicit-def: $vgpr14_vgpr15
.LBB94_538:                             ;   in Loop: Header=BB94_17 Depth=1
	s_andn2_saveexec_b64 s[38:39], s[38:39]
	s_cbranch_execz .LBB94_540
; %bb.539:                              ;   in Loop: Header=BB94_17 Depth=1
	flat_load_ubyte v14, v[14:15]
	s_waitcnt vmcnt(0) lgkmcnt(0)
	v_cvt_f32_ubyte0_e32 v66, v14
.LBB94_540:                             ;   in Loop: Header=BB94_17 Depth=1
	s_or_b64 exec, exec, s[38:39]
.LBB94_541:                             ;   in Loop: Header=BB94_17 Depth=1
	s_or_b64 exec, exec, s[36:37]
.LBB94_542:                             ;   in Loop: Header=BB94_17 Depth=1
	s_or_b64 exec, exec, s[34:35]
	s_andn2_b64 s[24:25], s[24:25], exec
	s_andn2_b64 s[22:23], s[22:23], exec
	s_or_b64 vcc, vcc, exec
	s_or_b64 exec, exec, s[30:31]
	s_mov_b64 s[34:35], 0
	s_and_saveexec_b64 s[30:31], vcc
	s_cbranch_execz .LBB94_548
.LBB94_543:                             ;   in Loop: Header=BB94_17 Depth=1
	v_mul_lo_u32 v14, v64, v10
	v_readlane_b32 s34, v44, 0
	v_add_co_u32_e32 v14, vcc, v4, v14
	v_add_u32_e32 v65, s34, v17
	v_addc_co_u32_e32 v15, vcc, 0, v5, vcc
	v_cmp_gt_i16_sdwa s[34:35], v8, v18 src0_sel:BYTE_0 src1_sel:DWORD
	s_mov_b64 s[38:39], 0
	s_waitcnt vmcnt(0) lgkmcnt(0)
	buffer_store_dword v66, v65, s[0:3], 0 offen offset:20
                                        ; implicit-def: $vcc
                                        ; implicit-def: $sgpr36_sgpr37
                                        ; implicit-def: $vgpr64
	s_and_saveexec_b64 s[40:41], s[34:35]
	s_xor_b64 s[34:35], exec, s[40:41]
	s_cbranch_execnz .LBB94_554
; %bb.544:                              ;   in Loop: Header=BB94_17 Depth=1
	s_andn2_saveexec_b64 s[34:35], s[34:35]
	s_cbranch_execnz .LBB94_613
.LBB94_545:                             ;   in Loop: Header=BB94_17 Depth=1
	s_or_b64 exec, exec, s[34:35]
	s_mov_b64 s[34:35], 0
	s_and_saveexec_b64 s[40:41], s[38:39]
	s_cbranch_execz .LBB94_547
.LBB94_546:                             ;   in Loop: Header=BB94_17 Depth=1
	s_mov_b64 s[34:35], exec
	v_add_u32_e32 v55, 0x200, v55
	s_andn2_b64 s[36:37], s[36:37], exec
	s_andn2_b64 vcc, vcc, exec
	s_waitcnt vmcnt(0) lgkmcnt(0)
	buffer_store_dword v64, v65, s[0:3], 0 offen offset:16
.LBB94_547:                             ;   in Loop: Header=BB94_17 Depth=1
	s_or_b64 exec, exec, s[40:41]
	s_andn2_b64 s[24:25], s[24:25], exec
	s_and_b64 s[36:37], s[36:37], exec
	s_andn2_b64 s[22:23], s[22:23], exec
	s_and_b64 vcc, vcc, exec
	s_or_b64 s[24:25], s[24:25], s[36:37]
	s_or_b64 s[22:23], s[22:23], vcc
	s_and_b64 s[34:35], s[34:35], exec
.LBB94_548:                             ;   in Loop: Header=BB94_17 Depth=1
	s_or_b64 exec, exec, s[30:31]
	s_and_b64 s[24:25], s[24:25], exec
	s_and_b64 s[22:23], s[22:23], exec
	s_orn2_b64 s[30:31], s[34:35], exec
.LBB94_549:                             ;   in Loop: Header=BB94_17 Depth=1
	s_or_b64 exec, exec, s[26:27]
	s_and_saveexec_b64 s[26:27], s[30:31]
	s_cbranch_execz .LBB94_14
; %bb.550:                              ;   in Loop: Header=BB94_17 Depth=1
	v_cmp_lt_i32_e32 vcc, v55, v6
	s_mov_b64 s[36:37], -1
	s_mov_b64 s[38:39], -1
                                        ; implicit-def: $sgpr28_sgpr29
                                        ; implicit-def: $sgpr30_sgpr31
	s_and_saveexec_b64 s[34:35], vcc
	s_cbranch_execz .LBB94_760
; %bb.551:                              ;   in Loop: Header=BB94_17 Depth=1
	v_readlane_b32 s28, v44, 1
	s_waitcnt vmcnt(0) lgkmcnt(0)
	v_add_u32_e32 v64, s28, v55
	v_mul_lo_u32 v14, v64, v9
	v_add_co_u32_e32 v14, vcc, v2, v14
	v_addc_co_u32_e32 v15, vcc, 0, v3, vcc
	v_cmp_gt_i16_sdwa s[38:39], v7, v18 src0_sel:BYTE_0 src1_sel:DWORD
	s_mov_b64 vcc, 0
                                        ; implicit-def: $sgpr28_sgpr29
                                        ; implicit-def: $sgpr30_sgpr31
                                        ; implicit-def: $vgpr66
	s_and_saveexec_b64 s[40:41], s[38:39]
	s_xor_b64 s[38:39], exec, s[40:41]
	s_cbranch_execnz .LBB94_654
; %bb.552:                              ;   in Loop: Header=BB94_17 Depth=1
	s_andn2_saveexec_b64 s[38:39], s[38:39]
	s_cbranch_execnz .LBB94_713
.LBB94_553:                             ;   in Loop: Header=BB94_17 Depth=1
	s_or_b64 exec, exec, s[38:39]
	s_mov_b64 s[40:41], 0
	s_and_saveexec_b64 s[38:39], vcc
	s_cbranch_execnz .LBB94_754
	s_branch .LBB94_759
.LBB94_554:                             ;   in Loop: Header=BB94_17 Depth=1
	v_cmp_gt_i16_sdwa vcc, v8, v19 src0_sel:BYTE_0 src1_sel:DWORD
                                        ; implicit-def: $sgpr40_sgpr41
                                        ; implicit-def: $sgpr42_sgpr43
                                        ; implicit-def: $vgpr64
	s_and_saveexec_b64 s[36:37], vcc
	s_xor_b64 s[36:37], exec, s[36:37]
	s_cbranch_execz .LBB94_586
; %bb.555:                              ;   in Loop: Header=BB94_17 Depth=1
	v_cmp_gt_i16_sdwa vcc, v8, v20 src0_sel:BYTE_0 src1_sel:DWORD
                                        ; implicit-def: $sgpr40_sgpr41
                                        ; implicit-def: $sgpr44_sgpr45
                                        ; implicit-def: $vgpr64
	s_and_saveexec_b64 s[42:43], vcc
	s_xor_b64 s[42:43], exec, s[42:43]
	s_cbranch_execz .LBB94_571
; %bb.556:                              ;   in Loop: Header=BB94_17 Depth=1
	v_cmp_gt_i16_sdwa s[38:39], v8, v21 src0_sel:BYTE_0 src1_sel:DWORD
	s_mov_b64 s[46:47], 0
                                        ; implicit-def: $vcc
                                        ; implicit-def: $sgpr44_sgpr45
                                        ; implicit-def: $vgpr64
	s_and_saveexec_b64 s[40:41], s[38:39]
	s_xor_b64 s[38:39], exec, s[40:41]
	s_cbranch_execz .LBB94_566
; %bb.557:                              ;   in Loop: Header=BB94_17 Depth=1
	v_cmp_gt_i16_sdwa vcc, v8, v22 src0_sel:BYTE_0 src1_sel:DWORD
                                        ; implicit-def: $sgpr44_sgpr45
                                        ; implicit-def: $sgpr40_sgpr41
                                        ; implicit-def: $vgpr64
	s_and_saveexec_b64 s[48:49], vcc
	s_xor_b64 vcc, exec, s[48:49]
	s_cbranch_execz .LBB94_561
; %bb.558:                              ;   in Loop: Header=BB94_17 Depth=1
	v_cmp_eq_u16_sdwa s[48:49], v8, v23 src0_sel:BYTE_0 src1_sel:DWORD
	s_mov_b64 s[40:41], 0
                                        ; implicit-def: $vgpr64
	s_and_saveexec_b64 s[44:45], s[48:49]
	s_cbranch_execz .LBB94_560
; %bb.559:                              ;   in Loop: Header=BB94_17 Depth=1
	flat_load_dword v14, v[14:15]
	s_mov_b64 s[46:47], exec
	s_waitcnt vmcnt(0) lgkmcnt(0)
	v_lshlrev_b32_e32 v64, 16, v14
.LBB94_560:                             ;   in Loop: Header=BB94_17 Depth=1
	s_or_b64 exec, exec, s[44:45]
	s_mov_b64 s[44:45], -1
	s_and_b64 s[46:47], s[46:47], exec
                                        ; implicit-def: $vgpr14_vgpr15
.LBB94_561:                             ;   in Loop: Header=BB94_17 Depth=1
	s_andn2_saveexec_b64 s[48:49], vcc
	s_cbranch_execz .LBB94_565
; %bb.562:                              ;   in Loop: Header=BB94_17 Depth=1
	v_cmp_eq_u16_sdwa s[52:53], v8, v24 src0_sel:BYTE_0 src1_sel:DWORD
	s_mov_b64 vcc, s[46:47]
                                        ; implicit-def: $vgpr64
	s_and_saveexec_b64 s[50:51], s[52:53]
	s_cbranch_execz .LBB94_564
; %bb.563:                              ;   in Loop: Header=BB94_17 Depth=1
	flat_load_ubyte v14, v[14:15]
	s_movk_i32 vcc_lo, 0xff
	s_waitcnt vmcnt(0) lgkmcnt(0)
	v_lshlrev_b32_e32 v15, 23, v14
	v_cmp_ne_u32_e32 vcc, vcc_lo, v14
	v_cndmask_b32_e32 v15, v25, v15, vcc
	v_cmp_ne_u32_e32 vcc, 0, v14
	v_cndmask_b32_e32 v64, v26, v15, vcc
	s_or_b64 vcc, s[46:47], exec
.LBB94_564:                             ;   in Loop: Header=BB94_17 Depth=1
	s_or_b64 exec, exec, s[50:51]
	s_andn2_b64 s[46:47], s[46:47], exec
	s_and_b64 vcc, vcc, exec
	s_or_b64 s[44:45], s[44:45], exec
	s_andn2_b64 s[40:41], s[40:41], exec
	s_or_b64 s[46:47], s[46:47], vcc
.LBB94_565:                             ;   in Loop: Header=BB94_17 Depth=1
	s_or_b64 exec, exec, s[48:49]
	s_and_b64 s[44:45], s[44:45], exec
	s_and_b64 vcc, s[40:41], exec
	s_and_b64 s[46:47], s[46:47], exec
                                        ; implicit-def: $vgpr14_vgpr15
.LBB94_566:                             ;   in Loop: Header=BB94_17 Depth=1
	s_andn2_saveexec_b64 s[38:39], s[38:39]
	s_cbranch_execz .LBB94_570
; %bb.567:                              ;   in Loop: Header=BB94_17 Depth=1
	v_cmp_eq_u16_sdwa s[50:51], v8, v27 src0_sel:BYTE_0 src1_sel:DWORD
	s_mov_b64 s[48:49], s[46:47]
                                        ; implicit-def: $vgpr64
	s_and_saveexec_b64 s[40:41], s[50:51]
	s_cbranch_execz .LBB94_569
; %bb.568:                              ;   in Loop: Header=BB94_17 Depth=1
	flat_load_dwordx2 v[14:15], v[14:15]
	s_or_b64 s[48:49], s[46:47], exec
	s_waitcnt vmcnt(0) lgkmcnt(0)
	v_ffbh_u32_e32 v64, v15
	v_min_u32_e32 v64, 32, v64
	v_lshlrev_b64 v[14:15], v64, v[14:15]
	v_min_u32_e32 v14, 1, v14
	v_or_b32_e32 v14, v15, v14
	v_cvt_f32_u32_e32 v14, v14
	v_sub_u32_e32 v15, 32, v64
	v_ldexp_f32 v64, v14, v15
.LBB94_569:                             ;   in Loop: Header=BB94_17 Depth=1
	s_or_b64 exec, exec, s[40:41]
	s_andn2_b64 s[40:41], s[46:47], exec
	s_and_b64 s[46:47], s[48:49], exec
	s_or_b64 s[44:45], s[44:45], exec
	s_andn2_b64 vcc, vcc, exec
	s_or_b64 s[46:47], s[40:41], s[46:47]
.LBB94_570:                             ;   in Loop: Header=BB94_17 Depth=1
	s_or_b64 exec, exec, s[38:39]
	s_and_b64 s[44:45], s[44:45], exec
	s_and_b64 s[40:41], vcc, exec
	s_and_b64 s[38:39], s[46:47], exec
                                        ; implicit-def: $vgpr14_vgpr15
.LBB94_571:                             ;   in Loop: Header=BB94_17 Depth=1
	s_andn2_saveexec_b64 s[42:43], s[42:43]
	s_cbranch_execz .LBB94_585
; %bb.572:                              ;   in Loop: Header=BB94_17 Depth=1
	v_cmp_gt_i16_sdwa vcc, v8, v28 src0_sel:BYTE_0 src1_sel:DWORD
                                        ; implicit-def: $vgpr64
	s_and_saveexec_b64 s[46:47], vcc
	s_xor_b64 vcc, exec, s[46:47]
	s_cbranch_execz .LBB94_578
; %bb.573:                              ;   in Loop: Header=BB94_17 Depth=1
	v_cmp_gt_i16_sdwa s[46:47], v8, v29 src0_sel:BYTE_0 src1_sel:DWORD
                                        ; implicit-def: $vgpr64
	s_and_saveexec_b64 s[48:49], s[46:47]
	s_xor_b64 s[46:47], exec, s[48:49]
	s_cbranch_execz .LBB94_575
; %bb.574:                              ;   in Loop: Header=BB94_17 Depth=1
	flat_load_dword v14, v[14:15]
	s_waitcnt vmcnt(0) lgkmcnt(0)
	v_cvt_f32_u32_e32 v64, v14
                                        ; implicit-def: $vgpr14_vgpr15
.LBB94_575:                             ;   in Loop: Header=BB94_17 Depth=1
	s_andn2_saveexec_b64 s[46:47], s[46:47]
	s_cbranch_execz .LBB94_577
; %bb.576:                              ;   in Loop: Header=BB94_17 Depth=1
	flat_load_ushort v14, v[14:15]
	s_waitcnt vmcnt(0) lgkmcnt(0)
	v_cvt_f32_u32_e32 v64, v14
.LBB94_577:                             ;   in Loop: Header=BB94_17 Depth=1
	s_or_b64 exec, exec, s[46:47]
                                        ; implicit-def: $vgpr14_vgpr15
.LBB94_578:                             ;   in Loop: Header=BB94_17 Depth=1
	s_andn2_saveexec_b64 s[46:47], vcc
	s_cbranch_execz .LBB94_584
; %bb.579:                              ;   in Loop: Header=BB94_17 Depth=1
	flat_load_ubyte v14, v[14:15]
	s_movk_i32 vcc_lo, 0x7f
	s_mov_b64 s[48:49], 0
                                        ; implicit-def: $sgpr54
	s_waitcnt vmcnt(0) lgkmcnt(0)
	v_cmp_lt_i16_e32 vcc, vcc_lo, v14
	s_and_saveexec_b64 s[50:51], vcc
	s_xor_b64 s[50:51], exec, s[50:51]
	s_cbranch_execnz .LBB94_1438
; %bb.580:                              ;   in Loop: Header=BB94_17 Depth=1
	s_or_saveexec_b64 s[50:51], s[50:51]
	v_mov_b32_e32 v64, s54
	s_xor_b64 exec, exec, s[50:51]
	s_cbranch_execnz .LBB94_1441
.LBB94_581:                             ;   in Loop: Header=BB94_17 Depth=1
	s_or_b64 exec, exec, s[50:51]
	s_and_saveexec_b64 s[50:51], s[48:49]
	s_cbranch_execz .LBB94_583
.LBB94_582:                             ;   in Loop: Header=BB94_17 Depth=1
	v_lshlrev_b32_e32 v15, 24, v14
	v_and_b32_e32 v14, 0xffff, v14
	v_and_b32_e32 v64, 7, v14
	v_ffbh_u32_e32 v67, v64
	v_min_u32_e32 v67, 32, v67
	v_subrev_u32_e32 v68, 28, v67
	v_bfe_u32 v66, v14, 3, 4
	v_lshlrev_b32_e32 v14, v68, v14
	v_sub_u32_e32 v67, 29, v67
	v_and_b32_e32 v14, 7, v14
	v_cmp_eq_u32_e32 vcc, 0, v66
	v_cndmask_b32_e32 v66, v66, v67, vcc
	v_cndmask_b32_e32 v14, v64, v14, vcc
	v_lshlrev_b32_e32 v14, 20, v14
	v_and_b32_e32 v15, 0x80000000, v15
	v_lshl_add_u32 v64, v66, 23, v30
	v_or3_b32 v64, v15, v64, v14
.LBB94_583:                             ;   in Loop: Header=BB94_17 Depth=1
	s_or_b64 exec, exec, s[50:51]
.LBB94_584:                             ;   in Loop: Header=BB94_17 Depth=1
	s_or_b64 exec, exec, s[46:47]
	s_andn2_b64 s[44:45], s[44:45], exec
	s_andn2_b64 s[40:41], s[40:41], exec
	s_or_b64 s[38:39], s[38:39], exec
.LBB94_585:                             ;   in Loop: Header=BB94_17 Depth=1
	s_or_b64 exec, exec, s[42:43]
	s_and_b64 s[42:43], s[44:45], exec
	s_and_b64 s[40:41], s[40:41], exec
	;; [unrolled: 1-line block ×3, first 2 shown]
                                        ; implicit-def: $vgpr14_vgpr15
.LBB94_586:                             ;   in Loop: Header=BB94_17 Depth=1
	s_andn2_saveexec_b64 s[36:37], s[36:37]
	s_cbranch_execz .LBB94_612
; %bb.587:                              ;   in Loop: Header=BB94_17 Depth=1
	v_cmp_gt_i16_sdwa vcc, v8, v31 src0_sel:BYTE_0 src1_sel:DWORD
	s_mov_b64 s[46:47], s[38:39]
                                        ; implicit-def: $vgpr64
	s_and_saveexec_b64 s[44:45], vcc
	s_xor_b64 s[44:45], exec, s[44:45]
	s_cbranch_execz .LBB94_601
; %bb.588:                              ;   in Loop: Header=BB94_17 Depth=1
	v_cmp_gt_i16_sdwa vcc, v8, v32 src0_sel:BYTE_0 src1_sel:DWORD
                                        ; implicit-def: $vgpr64
	s_and_saveexec_b64 s[46:47], vcc
	s_xor_b64 s[46:47], exec, s[46:47]
	s_cbranch_execz .LBB94_598
; %bb.589:                              ;   in Loop: Header=BB94_17 Depth=1
	v_cmp_gt_i16_sdwa vcc, v8, v33 src0_sel:BYTE_0 src1_sel:DWORD
                                        ; implicit-def: $vgpr64
	s_and_saveexec_b64 s[48:49], vcc
	s_xor_b64 s[48:49], exec, s[48:49]
	s_cbranch_execz .LBB94_595
; %bb.590:                              ;   in Loop: Header=BB94_17 Depth=1
	flat_load_ubyte v14, v[14:15]
	s_movk_i32 vcc_lo, 0x7f
	s_mov_b64 s[50:51], 0
                                        ; implicit-def: $sgpr56
	s_waitcnt vmcnt(0) lgkmcnt(0)
	v_cmp_lt_i16_e32 vcc, vcc_lo, v14
	s_and_saveexec_b64 s[52:53], vcc
	s_xor_b64 s[52:53], exec, s[52:53]
	s_cbranch_execnz .LBB94_1657
; %bb.591:                              ;   in Loop: Header=BB94_17 Depth=1
	s_or_saveexec_b64 s[52:53], s[52:53]
	v_mov_b32_e32 v64, s56
	s_xor_b64 exec, exec, s[52:53]
	s_cbranch_execnz .LBB94_1660
.LBB94_592:                             ;   in Loop: Header=BB94_17 Depth=1
	s_or_b64 exec, exec, s[52:53]
	s_and_saveexec_b64 s[52:53], s[50:51]
	s_cbranch_execz .LBB94_594
.LBB94_593:                             ;   in Loop: Header=BB94_17 Depth=1
	v_lshlrev_b32_e32 v15, 24, v14
	v_and_b32_e32 v14, 0xffff, v14
	v_and_b32_e32 v64, 3, v14
	v_ffbh_u32_e32 v67, v64
	v_min_u32_e32 v67, 32, v67
	v_subrev_u32_e32 v68, 29, v67
	v_bfe_u32 v66, v14, 2, 5
	v_lshlrev_b32_e32 v14, v68, v14
	v_sub_u32_e32 v67, 30, v67
	v_and_b32_e32 v14, 3, v14
	v_cmp_eq_u32_e32 vcc, 0, v66
	v_cndmask_b32_e32 v66, v66, v67, vcc
	v_cndmask_b32_e32 v14, v64, v14, vcc
	v_lshlrev_b32_e32 v14, 21, v14
	v_and_b32_e32 v15, 0x80000000, v15
	v_lshl_add_u32 v64, v66, 23, v34
	v_or3_b32 v64, v15, v64, v14
.LBB94_594:                             ;   in Loop: Header=BB94_17 Depth=1
	s_or_b64 exec, exec, s[52:53]
                                        ; implicit-def: $vgpr14_vgpr15
.LBB94_595:                             ;   in Loop: Header=BB94_17 Depth=1
	s_andn2_saveexec_b64 s[48:49], s[48:49]
	s_cbranch_execz .LBB94_597
; %bb.596:                              ;   in Loop: Header=BB94_17 Depth=1
	flat_load_ubyte v14, v[14:15]
	s_mov_b32 vcc_lo, 0x7f800000
	s_waitcnt vmcnt(0) lgkmcnt(0)
	v_lshlrev_b32_e32 v14, 24, v14
	v_and_b32_e32 v15, 0x7f000000, v14
	v_ffbh_u32_e32 v64, v15
	v_min_u32_e32 v64, 32, v64
	v_sub_u32_e64 v64, v64, 4 clamp
	v_lshlrev_b32_e32 v67, v64, v15
	v_lshlrev_b32_e32 v64, 23, v64
	v_lshrrev_b32_e32 v67, 4, v67
	v_add_u32_e32 v66, 0x1000000, v15
	v_sub_u32_e32 v64, v67, v64
	v_ashrrev_i32_e32 v66, 8, v66
	v_add_u32_e32 v64, 0x3c000000, v64
	v_and_or_b32 v64, v66, vcc_lo, v64
	v_cmp_ne_u32_e32 vcc, 0, v15
	v_cndmask_b32_e32 v15, 0, v64, vcc
	s_brev_b32 vcc_lo, 1
	v_and_or_b32 v64, v14, vcc_lo, v15
.LBB94_597:                             ;   in Loop: Header=BB94_17 Depth=1
	s_or_b64 exec, exec, s[48:49]
                                        ; implicit-def: $vgpr14_vgpr15
.LBB94_598:                             ;   in Loop: Header=BB94_17 Depth=1
	s_andn2_saveexec_b64 s[46:47], s[46:47]
	s_cbranch_execz .LBB94_600
; %bb.599:                              ;   in Loop: Header=BB94_17 Depth=1
	flat_load_ubyte v14, v[14:15]
	s_movk_i32 vcc_lo, 0x7f00
	s_waitcnt vmcnt(0) lgkmcnt(0)
	v_lshlrev_b16_e32 v15, 8, v14
	v_lshlrev_b32_e32 v14, 25, v14
	v_lshrrev_b32_e32 v64, 4, v14
	v_and_or_b32 v66, v15, vcc_lo, 0.5
	v_or_b32_e32 v64, 0x70000000, v64
	s_brev_b32 vcc_lo, 16
	v_add_f32_e32 v66, -0.5, v66
	v_mul_f32_e32 v64, 0x7800000, v64
	v_cmp_gt_u32_e32 vcc, vcc_lo, v14
	v_cndmask_b32_e32 v14, v64, v66, vcc
	v_bfe_i32 v15, v15, 0, 16
	s_brev_b32 vcc_lo, 1
	v_and_or_b32 v64, v15, vcc_lo, v14
.LBB94_600:                             ;   in Loop: Header=BB94_17 Depth=1
	s_or_b64 exec, exec, s[46:47]
	s_or_b64 s[46:47], s[38:39], exec
                                        ; implicit-def: $vgpr14_vgpr15
.LBB94_601:                             ;   in Loop: Header=BB94_17 Depth=1
	s_or_saveexec_b64 s[44:45], s[44:45]
                                        ; implicit-def: $vcc
                                        ; implicit-def: $sgpr52_sgpr53
	s_xor_b64 exec, exec, s[44:45]
	s_cbranch_execz .LBB94_611
; %bb.602:                              ;   in Loop: Header=BB94_17 Depth=1
	v_cmp_gt_i16_sdwa vcc, v8, v35 src0_sel:BYTE_0 src1_sel:DWORD
	s_mov_b64 s[50:51], s[46:47]
                                        ; implicit-def: $sgpr52_sgpr53
                                        ; implicit-def: $sgpr48_sgpr49
                                        ; implicit-def: $vgpr64
	s_and_saveexec_b64 s[54:55], vcc
	s_xor_b64 vcc, exec, s[54:55]
	s_cbranch_execz .LBB94_606
; %bb.603:                              ;   in Loop: Header=BB94_17 Depth=1
	v_cmp_eq_u16_sdwa s[52:53], v8, v36 src0_sel:BYTE_0 src1_sel:DWORD
	s_mov_b64 s[50:51], s[46:47]
                                        ; implicit-def: $vgpr64
	s_and_saveexec_b64 s[48:49], s[52:53]
	s_cbranch_execz .LBB94_605
; %bb.604:                              ;   in Loop: Header=BB94_17 Depth=1
	flat_load_ushort v14, v[14:15]
	s_or_b64 s[50:51], s[46:47], exec
	s_waitcnt vmcnt(0) lgkmcnt(0)
	v_lshlrev_b32_e32 v64, 16, v14
.LBB94_605:                             ;   in Loop: Header=BB94_17 Depth=1
	s_or_b64 exec, exec, s[48:49]
	s_andn2_b64 s[54:55], s[46:47], exec
	s_and_b64 s[50:51], s[50:51], exec
	s_mov_b64 s[48:49], 0
	s_mov_b64 s[52:53], -1
	s_or_b64 s[50:51], s[54:55], s[50:51]
                                        ; implicit-def: $vgpr14_vgpr15
.LBB94_606:                             ;   in Loop: Header=BB94_17 Depth=1
	s_andn2_saveexec_b64 s[54:55], vcc
	s_cbranch_execz .LBB94_610
; %bb.607:                              ;   in Loop: Header=BB94_17 Depth=1
	v_cmp_eq_u16_sdwa s[58:59], v8, v37 src0_sel:BYTE_0 src1_sel:DWORD
	s_mov_b64 vcc, s[50:51]
                                        ; implicit-def: $vgpr64
	s_and_saveexec_b64 s[56:57], s[58:59]
	s_cbranch_execz .LBB94_609
; %bb.608:                              ;   in Loop: Header=BB94_17 Depth=1
	flat_load_ubyte v14, v[14:15]
	s_waitcnt vmcnt(0) lgkmcnt(0)
	v_cmp_ne_u16_e32 vcc, 0, v14
	v_cndmask_b32_e64 v64, 0, 1.0, vcc
	s_or_b64 vcc, s[50:51], exec
.LBB94_609:                             ;   in Loop: Header=BB94_17 Depth=1
	s_or_b64 exec, exec, s[56:57]
	s_andn2_b64 s[50:51], s[50:51], exec
	s_and_b64 vcc, vcc, exec
	s_or_b64 s[52:53], s[52:53], exec
	s_andn2_b64 s[48:49], s[48:49], exec
	s_or_b64 s[50:51], s[50:51], vcc
.LBB94_610:                             ;   in Loop: Header=BB94_17 Depth=1
	s_or_b64 exec, exec, s[54:55]
	s_and_b64 vcc, s[48:49], exec
	s_andn2_b64 s[46:47], s[46:47], exec
	s_and_b64 s[48:49], s[50:51], exec
	s_and_b64 s[52:53], s[52:53], exec
	s_or_b64 s[46:47], s[46:47], s[48:49]
.LBB94_611:                             ;   in Loop: Header=BB94_17 Depth=1
	s_or_b64 exec, exec, s[44:45]
	s_andn2_b64 s[40:41], s[40:41], exec
	s_and_b64 vcc, vcc, exec
	s_andn2_b64 s[42:43], s[42:43], exec
	s_and_b64 s[44:45], s[52:53], exec
	s_or_b64 s[40:41], s[40:41], vcc
	s_andn2_b64 vcc, s[38:39], exec
	s_and_b64 s[38:39], s[46:47], exec
	s_or_b64 s[42:43], s[42:43], s[44:45]
	s_or_b64 s[38:39], vcc, s[38:39]
.LBB94_612:                             ;   in Loop: Header=BB94_17 Depth=1
	s_or_b64 exec, exec, s[36:37]
	s_and_b64 s[36:37], s[42:43], exec
	s_and_b64 vcc, s[40:41], exec
	s_and_b64 s[38:39], s[38:39], exec
                                        ; implicit-def: $vgpr14_vgpr15
	s_andn2_saveexec_b64 s[34:35], s[34:35]
	s_cbranch_execz .LBB94_545
.LBB94_613:                             ;   in Loop: Header=BB94_17 Depth=1
	v_cmp_gt_i16_sdwa s[40:41], v8, v38 src0_sel:BYTE_0 src1_sel:DWORD
                                        ; implicit-def: $vgpr64
	s_and_saveexec_b64 s[42:43], s[40:41]
	s_xor_b64 s[40:41], exec, s[42:43]
	s_cbranch_execz .LBB94_635
; %bb.614:                              ;   in Loop: Header=BB94_17 Depth=1
	v_cmp_gt_i16_sdwa s[42:43], v8, v39 src0_sel:BYTE_0 src1_sel:DWORD
                                        ; implicit-def: $vgpr64
	s_and_saveexec_b64 s[44:45], s[42:43]
	s_xor_b64 s[42:43], exec, s[44:45]
	s_cbranch_execz .LBB94_624
; %bb.615:                              ;   in Loop: Header=BB94_17 Depth=1
	;; [unrolled: 6-line block ×4, first 2 shown]
	flat_load_dwordx2 v[14:15], v[14:15]
	s_waitcnt vmcnt(0) lgkmcnt(0)
	v_cvt_f32_f64_e32 v64, v[14:15]
                                        ; implicit-def: $vgpr14_vgpr15
.LBB94_618:                             ;   in Loop: Header=BB94_17 Depth=1
	s_andn2_saveexec_b64 s[46:47], s[46:47]
	s_cbranch_execz .LBB94_620
; %bb.619:                              ;   in Loop: Header=BB94_17 Depth=1
	flat_load_dword v64, v[14:15]
.LBB94_620:                             ;   in Loop: Header=BB94_17 Depth=1
	s_or_b64 exec, exec, s[46:47]
                                        ; implicit-def: $vgpr14_vgpr15
.LBB94_621:                             ;   in Loop: Header=BB94_17 Depth=1
	s_andn2_saveexec_b64 s[44:45], s[44:45]
	s_cbranch_execz .LBB94_623
; %bb.622:                              ;   in Loop: Header=BB94_17 Depth=1
	flat_load_dword v14, v[14:15]
	s_waitcnt vmcnt(0) lgkmcnt(0)
	v_cvt_f32_f16_e32 v64, v14
.LBB94_623:                             ;   in Loop: Header=BB94_17 Depth=1
	s_or_b64 exec, exec, s[44:45]
                                        ; implicit-def: $vgpr14_vgpr15
.LBB94_624:                             ;   in Loop: Header=BB94_17 Depth=1
	s_andn2_saveexec_b64 s[42:43], s[42:43]
	s_cbranch_execz .LBB94_634
; %bb.625:                              ;   in Loop: Header=BB94_17 Depth=1
	v_cmp_gt_i16_sdwa s[44:45], v8, v50 src0_sel:BYTE_0 src1_sel:DWORD
                                        ; implicit-def: $vgpr64
	s_and_saveexec_b64 s[46:47], s[44:45]
	s_xor_b64 s[44:45], exec, s[46:47]
	s_cbranch_execz .LBB94_631
; %bb.626:                              ;   in Loop: Header=BB94_17 Depth=1
	v_cmp_gt_i16_sdwa s[46:47], v8, v51 src0_sel:BYTE_0 src1_sel:DWORD
                                        ; implicit-def: $vgpr64
	s_and_saveexec_b64 s[48:49], s[46:47]
	s_xor_b64 s[46:47], exec, s[48:49]
	s_cbranch_execz .LBB94_628
; %bb.627:                              ;   in Loop: Header=BB94_17 Depth=1
	flat_load_dwordx2 v[14:15], v[14:15]
	s_waitcnt vmcnt(0) lgkmcnt(0)
	v_cvt_f32_f64_e32 v64, v[14:15]
                                        ; implicit-def: $vgpr14_vgpr15
.LBB94_628:                             ;   in Loop: Header=BB94_17 Depth=1
	s_andn2_saveexec_b64 s[46:47], s[46:47]
	s_cbranch_execz .LBB94_630
; %bb.629:                              ;   in Loop: Header=BB94_17 Depth=1
	s_waitcnt vmcnt(0) lgkmcnt(0)
	flat_load_dword v64, v[14:15]
.LBB94_630:                             ;   in Loop: Header=BB94_17 Depth=1
	s_or_b64 exec, exec, s[46:47]
                                        ; implicit-def: $vgpr14_vgpr15
.LBB94_631:                             ;   in Loop: Header=BB94_17 Depth=1
	s_andn2_saveexec_b64 s[44:45], s[44:45]
	s_cbranch_execz .LBB94_633
; %bb.632:                              ;   in Loop: Header=BB94_17 Depth=1
	flat_load_ushort v14, v[14:15]
	s_waitcnt vmcnt(0) lgkmcnt(0)
	v_cvt_f32_f16_e32 v64, v14
.LBB94_633:                             ;   in Loop: Header=BB94_17 Depth=1
	s_or_b64 exec, exec, s[44:45]
.LBB94_634:                             ;   in Loop: Header=BB94_17 Depth=1
	s_or_b64 exec, exec, s[42:43]
                                        ; implicit-def: $vgpr14_vgpr15
.LBB94_635:                             ;   in Loop: Header=BB94_17 Depth=1
	s_andn2_saveexec_b64 s[40:41], s[40:41]
	s_cbranch_execz .LBB94_653
; %bb.636:                              ;   in Loop: Header=BB94_17 Depth=1
	v_cmp_gt_i16_sdwa s[42:43], v8, v52 src0_sel:BYTE_0 src1_sel:DWORD
                                        ; implicit-def: $vgpr64
	s_and_saveexec_b64 s[44:45], s[42:43]
	s_xor_b64 s[42:43], exec, s[44:45]
	s_cbranch_execz .LBB94_646
; %bb.637:                              ;   in Loop: Header=BB94_17 Depth=1
	v_cmp_gt_i16_sdwa s[44:45], v8, v53 src0_sel:BYTE_0 src1_sel:DWORD
                                        ; implicit-def: $vgpr64
	s_and_saveexec_b64 s[46:47], s[44:45]
	s_xor_b64 s[44:45], exec, s[46:47]
	;; [unrolled: 6-line block ×3, first 2 shown]
	s_cbranch_execz .LBB94_640
; %bb.639:                              ;   in Loop: Header=BB94_17 Depth=1
	flat_load_dwordx2 v[14:15], v[14:15]
	s_waitcnt vmcnt(0) lgkmcnt(0)
	v_xor_b32_e32 v66, v14, v15
	v_ffbh_i32_e32 v64, v15
	v_ashrrev_i32_e32 v66, 31, v66
	v_add_u32_e32 v64, -1, v64
	v_add_u32_e32 v66, 32, v66
	v_min_u32_e32 v64, v64, v66
	v_lshlrev_b64 v[14:15], v64, v[14:15]
	v_min_u32_e32 v14, 1, v14
	v_or_b32_e32 v14, v15, v14
	v_cvt_f32_i32_e32 v14, v14
	v_sub_u32_e32 v15, 32, v64
	v_ldexp_f32 v64, v14, v15
                                        ; implicit-def: $vgpr14_vgpr15
.LBB94_640:                             ;   in Loop: Header=BB94_17 Depth=1
	s_andn2_saveexec_b64 s[46:47], s[46:47]
	s_cbranch_execz .LBB94_642
; %bb.641:                              ;   in Loop: Header=BB94_17 Depth=1
	flat_load_dword v14, v[14:15]
	s_waitcnt vmcnt(0) lgkmcnt(0)
	v_cvt_f32_i32_e32 v64, v14
.LBB94_642:                             ;   in Loop: Header=BB94_17 Depth=1
	s_or_b64 exec, exec, s[46:47]
                                        ; implicit-def: $vgpr14_vgpr15
.LBB94_643:                             ;   in Loop: Header=BB94_17 Depth=1
	s_andn2_saveexec_b64 s[44:45], s[44:45]
	s_cbranch_execz .LBB94_645
; %bb.644:                              ;   in Loop: Header=BB94_17 Depth=1
	flat_load_sshort v14, v[14:15]
	s_waitcnt vmcnt(0) lgkmcnt(0)
	v_cvt_f32_i32_e32 v64, v14
.LBB94_645:                             ;   in Loop: Header=BB94_17 Depth=1
	s_or_b64 exec, exec, s[44:45]
                                        ; implicit-def: $vgpr14_vgpr15
.LBB94_646:                             ;   in Loop: Header=BB94_17 Depth=1
	s_andn2_saveexec_b64 s[42:43], s[42:43]
	s_cbranch_execz .LBB94_652
; %bb.647:                              ;   in Loop: Header=BB94_17 Depth=1
	v_cmp_gt_i16_sdwa s[44:45], v8, v16 src0_sel:BYTE_0 src1_sel:DWORD
                                        ; implicit-def: $vgpr64
	s_and_saveexec_b64 s[46:47], s[44:45]
	s_xor_b64 s[44:45], exec, s[46:47]
	s_cbranch_execz .LBB94_649
; %bb.648:                              ;   in Loop: Header=BB94_17 Depth=1
	flat_load_sbyte v14, v[14:15]
	s_waitcnt vmcnt(0) lgkmcnt(0)
	v_cvt_f32_i32_e32 v64, v14
                                        ; implicit-def: $vgpr14_vgpr15
.LBB94_649:                             ;   in Loop: Header=BB94_17 Depth=1
	s_andn2_saveexec_b64 s[44:45], s[44:45]
	s_cbranch_execz .LBB94_651
; %bb.650:                              ;   in Loop: Header=BB94_17 Depth=1
	flat_load_ubyte v14, v[14:15]
	s_waitcnt vmcnt(0) lgkmcnt(0)
	v_cvt_f32_ubyte0_e32 v64, v14
.LBB94_651:                             ;   in Loop: Header=BB94_17 Depth=1
	s_or_b64 exec, exec, s[44:45]
.LBB94_652:                             ;   in Loop: Header=BB94_17 Depth=1
	s_or_b64 exec, exec, s[42:43]
.LBB94_653:                             ;   in Loop: Header=BB94_17 Depth=1
	s_or_b64 exec, exec, s[40:41]
	s_andn2_b64 s[36:37], s[36:37], exec
	s_andn2_b64 vcc, vcc, exec
	s_or_b64 s[38:39], s[38:39], exec
	s_or_b64 exec, exec, s[34:35]
	s_mov_b64 s[34:35], 0
	s_and_saveexec_b64 s[40:41], s[38:39]
	s_cbranch_execnz .LBB94_546
	s_branch .LBB94_547
.LBB94_654:                             ;   in Loop: Header=BB94_17 Depth=1
	v_cmp_gt_i16_sdwa s[28:29], v7, v19 src0_sel:BYTE_0 src1_sel:DWORD
	s_mov_b64 s[40:41], 0
                                        ; implicit-def: $sgpr42_sgpr43
                                        ; implicit-def: $sgpr30_sgpr31
                                        ; implicit-def: $vgpr66
	s_and_saveexec_b64 vcc, s[28:29]
	s_xor_b64 s[28:29], exec, vcc
	s_cbranch_execz .LBB94_686
; %bb.655:                              ;   in Loop: Header=BB94_17 Depth=1
	v_cmp_gt_i16_sdwa vcc, v7, v20 src0_sel:BYTE_0 src1_sel:DWORD
                                        ; implicit-def: $sgpr42_sgpr43
                                        ; implicit-def: $sgpr44_sgpr45
                                        ; implicit-def: $vgpr66
	s_and_saveexec_b64 s[30:31], vcc
	s_xor_b64 s[30:31], exec, s[30:31]
	s_cbranch_execz .LBB94_671
; %bb.656:                              ;   in Loop: Header=BB94_17 Depth=1
	v_cmp_gt_i16_sdwa s[40:41], v7, v21 src0_sel:BYTE_0 src1_sel:DWORD
	s_mov_b64 s[46:47], 0
                                        ; implicit-def: $vcc
                                        ; implicit-def: $sgpr42_sgpr43
                                        ; implicit-def: $vgpr66
	s_and_saveexec_b64 s[44:45], s[40:41]
	s_xor_b64 s[40:41], exec, s[44:45]
	s_cbranch_execz .LBB94_666
; %bb.657:                              ;   in Loop: Header=BB94_17 Depth=1
	v_cmp_gt_i16_sdwa vcc, v7, v22 src0_sel:BYTE_0 src1_sel:DWORD
	s_mov_b64 s[44:45], 0
                                        ; implicit-def: $sgpr42_sgpr43
                                        ; implicit-def: $sgpr46_sgpr47
                                        ; implicit-def: $vgpr66
	s_and_saveexec_b64 s[48:49], vcc
	s_xor_b64 vcc, exec, s[48:49]
	s_cbranch_execz .LBB94_661
; %bb.658:                              ;   in Loop: Header=BB94_17 Depth=1
	v_cmp_eq_u16_sdwa s[48:49], v7, v23 src0_sel:BYTE_0 src1_sel:DWORD
	s_mov_b64 s[42:43], 0
                                        ; implicit-def: $vgpr66
	s_and_saveexec_b64 s[46:47], s[48:49]
	s_cbranch_execz .LBB94_660
; %bb.659:                              ;   in Loop: Header=BB94_17 Depth=1
	flat_load_dword v14, v[14:15]
	s_mov_b64 s[44:45], exec
	s_waitcnt vmcnt(0) lgkmcnt(0)
	v_lshlrev_b32_e32 v66, 16, v14
.LBB94_660:                             ;   in Loop: Header=BB94_17 Depth=1
	s_or_b64 exec, exec, s[46:47]
	s_mov_b64 s[46:47], -1
	s_and_b64 s[44:45], s[44:45], exec
                                        ; implicit-def: $vgpr14_vgpr15
.LBB94_661:                             ;   in Loop: Header=BB94_17 Depth=1
	s_andn2_saveexec_b64 s[48:49], vcc
	s_cbranch_execz .LBB94_665
; %bb.662:                              ;   in Loop: Header=BB94_17 Depth=1
	v_cmp_eq_u16_sdwa s[52:53], v7, v24 src0_sel:BYTE_0 src1_sel:DWORD
	s_mov_b64 vcc, s[44:45]
                                        ; implicit-def: $vgpr66
	s_and_saveexec_b64 s[50:51], s[52:53]
	s_cbranch_execz .LBB94_664
; %bb.663:                              ;   in Loop: Header=BB94_17 Depth=1
	flat_load_ubyte v14, v[14:15]
	s_movk_i32 vcc_lo, 0xff
	s_waitcnt vmcnt(0) lgkmcnt(0)
	v_lshlrev_b32_e32 v15, 23, v14
	v_cmp_ne_u32_e32 vcc, vcc_lo, v14
	v_cndmask_b32_e32 v15, v25, v15, vcc
	v_cmp_ne_u32_e32 vcc, 0, v14
	v_cndmask_b32_e32 v66, v26, v15, vcc
	s_or_b64 vcc, s[44:45], exec
.LBB94_664:                             ;   in Loop: Header=BB94_17 Depth=1
	s_or_b64 exec, exec, s[50:51]
	s_andn2_b64 s[44:45], s[44:45], exec
	s_and_b64 vcc, vcc, exec
	s_andn2_b64 s[42:43], s[42:43], exec
	s_or_b64 s[46:47], s[46:47], exec
	s_or_b64 s[44:45], s[44:45], vcc
.LBB94_665:                             ;   in Loop: Header=BB94_17 Depth=1
	s_or_b64 exec, exec, s[48:49]
	s_and_b64 s[42:43], s[42:43], exec
	s_and_b64 vcc, s[46:47], exec
	s_and_b64 s[46:47], s[44:45], exec
                                        ; implicit-def: $vgpr14_vgpr15
.LBB94_666:                             ;   in Loop: Header=BB94_17 Depth=1
	s_andn2_saveexec_b64 s[40:41], s[40:41]
	s_cbranch_execz .LBB94_670
; %bb.667:                              ;   in Loop: Header=BB94_17 Depth=1
	v_cmp_eq_u16_sdwa s[50:51], v7, v27 src0_sel:BYTE_0 src1_sel:DWORD
	s_mov_b64 s[48:49], s[46:47]
                                        ; implicit-def: $vgpr66
	s_and_saveexec_b64 s[44:45], s[50:51]
	s_cbranch_execz .LBB94_669
; %bb.668:                              ;   in Loop: Header=BB94_17 Depth=1
	flat_load_dwordx2 v[14:15], v[14:15]
	s_or_b64 s[48:49], s[46:47], exec
	s_waitcnt vmcnt(0) lgkmcnt(0)
	v_ffbh_u32_e32 v65, v15
	v_min_u32_e32 v65, 32, v65
	v_lshlrev_b64 v[14:15], v65, v[14:15]
	v_min_u32_e32 v14, 1, v14
	v_or_b32_e32 v14, v15, v14
	v_cvt_f32_u32_e32 v14, v14
	v_sub_u32_e32 v15, 32, v65
	v_ldexp_f32 v66, v14, v15
.LBB94_669:                             ;   in Loop: Header=BB94_17 Depth=1
	s_or_b64 exec, exec, s[44:45]
	s_andn2_b64 s[44:45], s[46:47], exec
	s_and_b64 s[46:47], s[48:49], exec
	s_andn2_b64 s[42:43], s[42:43], exec
	s_or_b64 vcc, vcc, exec
	s_or_b64 s[46:47], s[44:45], s[46:47]
.LBB94_670:                             ;   in Loop: Header=BB94_17 Depth=1
	s_or_b64 exec, exec, s[40:41]
	s_and_b64 s[44:45], s[42:43], exec
	s_and_b64 s[42:43], vcc, exec
	s_and_b64 s[40:41], s[46:47], exec
                                        ; implicit-def: $vgpr14_vgpr15
.LBB94_671:                             ;   in Loop: Header=BB94_17 Depth=1
	s_andn2_saveexec_b64 s[30:31], s[30:31]
	s_cbranch_execz .LBB94_685
; %bb.672:                              ;   in Loop: Header=BB94_17 Depth=1
	v_cmp_gt_i16_sdwa vcc, v7, v28 src0_sel:BYTE_0 src1_sel:DWORD
                                        ; implicit-def: $vgpr66
	s_and_saveexec_b64 s[46:47], vcc
	s_xor_b64 vcc, exec, s[46:47]
	s_cbranch_execz .LBB94_678
; %bb.673:                              ;   in Loop: Header=BB94_17 Depth=1
	v_cmp_gt_i16_sdwa s[46:47], v7, v29 src0_sel:BYTE_0 src1_sel:DWORD
                                        ; implicit-def: $vgpr66
	s_and_saveexec_b64 s[48:49], s[46:47]
	s_xor_b64 s[46:47], exec, s[48:49]
	s_cbranch_execz .LBB94_675
; %bb.674:                              ;   in Loop: Header=BB94_17 Depth=1
	flat_load_dword v14, v[14:15]
	s_waitcnt vmcnt(0) lgkmcnt(0)
	v_cvt_f32_u32_e32 v66, v14
                                        ; implicit-def: $vgpr14_vgpr15
.LBB94_675:                             ;   in Loop: Header=BB94_17 Depth=1
	s_andn2_saveexec_b64 s[46:47], s[46:47]
	s_cbranch_execz .LBB94_677
; %bb.676:                              ;   in Loop: Header=BB94_17 Depth=1
	flat_load_ushort v14, v[14:15]
	s_waitcnt vmcnt(0) lgkmcnt(0)
	v_cvt_f32_u32_e32 v66, v14
.LBB94_677:                             ;   in Loop: Header=BB94_17 Depth=1
	s_or_b64 exec, exec, s[46:47]
                                        ; implicit-def: $vgpr14_vgpr15
.LBB94_678:                             ;   in Loop: Header=BB94_17 Depth=1
	s_andn2_saveexec_b64 s[46:47], vcc
	s_cbranch_execz .LBB94_684
; %bb.679:                              ;   in Loop: Header=BB94_17 Depth=1
	flat_load_ubyte v14, v[14:15]
	s_movk_i32 vcc_lo, 0x7f
	s_mov_b64 s[48:49], 0
                                        ; implicit-def: $sgpr54
	s_waitcnt vmcnt(0) lgkmcnt(0)
	v_cmp_lt_i16_e32 vcc, vcc_lo, v14
	s_and_saveexec_b64 s[50:51], vcc
	s_xor_b64 s[50:51], exec, s[50:51]
	s_cbranch_execnz .LBB94_1442
; %bb.680:                              ;   in Loop: Header=BB94_17 Depth=1
	s_or_saveexec_b64 s[50:51], s[50:51]
	v_mov_b32_e32 v66, s54
	s_xor_b64 exec, exec, s[50:51]
	s_cbranch_execnz .LBB94_1445
.LBB94_681:                             ;   in Loop: Header=BB94_17 Depth=1
	s_or_b64 exec, exec, s[50:51]
	s_and_saveexec_b64 s[50:51], s[48:49]
	s_cbranch_execz .LBB94_683
.LBB94_682:                             ;   in Loop: Header=BB94_17 Depth=1
	v_lshlrev_b32_e32 v15, 24, v14
	v_and_b32_e32 v14, 0xffff, v14
	v_and_b32_e32 v65, 7, v14
	v_ffbh_u32_e32 v67, v65
	v_min_u32_e32 v67, 32, v67
	v_subrev_u32_e32 v68, 28, v67
	v_bfe_u32 v66, v14, 3, 4
	v_lshlrev_b32_e32 v14, v68, v14
	v_sub_u32_e32 v67, 29, v67
	v_and_b32_e32 v14, 7, v14
	v_cmp_eq_u32_e32 vcc, 0, v66
	v_cndmask_b32_e32 v66, v66, v67, vcc
	v_cndmask_b32_e32 v14, v65, v14, vcc
	v_lshlrev_b32_e32 v14, 20, v14
	v_and_b32_e32 v15, 0x80000000, v15
	v_lshl_add_u32 v65, v66, 23, v30
	v_or3_b32 v66, v15, v65, v14
.LBB94_683:                             ;   in Loop: Header=BB94_17 Depth=1
	s_or_b64 exec, exec, s[50:51]
.LBB94_684:                             ;   in Loop: Header=BB94_17 Depth=1
	s_or_b64 exec, exec, s[46:47]
	s_andn2_b64 s[44:45], s[44:45], exec
	s_andn2_b64 s[42:43], s[42:43], exec
	s_or_b64 s[40:41], s[40:41], exec
.LBB94_685:                             ;   in Loop: Header=BB94_17 Depth=1
	s_or_b64 exec, exec, s[30:31]
	s_and_b64 s[30:31], s[44:45], exec
	s_and_b64 s[42:43], s[42:43], exec
	;; [unrolled: 1-line block ×3, first 2 shown]
                                        ; implicit-def: $vgpr14_vgpr15
.LBB94_686:                             ;   in Loop: Header=BB94_17 Depth=1
	s_andn2_saveexec_b64 s[28:29], s[28:29]
	s_cbranch_execz .LBB94_712
; %bb.687:                              ;   in Loop: Header=BB94_17 Depth=1
	v_cmp_gt_i16_sdwa vcc, v7, v31 src0_sel:BYTE_0 src1_sel:DWORD
	s_mov_b64 s[46:47], s[40:41]
                                        ; implicit-def: $vgpr66
	s_and_saveexec_b64 s[44:45], vcc
	s_xor_b64 s[44:45], exec, s[44:45]
	s_cbranch_execz .LBB94_701
; %bb.688:                              ;   in Loop: Header=BB94_17 Depth=1
	v_cmp_gt_i16_sdwa vcc, v7, v32 src0_sel:BYTE_0 src1_sel:DWORD
                                        ; implicit-def: $vgpr66
	s_and_saveexec_b64 s[46:47], vcc
	s_xor_b64 s[46:47], exec, s[46:47]
	s_cbranch_execz .LBB94_698
; %bb.689:                              ;   in Loop: Header=BB94_17 Depth=1
	v_cmp_gt_i16_sdwa vcc, v7, v33 src0_sel:BYTE_0 src1_sel:DWORD
                                        ; implicit-def: $vgpr66
	s_and_saveexec_b64 s[48:49], vcc
	s_xor_b64 s[48:49], exec, s[48:49]
	s_cbranch_execz .LBB94_695
; %bb.690:                              ;   in Loop: Header=BB94_17 Depth=1
	flat_load_ubyte v14, v[14:15]
	s_movk_i32 vcc_lo, 0x7f
	s_mov_b64 s[50:51], 0
                                        ; implicit-def: $sgpr56
	s_waitcnt vmcnt(0) lgkmcnt(0)
	v_cmp_lt_i16_e32 vcc, vcc_lo, v14
	s_and_saveexec_b64 s[52:53], vcc
	s_xor_b64 s[52:53], exec, s[52:53]
	s_cbranch_execnz .LBB94_1661
; %bb.691:                              ;   in Loop: Header=BB94_17 Depth=1
	s_or_saveexec_b64 s[52:53], s[52:53]
	v_mov_b32_e32 v66, s56
	s_xor_b64 exec, exec, s[52:53]
	s_cbranch_execnz .LBB94_1664
.LBB94_692:                             ;   in Loop: Header=BB94_17 Depth=1
	s_or_b64 exec, exec, s[52:53]
	s_and_saveexec_b64 s[52:53], s[50:51]
	s_cbranch_execz .LBB94_694
.LBB94_693:                             ;   in Loop: Header=BB94_17 Depth=1
	v_lshlrev_b32_e32 v15, 24, v14
	v_and_b32_e32 v14, 0xffff, v14
	v_and_b32_e32 v65, 3, v14
	v_ffbh_u32_e32 v67, v65
	v_min_u32_e32 v67, 32, v67
	v_subrev_u32_e32 v68, 29, v67
	v_bfe_u32 v66, v14, 2, 5
	v_lshlrev_b32_e32 v14, v68, v14
	v_sub_u32_e32 v67, 30, v67
	v_and_b32_e32 v14, 3, v14
	v_cmp_eq_u32_e32 vcc, 0, v66
	v_cndmask_b32_e32 v66, v66, v67, vcc
	v_cndmask_b32_e32 v14, v65, v14, vcc
	v_lshlrev_b32_e32 v14, 21, v14
	v_and_b32_e32 v15, 0x80000000, v15
	v_lshl_add_u32 v65, v66, 23, v34
	v_or3_b32 v66, v15, v65, v14
.LBB94_694:                             ;   in Loop: Header=BB94_17 Depth=1
	s_or_b64 exec, exec, s[52:53]
                                        ; implicit-def: $vgpr14_vgpr15
.LBB94_695:                             ;   in Loop: Header=BB94_17 Depth=1
	s_andn2_saveexec_b64 s[48:49], s[48:49]
	s_cbranch_execz .LBB94_697
; %bb.696:                              ;   in Loop: Header=BB94_17 Depth=1
	flat_load_ubyte v14, v[14:15]
	s_mov_b32 vcc_lo, 0x7f800000
	s_waitcnt vmcnt(0) lgkmcnt(0)
	v_lshlrev_b32_e32 v14, 24, v14
	v_and_b32_e32 v15, 0x7f000000, v14
	v_ffbh_u32_e32 v65, v15
	v_min_u32_e32 v65, 32, v65
	v_sub_u32_e64 v65, v65, 4 clamp
	v_lshlrev_b32_e32 v67, v65, v15
	v_lshlrev_b32_e32 v65, 23, v65
	v_lshrrev_b32_e32 v67, 4, v67
	v_add_u32_e32 v66, 0x1000000, v15
	v_sub_u32_e32 v65, v67, v65
	v_ashrrev_i32_e32 v66, 8, v66
	v_add_u32_e32 v65, 0x3c000000, v65
	v_and_or_b32 v65, v66, vcc_lo, v65
	v_cmp_ne_u32_e32 vcc, 0, v15
	v_cndmask_b32_e32 v15, 0, v65, vcc
	s_brev_b32 vcc_lo, 1
	v_and_or_b32 v66, v14, vcc_lo, v15
.LBB94_697:                             ;   in Loop: Header=BB94_17 Depth=1
	s_or_b64 exec, exec, s[48:49]
                                        ; implicit-def: $vgpr14_vgpr15
.LBB94_698:                             ;   in Loop: Header=BB94_17 Depth=1
	s_andn2_saveexec_b64 s[46:47], s[46:47]
	s_cbranch_execz .LBB94_700
; %bb.699:                              ;   in Loop: Header=BB94_17 Depth=1
	flat_load_ubyte v14, v[14:15]
	s_movk_i32 vcc_lo, 0x7f00
	s_waitcnt vmcnt(0) lgkmcnt(0)
	v_lshlrev_b16_e32 v15, 8, v14
	v_lshlrev_b32_e32 v14, 25, v14
	v_lshrrev_b32_e32 v65, 4, v14
	v_and_or_b32 v66, v15, vcc_lo, 0.5
	v_or_b32_e32 v65, 0x70000000, v65
	s_brev_b32 vcc_lo, 16
	v_add_f32_e32 v66, -0.5, v66
	v_mul_f32_e32 v65, 0x7800000, v65
	v_cmp_gt_u32_e32 vcc, vcc_lo, v14
	v_cndmask_b32_e32 v14, v65, v66, vcc
	v_bfe_i32 v15, v15, 0, 16
	s_brev_b32 vcc_lo, 1
	v_and_or_b32 v66, v15, vcc_lo, v14
.LBB94_700:                             ;   in Loop: Header=BB94_17 Depth=1
	s_or_b64 exec, exec, s[46:47]
	s_or_b64 s[46:47], s[40:41], exec
                                        ; implicit-def: $vgpr14_vgpr15
.LBB94_701:                             ;   in Loop: Header=BB94_17 Depth=1
	s_or_saveexec_b64 s[44:45], s[44:45]
                                        ; implicit-def: $vcc
                                        ; implicit-def: $sgpr52_sgpr53
	s_xor_b64 exec, exec, s[44:45]
	s_cbranch_execz .LBB94_711
; %bb.702:                              ;   in Loop: Header=BB94_17 Depth=1
	v_cmp_gt_i16_sdwa vcc, v7, v35 src0_sel:BYTE_0 src1_sel:DWORD
	s_mov_b64 s[50:51], s[46:47]
                                        ; implicit-def: $sgpr52_sgpr53
                                        ; implicit-def: $sgpr48_sgpr49
                                        ; implicit-def: $vgpr66
	s_and_saveexec_b64 s[54:55], vcc
	s_xor_b64 vcc, exec, s[54:55]
	s_cbranch_execz .LBB94_706
; %bb.703:                              ;   in Loop: Header=BB94_17 Depth=1
	v_cmp_eq_u16_sdwa s[52:53], v7, v36 src0_sel:BYTE_0 src1_sel:DWORD
	s_mov_b64 s[50:51], s[46:47]
                                        ; implicit-def: $vgpr66
	s_and_saveexec_b64 s[48:49], s[52:53]
	s_cbranch_execz .LBB94_705
; %bb.704:                              ;   in Loop: Header=BB94_17 Depth=1
	flat_load_ushort v14, v[14:15]
	s_or_b64 s[50:51], s[46:47], exec
	s_waitcnt vmcnt(0) lgkmcnt(0)
	v_lshlrev_b32_e32 v66, 16, v14
.LBB94_705:                             ;   in Loop: Header=BB94_17 Depth=1
	s_or_b64 exec, exec, s[48:49]
	s_andn2_b64 s[54:55], s[46:47], exec
	s_and_b64 s[50:51], s[50:51], exec
	s_mov_b64 s[48:49], -1
	s_mov_b64 s[52:53], 0
	s_or_b64 s[50:51], s[54:55], s[50:51]
                                        ; implicit-def: $vgpr14_vgpr15
.LBB94_706:                             ;   in Loop: Header=BB94_17 Depth=1
	s_andn2_saveexec_b64 s[54:55], vcc
	s_cbranch_execz .LBB94_710
; %bb.707:                              ;   in Loop: Header=BB94_17 Depth=1
	v_cmp_eq_u16_sdwa s[58:59], v7, v37 src0_sel:BYTE_0 src1_sel:DWORD
	s_mov_b64 vcc, s[50:51]
                                        ; implicit-def: $vgpr66
	s_and_saveexec_b64 s[56:57], s[58:59]
	s_cbranch_execz .LBB94_709
; %bb.708:                              ;   in Loop: Header=BB94_17 Depth=1
	flat_load_ubyte v14, v[14:15]
	s_waitcnt vmcnt(0) lgkmcnt(0)
	v_cmp_ne_u16_e32 vcc, 0, v14
	v_cndmask_b32_e64 v66, 0, 1.0, vcc
	s_or_b64 vcc, s[50:51], exec
.LBB94_709:                             ;   in Loop: Header=BB94_17 Depth=1
	s_or_b64 exec, exec, s[56:57]
	s_andn2_b64 s[50:51], s[50:51], exec
	s_and_b64 vcc, vcc, exec
	s_andn2_b64 s[52:53], s[52:53], exec
	s_or_b64 s[48:49], s[48:49], exec
	s_or_b64 s[50:51], s[50:51], vcc
.LBB94_710:                             ;   in Loop: Header=BB94_17 Depth=1
	s_or_b64 exec, exec, s[54:55]
	s_and_b64 vcc, s[48:49], exec
	s_andn2_b64 s[46:47], s[46:47], exec
	s_and_b64 s[48:49], s[50:51], exec
	s_and_b64 s[52:53], s[52:53], exec
	s_or_b64 s[46:47], s[46:47], s[48:49]
.LBB94_711:                             ;   in Loop: Header=BB94_17 Depth=1
	s_or_b64 exec, exec, s[44:45]
	s_andn2_b64 s[42:43], s[42:43], exec
	s_and_b64 vcc, vcc, exec
	s_andn2_b64 s[30:31], s[30:31], exec
	s_and_b64 s[44:45], s[52:53], exec
	s_or_b64 s[42:43], s[42:43], vcc
	s_andn2_b64 vcc, s[40:41], exec
	s_and_b64 s[40:41], s[46:47], exec
	s_or_b64 s[30:31], s[30:31], s[44:45]
	s_or_b64 s[40:41], vcc, s[40:41]
.LBB94_712:                             ;   in Loop: Header=BB94_17 Depth=1
	s_or_b64 exec, exec, s[28:29]
	s_and_b64 s[30:31], s[30:31], exec
	s_and_b64 s[28:29], s[42:43], exec
	s_and_b64 vcc, s[40:41], exec
                                        ; implicit-def: $vgpr14_vgpr15
	s_andn2_saveexec_b64 s[38:39], s[38:39]
	s_cbranch_execz .LBB94_553
.LBB94_713:                             ;   in Loop: Header=BB94_17 Depth=1
	v_cmp_gt_i16_sdwa s[40:41], v7, v38 src0_sel:BYTE_0 src1_sel:DWORD
                                        ; implicit-def: $vgpr66
	s_and_saveexec_b64 s[42:43], s[40:41]
	s_xor_b64 s[40:41], exec, s[42:43]
	s_cbranch_execz .LBB94_735
; %bb.714:                              ;   in Loop: Header=BB94_17 Depth=1
	v_cmp_gt_i16_sdwa s[42:43], v7, v39 src0_sel:BYTE_0 src1_sel:DWORD
                                        ; implicit-def: $vgpr66
	s_and_saveexec_b64 s[44:45], s[42:43]
	s_xor_b64 s[42:43], exec, s[44:45]
	s_cbranch_execz .LBB94_724
; %bb.715:                              ;   in Loop: Header=BB94_17 Depth=1
	;; [unrolled: 6-line block ×4, first 2 shown]
	flat_load_dwordx2 v[14:15], v[14:15]
	s_waitcnt vmcnt(0) lgkmcnt(0)
	v_cvt_f32_f64_e32 v66, v[14:15]
                                        ; implicit-def: $vgpr14_vgpr15
.LBB94_718:                             ;   in Loop: Header=BB94_17 Depth=1
	s_andn2_saveexec_b64 s[46:47], s[46:47]
	s_cbranch_execz .LBB94_720
; %bb.719:                              ;   in Loop: Header=BB94_17 Depth=1
	flat_load_dword v66, v[14:15]
.LBB94_720:                             ;   in Loop: Header=BB94_17 Depth=1
	s_or_b64 exec, exec, s[46:47]
                                        ; implicit-def: $vgpr14_vgpr15
.LBB94_721:                             ;   in Loop: Header=BB94_17 Depth=1
	s_andn2_saveexec_b64 s[44:45], s[44:45]
	s_cbranch_execz .LBB94_723
; %bb.722:                              ;   in Loop: Header=BB94_17 Depth=1
	flat_load_dword v14, v[14:15]
	s_waitcnt vmcnt(0) lgkmcnt(0)
	v_cvt_f32_f16_e32 v66, v14
.LBB94_723:                             ;   in Loop: Header=BB94_17 Depth=1
	s_or_b64 exec, exec, s[44:45]
                                        ; implicit-def: $vgpr14_vgpr15
.LBB94_724:                             ;   in Loop: Header=BB94_17 Depth=1
	s_andn2_saveexec_b64 s[42:43], s[42:43]
	s_cbranch_execz .LBB94_734
; %bb.725:                              ;   in Loop: Header=BB94_17 Depth=1
	v_cmp_gt_i16_sdwa s[44:45], v7, v50 src0_sel:BYTE_0 src1_sel:DWORD
                                        ; implicit-def: $vgpr66
	s_and_saveexec_b64 s[46:47], s[44:45]
	s_xor_b64 s[44:45], exec, s[46:47]
	s_cbranch_execz .LBB94_731
; %bb.726:                              ;   in Loop: Header=BB94_17 Depth=1
	v_cmp_gt_i16_sdwa s[46:47], v7, v51 src0_sel:BYTE_0 src1_sel:DWORD
                                        ; implicit-def: $vgpr66
	s_and_saveexec_b64 s[48:49], s[46:47]
	s_xor_b64 s[46:47], exec, s[48:49]
	s_cbranch_execz .LBB94_728
; %bb.727:                              ;   in Loop: Header=BB94_17 Depth=1
	flat_load_dwordx2 v[14:15], v[14:15]
	s_waitcnt vmcnt(0) lgkmcnt(0)
	v_cvt_f32_f64_e32 v66, v[14:15]
                                        ; implicit-def: $vgpr14_vgpr15
.LBB94_728:                             ;   in Loop: Header=BB94_17 Depth=1
	s_andn2_saveexec_b64 s[46:47], s[46:47]
	s_cbranch_execz .LBB94_730
; %bb.729:                              ;   in Loop: Header=BB94_17 Depth=1
	s_waitcnt vmcnt(0) lgkmcnt(0)
	flat_load_dword v66, v[14:15]
.LBB94_730:                             ;   in Loop: Header=BB94_17 Depth=1
	s_or_b64 exec, exec, s[46:47]
                                        ; implicit-def: $vgpr14_vgpr15
.LBB94_731:                             ;   in Loop: Header=BB94_17 Depth=1
	s_andn2_saveexec_b64 s[44:45], s[44:45]
	s_cbranch_execz .LBB94_733
; %bb.732:                              ;   in Loop: Header=BB94_17 Depth=1
	flat_load_ushort v14, v[14:15]
	s_waitcnt vmcnt(0) lgkmcnt(0)
	v_cvt_f32_f16_e32 v66, v14
.LBB94_733:                             ;   in Loop: Header=BB94_17 Depth=1
	s_or_b64 exec, exec, s[44:45]
.LBB94_734:                             ;   in Loop: Header=BB94_17 Depth=1
	s_or_b64 exec, exec, s[42:43]
                                        ; implicit-def: $vgpr14_vgpr15
.LBB94_735:                             ;   in Loop: Header=BB94_17 Depth=1
	s_andn2_saveexec_b64 s[40:41], s[40:41]
	s_cbranch_execz .LBB94_753
; %bb.736:                              ;   in Loop: Header=BB94_17 Depth=1
	v_cmp_gt_i16_sdwa s[42:43], v7, v52 src0_sel:BYTE_0 src1_sel:DWORD
                                        ; implicit-def: $vgpr66
	s_and_saveexec_b64 s[44:45], s[42:43]
	s_xor_b64 s[42:43], exec, s[44:45]
	s_cbranch_execz .LBB94_746
; %bb.737:                              ;   in Loop: Header=BB94_17 Depth=1
	v_cmp_gt_i16_sdwa s[44:45], v7, v53 src0_sel:BYTE_0 src1_sel:DWORD
                                        ; implicit-def: $vgpr66
	s_and_saveexec_b64 s[46:47], s[44:45]
	s_xor_b64 s[44:45], exec, s[46:47]
	;; [unrolled: 6-line block ×3, first 2 shown]
	s_cbranch_execz .LBB94_740
; %bb.739:                              ;   in Loop: Header=BB94_17 Depth=1
	flat_load_dwordx2 v[14:15], v[14:15]
	s_waitcnt vmcnt(0) lgkmcnt(0)
	v_xor_b32_e32 v66, v14, v15
	v_ffbh_i32_e32 v65, v15
	v_ashrrev_i32_e32 v66, 31, v66
	v_add_u32_e32 v65, -1, v65
	v_add_u32_e32 v66, 32, v66
	v_min_u32_e32 v65, v65, v66
	v_lshlrev_b64 v[14:15], v65, v[14:15]
	v_min_u32_e32 v14, 1, v14
	v_or_b32_e32 v14, v15, v14
	v_cvt_f32_i32_e32 v14, v14
	v_sub_u32_e32 v15, 32, v65
	v_ldexp_f32 v66, v14, v15
                                        ; implicit-def: $vgpr14_vgpr15
.LBB94_740:                             ;   in Loop: Header=BB94_17 Depth=1
	s_andn2_saveexec_b64 s[46:47], s[46:47]
	s_cbranch_execz .LBB94_742
; %bb.741:                              ;   in Loop: Header=BB94_17 Depth=1
	flat_load_dword v14, v[14:15]
	s_waitcnt vmcnt(0) lgkmcnt(0)
	v_cvt_f32_i32_e32 v66, v14
.LBB94_742:                             ;   in Loop: Header=BB94_17 Depth=1
	s_or_b64 exec, exec, s[46:47]
                                        ; implicit-def: $vgpr14_vgpr15
.LBB94_743:                             ;   in Loop: Header=BB94_17 Depth=1
	s_andn2_saveexec_b64 s[44:45], s[44:45]
	s_cbranch_execz .LBB94_745
; %bb.744:                              ;   in Loop: Header=BB94_17 Depth=1
	flat_load_sshort v14, v[14:15]
	s_waitcnt vmcnt(0) lgkmcnt(0)
	v_cvt_f32_i32_e32 v66, v14
.LBB94_745:                             ;   in Loop: Header=BB94_17 Depth=1
	s_or_b64 exec, exec, s[44:45]
                                        ; implicit-def: $vgpr14_vgpr15
.LBB94_746:                             ;   in Loop: Header=BB94_17 Depth=1
	s_andn2_saveexec_b64 s[42:43], s[42:43]
	s_cbranch_execz .LBB94_752
; %bb.747:                              ;   in Loop: Header=BB94_17 Depth=1
	v_cmp_gt_i16_sdwa s[44:45], v7, v16 src0_sel:BYTE_0 src1_sel:DWORD
                                        ; implicit-def: $vgpr66
	s_and_saveexec_b64 s[46:47], s[44:45]
	s_xor_b64 s[44:45], exec, s[46:47]
	s_cbranch_execz .LBB94_749
; %bb.748:                              ;   in Loop: Header=BB94_17 Depth=1
	flat_load_sbyte v14, v[14:15]
	s_waitcnt vmcnt(0) lgkmcnt(0)
	v_cvt_f32_i32_e32 v66, v14
                                        ; implicit-def: $vgpr14_vgpr15
.LBB94_749:                             ;   in Loop: Header=BB94_17 Depth=1
	s_andn2_saveexec_b64 s[44:45], s[44:45]
	s_cbranch_execz .LBB94_751
; %bb.750:                              ;   in Loop: Header=BB94_17 Depth=1
	flat_load_ubyte v14, v[14:15]
	s_waitcnt vmcnt(0) lgkmcnt(0)
	v_cvt_f32_ubyte0_e32 v66, v14
.LBB94_751:                             ;   in Loop: Header=BB94_17 Depth=1
	s_or_b64 exec, exec, s[44:45]
.LBB94_752:                             ;   in Loop: Header=BB94_17 Depth=1
	s_or_b64 exec, exec, s[42:43]
.LBB94_753:                             ;   in Loop: Header=BB94_17 Depth=1
	s_or_b64 exec, exec, s[40:41]
	s_andn2_b64 s[30:31], s[30:31], exec
	s_andn2_b64 s[28:29], s[28:29], exec
	s_or_b64 vcc, vcc, exec
	s_or_b64 exec, exec, s[38:39]
	s_mov_b64 s[40:41], 0
	s_and_saveexec_b64 s[38:39], vcc
	s_cbranch_execz .LBB94_759
.LBB94_754:                             ;   in Loop: Header=BB94_17 Depth=1
	v_mul_lo_u32 v14, v64, v10
	v_readlane_b32 s40, v44, 0
	v_add_co_u32_e32 v14, vcc, v4, v14
	v_add_u32_e32 v65, s40, v17
	v_addc_co_u32_e32 v15, vcc, 0, v5, vcc
	v_cmp_gt_i16_sdwa s[40:41], v8, v18 src0_sel:BYTE_0 src1_sel:DWORD
	s_mov_b64 s[44:45], 0
	s_waitcnt vmcnt(0) lgkmcnt(0)
	buffer_store_dword v66, v65, s[0:3], 0 offen offset:28
                                        ; implicit-def: $vcc
                                        ; implicit-def: $sgpr42_sgpr43
                                        ; implicit-def: $vgpr64
	s_and_saveexec_b64 s[46:47], s[40:41]
	s_xor_b64 s[40:41], exec, s[46:47]
	s_cbranch_execnz .LBB94_769
; %bb.755:                              ;   in Loop: Header=BB94_17 Depth=1
	s_andn2_saveexec_b64 s[40:41], s[40:41]
	s_cbranch_execnz .LBB94_828
.LBB94_756:                             ;   in Loop: Header=BB94_17 Depth=1
	s_or_b64 exec, exec, s[40:41]
	s_mov_b64 s[40:41], 0
	s_and_saveexec_b64 s[46:47], s[44:45]
	s_cbranch_execz .LBB94_758
.LBB94_757:                             ;   in Loop: Header=BB94_17 Depth=1
	s_mov_b64 s[40:41], exec
	v_add_u32_e32 v55, 0x200, v55
	s_andn2_b64 s[42:43], s[42:43], exec
	s_andn2_b64 vcc, vcc, exec
	s_waitcnt vmcnt(0) lgkmcnt(0)
	buffer_store_dword v64, v65, s[0:3], 0 offen offset:24
.LBB94_758:                             ;   in Loop: Header=BB94_17 Depth=1
	s_or_b64 exec, exec, s[46:47]
	s_andn2_b64 s[30:31], s[30:31], exec
	s_and_b64 s[42:43], s[42:43], exec
	s_andn2_b64 s[28:29], s[28:29], exec
	s_and_b64 vcc, vcc, exec
	s_or_b64 s[30:31], s[30:31], s[42:43]
	s_or_b64 s[28:29], s[28:29], vcc
	s_and_b64 s[40:41], s[40:41], exec
.LBB94_759:                             ;   in Loop: Header=BB94_17 Depth=1
	s_or_b64 exec, exec, s[38:39]
	s_and_b64 s[30:31], s[30:31], exec
	s_and_b64 s[28:29], s[28:29], exec
	s_orn2_b64 s[38:39], s[40:41], exec
.LBB94_760:                             ;   in Loop: Header=BB94_17 Depth=1
	s_or_b64 exec, exec, s[34:35]
	s_and_saveexec_b64 s[34:35], s[38:39]
	s_cbranch_execz .LBB94_13
; %bb.761:                              ;   in Loop: Header=BB94_17 Depth=1
	v_cmp_lt_i32_e32 vcc, v55, v6
	s_mov_b64 s[42:43], -1
	s_mov_b64 s[44:45], -1
                                        ; implicit-def: $sgpr36_sgpr37
                                        ; implicit-def: $sgpr38_sgpr39
	s_and_saveexec_b64 s[40:41], vcc
	s_cbranch_execz .LBB94_975
; %bb.762:                              ;   in Loop: Header=BB94_17 Depth=1
	v_readlane_b32 vcc_lo, v44, 1
	s_waitcnt vmcnt(0) lgkmcnt(0)
	v_add_u32_e32 v64, vcc_lo, v55
	v_mul_lo_u32 v14, v64, v9
	v_add_co_u32_e32 v14, vcc, v2, v14
	v_addc_co_u32_e32 v15, vcc, 0, v3, vcc
	v_cmp_gt_i16_sdwa s[44:45], v7, v18 src0_sel:BYTE_0 src1_sel:DWORD
	s_mov_b64 vcc, 0
                                        ; implicit-def: $sgpr36_sgpr37
                                        ; implicit-def: $sgpr38_sgpr39
                                        ; implicit-def: $vgpr66
	s_and_saveexec_b64 s[46:47], s[44:45]
	s_xor_b64 s[44:45], exec, s[46:47]
	s_cbranch_execnz .LBB94_869
; %bb.763:                              ;   in Loop: Header=BB94_17 Depth=1
	s_andn2_saveexec_b64 s[44:45], s[44:45]
	s_cbranch_execnz .LBB94_928
.LBB94_764:                             ;   in Loop: Header=BB94_17 Depth=1
	s_or_b64 exec, exec, s[44:45]
	s_mov_b64 s[46:47], 0
	s_and_saveexec_b64 s[44:45], vcc
	s_cbranch_execnz .LBB94_969
	s_branch .LBB94_974
.LBB94_765:                             ;   in Loop: Header=BB94_17 Depth=1
	s_movk_i32 vcc_lo, 0x80
	v_cmp_eq_u16_e32 vcc, vcc_lo, v14
	s_mov_b64 s[34:35], -1
                                        ; implicit-def: $sgpr40
	s_and_saveexec_b64 s[38:39], vcc
; %bb.766:                              ;   in Loop: Header=BB94_17 Depth=1
	s_mov_b32 s40, 0x7f800001
	s_xor_b64 s[34:35], exec, -1
; %bb.767:                              ;   in Loop: Header=BB94_17 Depth=1
	s_or_b64 exec, exec, s[38:39]
	s_and_b64 s[34:35], s[34:35], exec
	s_or_saveexec_b64 s[36:37], s[36:37]
	v_mov_b32_e32 v66, s40
	s_xor_b64 exec, exec, s[36:37]
	s_cbranch_execz .LBB94_48
.LBB94_768:                             ;   in Loop: Header=BB94_17 Depth=1
	v_cmp_ne_u16_e32 vcc, 0, v14
	s_andn2_b64 s[34:35], s[34:35], exec
	s_and_b64 vcc, vcc, exec
	v_mov_b32_e32 v66, 0
	s_or_b64 s[34:35], s[34:35], vcc
	s_or_b64 exec, exec, s[36:37]
	s_and_saveexec_b64 s[36:37], s[34:35]
	s_cbranch_execnz .LBB94_49
	s_branch .LBB94_50
.LBB94_769:                             ;   in Loop: Header=BB94_17 Depth=1
	v_cmp_gt_i16_sdwa vcc, v8, v19 src0_sel:BYTE_0 src1_sel:DWORD
                                        ; implicit-def: $sgpr46_sgpr47
                                        ; implicit-def: $sgpr48_sgpr49
                                        ; implicit-def: $vgpr64
	s_and_saveexec_b64 s[42:43], vcc
	s_xor_b64 s[42:43], exec, s[42:43]
	s_cbranch_execz .LBB94_801
; %bb.770:                              ;   in Loop: Header=BB94_17 Depth=1
	v_cmp_gt_i16_sdwa vcc, v8, v20 src0_sel:BYTE_0 src1_sel:DWORD
                                        ; implicit-def: $sgpr46_sgpr47
                                        ; implicit-def: $sgpr50_sgpr51
                                        ; implicit-def: $vgpr64
	s_and_saveexec_b64 s[48:49], vcc
	s_xor_b64 s[48:49], exec, s[48:49]
	s_cbranch_execz .LBB94_786
; %bb.771:                              ;   in Loop: Header=BB94_17 Depth=1
	v_cmp_gt_i16_sdwa s[44:45], v8, v21 src0_sel:BYTE_0 src1_sel:DWORD
	s_mov_b64 s[52:53], 0
                                        ; implicit-def: $vcc
                                        ; implicit-def: $sgpr50_sgpr51
                                        ; implicit-def: $vgpr64
	s_and_saveexec_b64 s[46:47], s[44:45]
	s_xor_b64 s[44:45], exec, s[46:47]
	s_cbranch_execz .LBB94_781
; %bb.772:                              ;   in Loop: Header=BB94_17 Depth=1
	v_cmp_gt_i16_sdwa vcc, v8, v22 src0_sel:BYTE_0 src1_sel:DWORD
                                        ; implicit-def: $sgpr50_sgpr51
                                        ; implicit-def: $sgpr46_sgpr47
                                        ; implicit-def: $vgpr64
	s_and_saveexec_b64 s[54:55], vcc
	s_xor_b64 vcc, exec, s[54:55]
	s_cbranch_execz .LBB94_776
; %bb.773:                              ;   in Loop: Header=BB94_17 Depth=1
	v_cmp_eq_u16_sdwa s[54:55], v8, v23 src0_sel:BYTE_0 src1_sel:DWORD
	s_mov_b64 s[46:47], 0
                                        ; implicit-def: $vgpr64
	s_and_saveexec_b64 s[50:51], s[54:55]
	s_cbranch_execz .LBB94_775
; %bb.774:                              ;   in Loop: Header=BB94_17 Depth=1
	flat_load_dword v14, v[14:15]
	s_mov_b64 s[52:53], exec
	s_waitcnt vmcnt(0) lgkmcnt(0)
	v_lshlrev_b32_e32 v64, 16, v14
.LBB94_775:                             ;   in Loop: Header=BB94_17 Depth=1
	s_or_b64 exec, exec, s[50:51]
	s_mov_b64 s[50:51], -1
	s_and_b64 s[52:53], s[52:53], exec
                                        ; implicit-def: $vgpr14_vgpr15
.LBB94_776:                             ;   in Loop: Header=BB94_17 Depth=1
	s_andn2_saveexec_b64 s[54:55], vcc
	s_cbranch_execz .LBB94_780
; %bb.777:                              ;   in Loop: Header=BB94_17 Depth=1
	v_cmp_eq_u16_sdwa s[58:59], v8, v24 src0_sel:BYTE_0 src1_sel:DWORD
	s_mov_b64 vcc, s[52:53]
                                        ; implicit-def: $vgpr64
	s_and_saveexec_b64 s[56:57], s[58:59]
	s_cbranch_execz .LBB94_779
; %bb.778:                              ;   in Loop: Header=BB94_17 Depth=1
	flat_load_ubyte v14, v[14:15]
	s_movk_i32 vcc_lo, 0xff
	s_waitcnt vmcnt(0) lgkmcnt(0)
	v_lshlrev_b32_e32 v15, 23, v14
	v_cmp_ne_u32_e32 vcc, vcc_lo, v14
	v_cndmask_b32_e32 v15, v25, v15, vcc
	v_cmp_ne_u32_e32 vcc, 0, v14
	v_cndmask_b32_e32 v64, v26, v15, vcc
	s_or_b64 vcc, s[52:53], exec
.LBB94_779:                             ;   in Loop: Header=BB94_17 Depth=1
	s_or_b64 exec, exec, s[56:57]
	s_andn2_b64 s[52:53], s[52:53], exec
	s_and_b64 vcc, vcc, exec
	s_or_b64 s[50:51], s[50:51], exec
	s_andn2_b64 s[46:47], s[46:47], exec
	s_or_b64 s[52:53], s[52:53], vcc
.LBB94_780:                             ;   in Loop: Header=BB94_17 Depth=1
	s_or_b64 exec, exec, s[54:55]
	s_and_b64 s[50:51], s[50:51], exec
	s_and_b64 vcc, s[46:47], exec
	s_and_b64 s[52:53], s[52:53], exec
                                        ; implicit-def: $vgpr14_vgpr15
.LBB94_781:                             ;   in Loop: Header=BB94_17 Depth=1
	s_andn2_saveexec_b64 s[44:45], s[44:45]
	s_cbranch_execz .LBB94_785
; %bb.782:                              ;   in Loop: Header=BB94_17 Depth=1
	v_cmp_eq_u16_sdwa s[56:57], v8, v27 src0_sel:BYTE_0 src1_sel:DWORD
	s_mov_b64 s[54:55], s[52:53]
                                        ; implicit-def: $vgpr64
	s_and_saveexec_b64 s[46:47], s[56:57]
	s_cbranch_execz .LBB94_784
; %bb.783:                              ;   in Loop: Header=BB94_17 Depth=1
	flat_load_dwordx2 v[14:15], v[14:15]
	s_or_b64 s[54:55], s[52:53], exec
	s_waitcnt vmcnt(0) lgkmcnt(0)
	v_ffbh_u32_e32 v64, v15
	v_min_u32_e32 v64, 32, v64
	v_lshlrev_b64 v[14:15], v64, v[14:15]
	v_min_u32_e32 v14, 1, v14
	v_or_b32_e32 v14, v15, v14
	v_cvt_f32_u32_e32 v14, v14
	v_sub_u32_e32 v15, 32, v64
	v_ldexp_f32 v64, v14, v15
.LBB94_784:                             ;   in Loop: Header=BB94_17 Depth=1
	s_or_b64 exec, exec, s[46:47]
	s_andn2_b64 s[46:47], s[52:53], exec
	s_and_b64 s[52:53], s[54:55], exec
	s_or_b64 s[50:51], s[50:51], exec
	s_andn2_b64 vcc, vcc, exec
	s_or_b64 s[52:53], s[46:47], s[52:53]
.LBB94_785:                             ;   in Loop: Header=BB94_17 Depth=1
	s_or_b64 exec, exec, s[44:45]
	s_and_b64 s[50:51], s[50:51], exec
	s_and_b64 s[46:47], vcc, exec
	s_and_b64 s[44:45], s[52:53], exec
                                        ; implicit-def: $vgpr14_vgpr15
.LBB94_786:                             ;   in Loop: Header=BB94_17 Depth=1
	s_andn2_saveexec_b64 s[48:49], s[48:49]
	s_cbranch_execz .LBB94_800
; %bb.787:                              ;   in Loop: Header=BB94_17 Depth=1
	v_cmp_gt_i16_sdwa vcc, v8, v28 src0_sel:BYTE_0 src1_sel:DWORD
                                        ; implicit-def: $vgpr64
	s_and_saveexec_b64 s[52:53], vcc
	s_xor_b64 vcc, exec, s[52:53]
	s_cbranch_execz .LBB94_793
; %bb.788:                              ;   in Loop: Header=BB94_17 Depth=1
	v_cmp_gt_i16_sdwa s[52:53], v8, v29 src0_sel:BYTE_0 src1_sel:DWORD
                                        ; implicit-def: $vgpr64
	s_and_saveexec_b64 s[54:55], s[52:53]
	s_xor_b64 s[52:53], exec, s[54:55]
	s_cbranch_execz .LBB94_790
; %bb.789:                              ;   in Loop: Header=BB94_17 Depth=1
	flat_load_dword v14, v[14:15]
	s_waitcnt vmcnt(0) lgkmcnt(0)
	v_cvt_f32_u32_e32 v64, v14
                                        ; implicit-def: $vgpr14_vgpr15
.LBB94_790:                             ;   in Loop: Header=BB94_17 Depth=1
	s_andn2_saveexec_b64 s[52:53], s[52:53]
	s_cbranch_execz .LBB94_792
; %bb.791:                              ;   in Loop: Header=BB94_17 Depth=1
	flat_load_ushort v14, v[14:15]
	s_waitcnt vmcnt(0) lgkmcnt(0)
	v_cvt_f32_u32_e32 v64, v14
.LBB94_792:                             ;   in Loop: Header=BB94_17 Depth=1
	s_or_b64 exec, exec, s[52:53]
                                        ; implicit-def: $vgpr14_vgpr15
.LBB94_793:                             ;   in Loop: Header=BB94_17 Depth=1
	s_andn2_saveexec_b64 s[52:53], vcc
	s_cbranch_execz .LBB94_799
; %bb.794:                              ;   in Loop: Header=BB94_17 Depth=1
	flat_load_ubyte v14, v[14:15]
	s_movk_i32 vcc_lo, 0x7f
	s_mov_b64 s[54:55], 0
                                        ; implicit-def: $sgpr60
	s_waitcnt vmcnt(0) lgkmcnt(0)
	v_cmp_lt_i16_e32 vcc, vcc_lo, v14
	s_and_saveexec_b64 s[56:57], vcc
	s_xor_b64 s[56:57], exec, s[56:57]
	s_cbranch_execnz .LBB94_1665
; %bb.795:                              ;   in Loop: Header=BB94_17 Depth=1
	s_or_saveexec_b64 s[56:57], s[56:57]
	v_mov_b32_e32 v64, s60
	s_xor_b64 exec, exec, s[56:57]
	s_cbranch_execnz .LBB94_1668
.LBB94_796:                             ;   in Loop: Header=BB94_17 Depth=1
	s_or_b64 exec, exec, s[56:57]
	s_and_saveexec_b64 s[56:57], s[54:55]
	s_cbranch_execz .LBB94_798
.LBB94_797:                             ;   in Loop: Header=BB94_17 Depth=1
	v_lshlrev_b32_e32 v15, 24, v14
	v_and_b32_e32 v14, 0xffff, v14
	v_and_b32_e32 v64, 7, v14
	v_ffbh_u32_e32 v67, v64
	v_min_u32_e32 v67, 32, v67
	v_subrev_u32_e32 v68, 28, v67
	v_bfe_u32 v66, v14, 3, 4
	v_lshlrev_b32_e32 v14, v68, v14
	v_sub_u32_e32 v67, 29, v67
	v_and_b32_e32 v14, 7, v14
	v_cmp_eq_u32_e32 vcc, 0, v66
	v_cndmask_b32_e32 v66, v66, v67, vcc
	v_cndmask_b32_e32 v14, v64, v14, vcc
	v_lshlrev_b32_e32 v14, 20, v14
	v_and_b32_e32 v15, 0x80000000, v15
	v_lshl_add_u32 v64, v66, 23, v30
	v_or3_b32 v64, v15, v64, v14
.LBB94_798:                             ;   in Loop: Header=BB94_17 Depth=1
	s_or_b64 exec, exec, s[56:57]
.LBB94_799:                             ;   in Loop: Header=BB94_17 Depth=1
	s_or_b64 exec, exec, s[52:53]
	s_andn2_b64 s[50:51], s[50:51], exec
	s_andn2_b64 s[46:47], s[46:47], exec
	s_or_b64 s[44:45], s[44:45], exec
.LBB94_800:                             ;   in Loop: Header=BB94_17 Depth=1
	s_or_b64 exec, exec, s[48:49]
	s_and_b64 s[48:49], s[50:51], exec
	s_and_b64 s[46:47], s[46:47], exec
	s_and_b64 s[44:45], s[44:45], exec
                                        ; implicit-def: $vgpr14_vgpr15
.LBB94_801:                             ;   in Loop: Header=BB94_17 Depth=1
	s_andn2_saveexec_b64 s[42:43], s[42:43]
	s_cbranch_execz .LBB94_827
; %bb.802:                              ;   in Loop: Header=BB94_17 Depth=1
	v_cmp_gt_i16_sdwa vcc, v8, v31 src0_sel:BYTE_0 src1_sel:DWORD
	s_mov_b64 s[52:53], s[44:45]
                                        ; implicit-def: $vgpr64
	s_and_saveexec_b64 s[50:51], vcc
	s_xor_b64 s[50:51], exec, s[50:51]
	s_cbranch_execz .LBB94_816
; %bb.803:                              ;   in Loop: Header=BB94_17 Depth=1
	v_cmp_gt_i16_sdwa vcc, v8, v32 src0_sel:BYTE_0 src1_sel:DWORD
                                        ; implicit-def: $vgpr64
	s_and_saveexec_b64 s[52:53], vcc
	s_xor_b64 s[52:53], exec, s[52:53]
	s_cbranch_execz .LBB94_813
; %bb.804:                              ;   in Loop: Header=BB94_17 Depth=1
	v_cmp_gt_i16_sdwa vcc, v8, v33 src0_sel:BYTE_0 src1_sel:DWORD
                                        ; implicit-def: $vgpr64
	s_and_saveexec_b64 s[54:55], vcc
	s_xor_b64 s[54:55], exec, s[54:55]
	s_cbranch_execz .LBB94_810
; %bb.805:                              ;   in Loop: Header=BB94_17 Depth=1
	flat_load_ubyte v14, v[14:15]
	s_movk_i32 vcc_lo, 0x7f
	s_mov_b64 s[56:57], 0
                                        ; implicit-def: $sgpr62
	s_waitcnt vmcnt(0) lgkmcnt(0)
	v_cmp_lt_i16_e32 vcc, vcc_lo, v14
	s_and_saveexec_b64 s[58:59], vcc
	s_xor_b64 s[58:59], exec, s[58:59]
	s_cbranch_execnz .LBB94_1884
; %bb.806:                              ;   in Loop: Header=BB94_17 Depth=1
	s_or_saveexec_b64 s[58:59], s[58:59]
	v_mov_b32_e32 v64, s62
	s_xor_b64 exec, exec, s[58:59]
	s_cbranch_execnz .LBB94_1887
.LBB94_807:                             ;   in Loop: Header=BB94_17 Depth=1
	s_or_b64 exec, exec, s[58:59]
	s_and_saveexec_b64 s[58:59], s[56:57]
	s_cbranch_execz .LBB94_809
.LBB94_808:                             ;   in Loop: Header=BB94_17 Depth=1
	v_lshlrev_b32_e32 v15, 24, v14
	v_and_b32_e32 v14, 0xffff, v14
	v_and_b32_e32 v64, 3, v14
	v_ffbh_u32_e32 v67, v64
	v_min_u32_e32 v67, 32, v67
	v_subrev_u32_e32 v68, 29, v67
	v_bfe_u32 v66, v14, 2, 5
	v_lshlrev_b32_e32 v14, v68, v14
	v_sub_u32_e32 v67, 30, v67
	v_and_b32_e32 v14, 3, v14
	v_cmp_eq_u32_e32 vcc, 0, v66
	v_cndmask_b32_e32 v66, v66, v67, vcc
	v_cndmask_b32_e32 v14, v64, v14, vcc
	v_lshlrev_b32_e32 v14, 21, v14
	v_and_b32_e32 v15, 0x80000000, v15
	v_lshl_add_u32 v64, v66, 23, v34
	v_or3_b32 v64, v15, v64, v14
.LBB94_809:                             ;   in Loop: Header=BB94_17 Depth=1
	s_or_b64 exec, exec, s[58:59]
                                        ; implicit-def: $vgpr14_vgpr15
.LBB94_810:                             ;   in Loop: Header=BB94_17 Depth=1
	s_andn2_saveexec_b64 s[54:55], s[54:55]
	s_cbranch_execz .LBB94_812
; %bb.811:                              ;   in Loop: Header=BB94_17 Depth=1
	flat_load_ubyte v14, v[14:15]
	s_mov_b32 vcc_lo, 0x7f800000
	s_waitcnt vmcnt(0) lgkmcnt(0)
	v_lshlrev_b32_e32 v14, 24, v14
	v_and_b32_e32 v15, 0x7f000000, v14
	v_ffbh_u32_e32 v64, v15
	v_min_u32_e32 v64, 32, v64
	v_sub_u32_e64 v64, v64, 4 clamp
	v_lshlrev_b32_e32 v67, v64, v15
	v_lshlrev_b32_e32 v64, 23, v64
	v_lshrrev_b32_e32 v67, 4, v67
	v_add_u32_e32 v66, 0x1000000, v15
	v_sub_u32_e32 v64, v67, v64
	v_ashrrev_i32_e32 v66, 8, v66
	v_add_u32_e32 v64, 0x3c000000, v64
	v_and_or_b32 v64, v66, vcc_lo, v64
	v_cmp_ne_u32_e32 vcc, 0, v15
	v_cndmask_b32_e32 v15, 0, v64, vcc
	s_brev_b32 vcc_lo, 1
	v_and_or_b32 v64, v14, vcc_lo, v15
.LBB94_812:                             ;   in Loop: Header=BB94_17 Depth=1
	s_or_b64 exec, exec, s[54:55]
                                        ; implicit-def: $vgpr14_vgpr15
.LBB94_813:                             ;   in Loop: Header=BB94_17 Depth=1
	s_andn2_saveexec_b64 s[52:53], s[52:53]
	s_cbranch_execz .LBB94_815
; %bb.814:                              ;   in Loop: Header=BB94_17 Depth=1
	flat_load_ubyte v14, v[14:15]
	s_movk_i32 vcc_lo, 0x7f00
	s_waitcnt vmcnt(0) lgkmcnt(0)
	v_lshlrev_b16_e32 v15, 8, v14
	v_lshlrev_b32_e32 v14, 25, v14
	v_lshrrev_b32_e32 v64, 4, v14
	v_and_or_b32 v66, v15, vcc_lo, 0.5
	v_or_b32_e32 v64, 0x70000000, v64
	s_brev_b32 vcc_lo, 16
	v_add_f32_e32 v66, -0.5, v66
	v_mul_f32_e32 v64, 0x7800000, v64
	v_cmp_gt_u32_e32 vcc, vcc_lo, v14
	v_cndmask_b32_e32 v14, v64, v66, vcc
	v_bfe_i32 v15, v15, 0, 16
	s_brev_b32 vcc_lo, 1
	v_and_or_b32 v64, v15, vcc_lo, v14
.LBB94_815:                             ;   in Loop: Header=BB94_17 Depth=1
	s_or_b64 exec, exec, s[52:53]
	s_or_b64 s[52:53], s[44:45], exec
                                        ; implicit-def: $vgpr14_vgpr15
.LBB94_816:                             ;   in Loop: Header=BB94_17 Depth=1
	s_or_saveexec_b64 s[50:51], s[50:51]
                                        ; implicit-def: $vcc
                                        ; implicit-def: $sgpr58_sgpr59
	s_xor_b64 exec, exec, s[50:51]
	s_cbranch_execz .LBB94_826
; %bb.817:                              ;   in Loop: Header=BB94_17 Depth=1
	v_cmp_gt_i16_sdwa vcc, v8, v35 src0_sel:BYTE_0 src1_sel:DWORD
	s_mov_b64 s[56:57], s[52:53]
                                        ; implicit-def: $sgpr58_sgpr59
                                        ; implicit-def: $sgpr54_sgpr55
                                        ; implicit-def: $vgpr64
	s_and_saveexec_b64 s[60:61], vcc
	s_xor_b64 vcc, exec, s[60:61]
	s_cbranch_execz .LBB94_821
; %bb.818:                              ;   in Loop: Header=BB94_17 Depth=1
	v_cmp_eq_u16_sdwa s[58:59], v8, v36 src0_sel:BYTE_0 src1_sel:DWORD
	s_mov_b64 s[56:57], s[52:53]
                                        ; implicit-def: $vgpr64
	s_and_saveexec_b64 s[54:55], s[58:59]
	s_cbranch_execz .LBB94_820
; %bb.819:                              ;   in Loop: Header=BB94_17 Depth=1
	flat_load_ushort v14, v[14:15]
	s_or_b64 s[56:57], s[52:53], exec
	s_waitcnt vmcnt(0) lgkmcnt(0)
	v_lshlrev_b32_e32 v64, 16, v14
.LBB94_820:                             ;   in Loop: Header=BB94_17 Depth=1
	s_or_b64 exec, exec, s[54:55]
	s_andn2_b64 s[60:61], s[52:53], exec
	s_and_b64 s[56:57], s[56:57], exec
	s_mov_b64 s[54:55], 0
	s_mov_b64 s[58:59], -1
	s_or_b64 s[56:57], s[60:61], s[56:57]
                                        ; implicit-def: $vgpr14_vgpr15
.LBB94_821:                             ;   in Loop: Header=BB94_17 Depth=1
	s_andn2_saveexec_b64 s[60:61], vcc
	s_cbranch_execz .LBB94_825
; %bb.822:                              ;   in Loop: Header=BB94_17 Depth=1
	v_cmp_eq_u16_sdwa s[64:65], v8, v37 src0_sel:BYTE_0 src1_sel:DWORD
	s_mov_b64 vcc, s[56:57]
                                        ; implicit-def: $vgpr64
	s_and_saveexec_b64 s[62:63], s[64:65]
	s_cbranch_execz .LBB94_824
; %bb.823:                              ;   in Loop: Header=BB94_17 Depth=1
	flat_load_ubyte v14, v[14:15]
	s_waitcnt vmcnt(0) lgkmcnt(0)
	v_cmp_ne_u16_e32 vcc, 0, v14
	v_cndmask_b32_e64 v64, 0, 1.0, vcc
	s_or_b64 vcc, s[56:57], exec
.LBB94_824:                             ;   in Loop: Header=BB94_17 Depth=1
	s_or_b64 exec, exec, s[62:63]
	s_andn2_b64 s[56:57], s[56:57], exec
	s_and_b64 vcc, vcc, exec
	s_or_b64 s[58:59], s[58:59], exec
	s_andn2_b64 s[54:55], s[54:55], exec
	s_or_b64 s[56:57], s[56:57], vcc
.LBB94_825:                             ;   in Loop: Header=BB94_17 Depth=1
	s_or_b64 exec, exec, s[60:61]
	s_and_b64 vcc, s[54:55], exec
	s_andn2_b64 s[52:53], s[52:53], exec
	s_and_b64 s[54:55], s[56:57], exec
	s_and_b64 s[58:59], s[58:59], exec
	s_or_b64 s[52:53], s[52:53], s[54:55]
.LBB94_826:                             ;   in Loop: Header=BB94_17 Depth=1
	s_or_b64 exec, exec, s[50:51]
	s_andn2_b64 s[46:47], s[46:47], exec
	s_and_b64 vcc, vcc, exec
	s_andn2_b64 s[48:49], s[48:49], exec
	s_and_b64 s[50:51], s[58:59], exec
	s_or_b64 s[46:47], s[46:47], vcc
	s_andn2_b64 vcc, s[44:45], exec
	s_and_b64 s[44:45], s[52:53], exec
	s_or_b64 s[48:49], s[48:49], s[50:51]
	s_or_b64 s[44:45], vcc, s[44:45]
.LBB94_827:                             ;   in Loop: Header=BB94_17 Depth=1
	s_or_b64 exec, exec, s[42:43]
	s_and_b64 s[42:43], s[48:49], exec
	s_and_b64 vcc, s[46:47], exec
	s_and_b64 s[44:45], s[44:45], exec
                                        ; implicit-def: $vgpr14_vgpr15
	s_andn2_saveexec_b64 s[40:41], s[40:41]
	s_cbranch_execz .LBB94_756
.LBB94_828:                             ;   in Loop: Header=BB94_17 Depth=1
	v_cmp_gt_i16_sdwa s[46:47], v8, v38 src0_sel:BYTE_0 src1_sel:DWORD
                                        ; implicit-def: $vgpr64
	s_and_saveexec_b64 s[48:49], s[46:47]
	s_xor_b64 s[46:47], exec, s[48:49]
	s_cbranch_execz .LBB94_850
; %bb.829:                              ;   in Loop: Header=BB94_17 Depth=1
	v_cmp_gt_i16_sdwa s[48:49], v8, v39 src0_sel:BYTE_0 src1_sel:DWORD
                                        ; implicit-def: $vgpr64
	s_and_saveexec_b64 s[50:51], s[48:49]
	s_xor_b64 s[48:49], exec, s[50:51]
	s_cbranch_execz .LBB94_839
; %bb.830:                              ;   in Loop: Header=BB94_17 Depth=1
	;; [unrolled: 6-line block ×4, first 2 shown]
	flat_load_dwordx2 v[14:15], v[14:15]
	s_waitcnt vmcnt(0) lgkmcnt(0)
	v_cvt_f32_f64_e32 v64, v[14:15]
                                        ; implicit-def: $vgpr14_vgpr15
.LBB94_833:                             ;   in Loop: Header=BB94_17 Depth=1
	s_andn2_saveexec_b64 s[52:53], s[52:53]
	s_cbranch_execz .LBB94_835
; %bb.834:                              ;   in Loop: Header=BB94_17 Depth=1
	flat_load_dword v64, v[14:15]
.LBB94_835:                             ;   in Loop: Header=BB94_17 Depth=1
	s_or_b64 exec, exec, s[52:53]
                                        ; implicit-def: $vgpr14_vgpr15
.LBB94_836:                             ;   in Loop: Header=BB94_17 Depth=1
	s_andn2_saveexec_b64 s[50:51], s[50:51]
	s_cbranch_execz .LBB94_838
; %bb.837:                              ;   in Loop: Header=BB94_17 Depth=1
	flat_load_dword v14, v[14:15]
	s_waitcnt vmcnt(0) lgkmcnt(0)
	v_cvt_f32_f16_e32 v64, v14
.LBB94_838:                             ;   in Loop: Header=BB94_17 Depth=1
	s_or_b64 exec, exec, s[50:51]
                                        ; implicit-def: $vgpr14_vgpr15
.LBB94_839:                             ;   in Loop: Header=BB94_17 Depth=1
	s_andn2_saveexec_b64 s[48:49], s[48:49]
	s_cbranch_execz .LBB94_849
; %bb.840:                              ;   in Loop: Header=BB94_17 Depth=1
	v_cmp_gt_i16_sdwa s[50:51], v8, v50 src0_sel:BYTE_0 src1_sel:DWORD
                                        ; implicit-def: $vgpr64
	s_and_saveexec_b64 s[52:53], s[50:51]
	s_xor_b64 s[50:51], exec, s[52:53]
	s_cbranch_execz .LBB94_846
; %bb.841:                              ;   in Loop: Header=BB94_17 Depth=1
	v_cmp_gt_i16_sdwa s[52:53], v8, v51 src0_sel:BYTE_0 src1_sel:DWORD
                                        ; implicit-def: $vgpr64
	s_and_saveexec_b64 s[54:55], s[52:53]
	s_xor_b64 s[52:53], exec, s[54:55]
	s_cbranch_execz .LBB94_843
; %bb.842:                              ;   in Loop: Header=BB94_17 Depth=1
	flat_load_dwordx2 v[14:15], v[14:15]
	s_waitcnt vmcnt(0) lgkmcnt(0)
	v_cvt_f32_f64_e32 v64, v[14:15]
                                        ; implicit-def: $vgpr14_vgpr15
.LBB94_843:                             ;   in Loop: Header=BB94_17 Depth=1
	s_andn2_saveexec_b64 s[52:53], s[52:53]
	s_cbranch_execz .LBB94_845
; %bb.844:                              ;   in Loop: Header=BB94_17 Depth=1
	s_waitcnt vmcnt(0) lgkmcnt(0)
	flat_load_dword v64, v[14:15]
.LBB94_845:                             ;   in Loop: Header=BB94_17 Depth=1
	s_or_b64 exec, exec, s[52:53]
                                        ; implicit-def: $vgpr14_vgpr15
.LBB94_846:                             ;   in Loop: Header=BB94_17 Depth=1
	s_andn2_saveexec_b64 s[50:51], s[50:51]
	s_cbranch_execz .LBB94_848
; %bb.847:                              ;   in Loop: Header=BB94_17 Depth=1
	flat_load_ushort v14, v[14:15]
	s_waitcnt vmcnt(0) lgkmcnt(0)
	v_cvt_f32_f16_e32 v64, v14
.LBB94_848:                             ;   in Loop: Header=BB94_17 Depth=1
	s_or_b64 exec, exec, s[50:51]
.LBB94_849:                             ;   in Loop: Header=BB94_17 Depth=1
	s_or_b64 exec, exec, s[48:49]
                                        ; implicit-def: $vgpr14_vgpr15
.LBB94_850:                             ;   in Loop: Header=BB94_17 Depth=1
	s_andn2_saveexec_b64 s[46:47], s[46:47]
	s_cbranch_execz .LBB94_868
; %bb.851:                              ;   in Loop: Header=BB94_17 Depth=1
	v_cmp_gt_i16_sdwa s[48:49], v8, v52 src0_sel:BYTE_0 src1_sel:DWORD
                                        ; implicit-def: $vgpr64
	s_and_saveexec_b64 s[50:51], s[48:49]
	s_xor_b64 s[48:49], exec, s[50:51]
	s_cbranch_execz .LBB94_861
; %bb.852:                              ;   in Loop: Header=BB94_17 Depth=1
	v_cmp_gt_i16_sdwa s[50:51], v8, v53 src0_sel:BYTE_0 src1_sel:DWORD
                                        ; implicit-def: $vgpr64
	s_and_saveexec_b64 s[52:53], s[50:51]
	s_xor_b64 s[50:51], exec, s[52:53]
	;; [unrolled: 6-line block ×3, first 2 shown]
	s_cbranch_execz .LBB94_855
; %bb.854:                              ;   in Loop: Header=BB94_17 Depth=1
	flat_load_dwordx2 v[14:15], v[14:15]
	s_waitcnt vmcnt(0) lgkmcnt(0)
	v_xor_b32_e32 v66, v14, v15
	v_ffbh_i32_e32 v64, v15
	v_ashrrev_i32_e32 v66, 31, v66
	v_add_u32_e32 v64, -1, v64
	v_add_u32_e32 v66, 32, v66
	v_min_u32_e32 v64, v64, v66
	v_lshlrev_b64 v[14:15], v64, v[14:15]
	v_min_u32_e32 v14, 1, v14
	v_or_b32_e32 v14, v15, v14
	v_cvt_f32_i32_e32 v14, v14
	v_sub_u32_e32 v15, 32, v64
	v_ldexp_f32 v64, v14, v15
                                        ; implicit-def: $vgpr14_vgpr15
.LBB94_855:                             ;   in Loop: Header=BB94_17 Depth=1
	s_andn2_saveexec_b64 s[52:53], s[52:53]
	s_cbranch_execz .LBB94_857
; %bb.856:                              ;   in Loop: Header=BB94_17 Depth=1
	flat_load_dword v14, v[14:15]
	s_waitcnt vmcnt(0) lgkmcnt(0)
	v_cvt_f32_i32_e32 v64, v14
.LBB94_857:                             ;   in Loop: Header=BB94_17 Depth=1
	s_or_b64 exec, exec, s[52:53]
                                        ; implicit-def: $vgpr14_vgpr15
.LBB94_858:                             ;   in Loop: Header=BB94_17 Depth=1
	s_andn2_saveexec_b64 s[50:51], s[50:51]
	s_cbranch_execz .LBB94_860
; %bb.859:                              ;   in Loop: Header=BB94_17 Depth=1
	flat_load_sshort v14, v[14:15]
	s_waitcnt vmcnt(0) lgkmcnt(0)
	v_cvt_f32_i32_e32 v64, v14
.LBB94_860:                             ;   in Loop: Header=BB94_17 Depth=1
	s_or_b64 exec, exec, s[50:51]
                                        ; implicit-def: $vgpr14_vgpr15
.LBB94_861:                             ;   in Loop: Header=BB94_17 Depth=1
	s_andn2_saveexec_b64 s[48:49], s[48:49]
	s_cbranch_execz .LBB94_867
; %bb.862:                              ;   in Loop: Header=BB94_17 Depth=1
	v_cmp_gt_i16_sdwa s[50:51], v8, v16 src0_sel:BYTE_0 src1_sel:DWORD
                                        ; implicit-def: $vgpr64
	s_and_saveexec_b64 s[52:53], s[50:51]
	s_xor_b64 s[50:51], exec, s[52:53]
	s_cbranch_execz .LBB94_864
; %bb.863:                              ;   in Loop: Header=BB94_17 Depth=1
	flat_load_sbyte v14, v[14:15]
	s_waitcnt vmcnt(0) lgkmcnt(0)
	v_cvt_f32_i32_e32 v64, v14
                                        ; implicit-def: $vgpr14_vgpr15
.LBB94_864:                             ;   in Loop: Header=BB94_17 Depth=1
	s_andn2_saveexec_b64 s[50:51], s[50:51]
	s_cbranch_execz .LBB94_866
; %bb.865:                              ;   in Loop: Header=BB94_17 Depth=1
	flat_load_ubyte v14, v[14:15]
	s_waitcnt vmcnt(0) lgkmcnt(0)
	v_cvt_f32_ubyte0_e32 v64, v14
.LBB94_866:                             ;   in Loop: Header=BB94_17 Depth=1
	s_or_b64 exec, exec, s[50:51]
.LBB94_867:                             ;   in Loop: Header=BB94_17 Depth=1
	s_or_b64 exec, exec, s[48:49]
.LBB94_868:                             ;   in Loop: Header=BB94_17 Depth=1
	s_or_b64 exec, exec, s[46:47]
	s_andn2_b64 s[42:43], s[42:43], exec
	s_andn2_b64 vcc, vcc, exec
	s_or_b64 s[44:45], s[44:45], exec
	s_or_b64 exec, exec, s[40:41]
	s_mov_b64 s[40:41], 0
	s_and_saveexec_b64 s[46:47], s[44:45]
	s_cbranch_execnz .LBB94_757
	s_branch .LBB94_758
.LBB94_869:                             ;   in Loop: Header=BB94_17 Depth=1
	v_cmp_gt_i16_sdwa vcc, v7, v19 src0_sel:BYTE_0 src1_sel:DWORD
	s_mov_b64 s[46:47], 0
                                        ; implicit-def: $sgpr48_sgpr49
                                        ; implicit-def: $sgpr38_sgpr39
                                        ; implicit-def: $vgpr66
	s_and_saveexec_b64 s[36:37], vcc
	s_xor_b64 s[36:37], exec, s[36:37]
	s_cbranch_execz .LBB94_901
; %bb.870:                              ;   in Loop: Header=BB94_17 Depth=1
	v_cmp_gt_i16_sdwa vcc, v7, v20 src0_sel:BYTE_0 src1_sel:DWORD
                                        ; implicit-def: $sgpr48_sgpr49
                                        ; implicit-def: $sgpr50_sgpr51
                                        ; implicit-def: $vgpr66
	s_and_saveexec_b64 s[38:39], vcc
	s_xor_b64 s[38:39], exec, s[38:39]
	s_cbranch_execz .LBB94_886
; %bb.871:                              ;   in Loop: Header=BB94_17 Depth=1
	v_cmp_gt_i16_sdwa s[46:47], v7, v21 src0_sel:BYTE_0 src1_sel:DWORD
	s_mov_b64 s[52:53], 0
                                        ; implicit-def: $vcc
                                        ; implicit-def: $sgpr48_sgpr49
                                        ; implicit-def: $vgpr66
	s_and_saveexec_b64 s[50:51], s[46:47]
	s_xor_b64 s[46:47], exec, s[50:51]
	s_cbranch_execz .LBB94_881
; %bb.872:                              ;   in Loop: Header=BB94_17 Depth=1
	v_cmp_gt_i16_sdwa vcc, v7, v22 src0_sel:BYTE_0 src1_sel:DWORD
	s_mov_b64 s[50:51], 0
                                        ; implicit-def: $sgpr48_sgpr49
                                        ; implicit-def: $sgpr52_sgpr53
                                        ; implicit-def: $vgpr66
	s_and_saveexec_b64 s[54:55], vcc
	s_xor_b64 vcc, exec, s[54:55]
	s_cbranch_execz .LBB94_876
; %bb.873:                              ;   in Loop: Header=BB94_17 Depth=1
	v_cmp_eq_u16_sdwa s[54:55], v7, v23 src0_sel:BYTE_0 src1_sel:DWORD
	s_mov_b64 s[48:49], 0
                                        ; implicit-def: $vgpr66
	s_and_saveexec_b64 s[52:53], s[54:55]
	s_cbranch_execz .LBB94_875
; %bb.874:                              ;   in Loop: Header=BB94_17 Depth=1
	flat_load_dword v14, v[14:15]
	s_mov_b64 s[50:51], exec
	s_waitcnt vmcnt(0) lgkmcnt(0)
	v_lshlrev_b32_e32 v66, 16, v14
.LBB94_875:                             ;   in Loop: Header=BB94_17 Depth=1
	s_or_b64 exec, exec, s[52:53]
	s_mov_b64 s[52:53], -1
	s_and_b64 s[50:51], s[50:51], exec
                                        ; implicit-def: $vgpr14_vgpr15
.LBB94_876:                             ;   in Loop: Header=BB94_17 Depth=1
	s_andn2_saveexec_b64 s[54:55], vcc
	s_cbranch_execz .LBB94_880
; %bb.877:                              ;   in Loop: Header=BB94_17 Depth=1
	v_cmp_eq_u16_sdwa s[58:59], v7, v24 src0_sel:BYTE_0 src1_sel:DWORD
	s_mov_b64 vcc, s[50:51]
                                        ; implicit-def: $vgpr66
	s_and_saveexec_b64 s[56:57], s[58:59]
	s_cbranch_execz .LBB94_879
; %bb.878:                              ;   in Loop: Header=BB94_17 Depth=1
	flat_load_ubyte v14, v[14:15]
	s_movk_i32 vcc_lo, 0xff
	s_waitcnt vmcnt(0) lgkmcnt(0)
	v_lshlrev_b32_e32 v15, 23, v14
	v_cmp_ne_u32_e32 vcc, vcc_lo, v14
	v_cndmask_b32_e32 v15, v25, v15, vcc
	v_cmp_ne_u32_e32 vcc, 0, v14
	v_cndmask_b32_e32 v66, v26, v15, vcc
	s_or_b64 vcc, s[50:51], exec
.LBB94_879:                             ;   in Loop: Header=BB94_17 Depth=1
	s_or_b64 exec, exec, s[56:57]
	s_andn2_b64 s[50:51], s[50:51], exec
	s_and_b64 vcc, vcc, exec
	s_andn2_b64 s[48:49], s[48:49], exec
	s_or_b64 s[52:53], s[52:53], exec
	s_or_b64 s[50:51], s[50:51], vcc
.LBB94_880:                             ;   in Loop: Header=BB94_17 Depth=1
	s_or_b64 exec, exec, s[54:55]
	s_and_b64 s[48:49], s[48:49], exec
	s_and_b64 vcc, s[52:53], exec
	s_and_b64 s[52:53], s[50:51], exec
                                        ; implicit-def: $vgpr14_vgpr15
.LBB94_881:                             ;   in Loop: Header=BB94_17 Depth=1
	s_andn2_saveexec_b64 s[46:47], s[46:47]
	s_cbranch_execz .LBB94_885
; %bb.882:                              ;   in Loop: Header=BB94_17 Depth=1
	v_cmp_eq_u16_sdwa s[56:57], v7, v27 src0_sel:BYTE_0 src1_sel:DWORD
	s_mov_b64 s[54:55], s[52:53]
                                        ; implicit-def: $vgpr66
	s_and_saveexec_b64 s[50:51], s[56:57]
	s_cbranch_execz .LBB94_884
; %bb.883:                              ;   in Loop: Header=BB94_17 Depth=1
	flat_load_dwordx2 v[14:15], v[14:15]
	s_or_b64 s[54:55], s[52:53], exec
	s_waitcnt vmcnt(0) lgkmcnt(0)
	v_ffbh_u32_e32 v65, v15
	v_min_u32_e32 v65, 32, v65
	v_lshlrev_b64 v[14:15], v65, v[14:15]
	v_min_u32_e32 v14, 1, v14
	v_or_b32_e32 v14, v15, v14
	v_cvt_f32_u32_e32 v14, v14
	v_sub_u32_e32 v15, 32, v65
	v_ldexp_f32 v66, v14, v15
.LBB94_884:                             ;   in Loop: Header=BB94_17 Depth=1
	s_or_b64 exec, exec, s[50:51]
	s_andn2_b64 s[50:51], s[52:53], exec
	s_and_b64 s[52:53], s[54:55], exec
	s_andn2_b64 s[48:49], s[48:49], exec
	s_or_b64 vcc, vcc, exec
	s_or_b64 s[52:53], s[50:51], s[52:53]
.LBB94_885:                             ;   in Loop: Header=BB94_17 Depth=1
	s_or_b64 exec, exec, s[46:47]
	s_and_b64 s[50:51], s[48:49], exec
	s_and_b64 s[48:49], vcc, exec
	s_and_b64 s[46:47], s[52:53], exec
                                        ; implicit-def: $vgpr14_vgpr15
.LBB94_886:                             ;   in Loop: Header=BB94_17 Depth=1
	s_andn2_saveexec_b64 s[38:39], s[38:39]
	s_cbranch_execz .LBB94_900
; %bb.887:                              ;   in Loop: Header=BB94_17 Depth=1
	v_cmp_gt_i16_sdwa vcc, v7, v28 src0_sel:BYTE_0 src1_sel:DWORD
                                        ; implicit-def: $vgpr66
	s_and_saveexec_b64 s[52:53], vcc
	s_xor_b64 vcc, exec, s[52:53]
	s_cbranch_execz .LBB94_893
; %bb.888:                              ;   in Loop: Header=BB94_17 Depth=1
	v_cmp_gt_i16_sdwa s[52:53], v7, v29 src0_sel:BYTE_0 src1_sel:DWORD
                                        ; implicit-def: $vgpr66
	s_and_saveexec_b64 s[54:55], s[52:53]
	s_xor_b64 s[52:53], exec, s[54:55]
	s_cbranch_execz .LBB94_890
; %bb.889:                              ;   in Loop: Header=BB94_17 Depth=1
	flat_load_dword v14, v[14:15]
	s_waitcnt vmcnt(0) lgkmcnt(0)
	v_cvt_f32_u32_e32 v66, v14
                                        ; implicit-def: $vgpr14_vgpr15
.LBB94_890:                             ;   in Loop: Header=BB94_17 Depth=1
	s_andn2_saveexec_b64 s[52:53], s[52:53]
	s_cbranch_execz .LBB94_892
; %bb.891:                              ;   in Loop: Header=BB94_17 Depth=1
	flat_load_ushort v14, v[14:15]
	s_waitcnt vmcnt(0) lgkmcnt(0)
	v_cvt_f32_u32_e32 v66, v14
.LBB94_892:                             ;   in Loop: Header=BB94_17 Depth=1
	s_or_b64 exec, exec, s[52:53]
                                        ; implicit-def: $vgpr14_vgpr15
.LBB94_893:                             ;   in Loop: Header=BB94_17 Depth=1
	s_andn2_saveexec_b64 s[52:53], vcc
	s_cbranch_execz .LBB94_899
; %bb.894:                              ;   in Loop: Header=BB94_17 Depth=1
	flat_load_ubyte v14, v[14:15]
	s_movk_i32 vcc_lo, 0x7f
	s_mov_b64 s[54:55], 0
                                        ; implicit-def: $sgpr60
	s_waitcnt vmcnt(0) lgkmcnt(0)
	v_cmp_lt_i16_e32 vcc, vcc_lo, v14
	s_and_saveexec_b64 s[56:57], vcc
	s_xor_b64 s[56:57], exec, s[56:57]
	s_cbranch_execnz .LBB94_1669
; %bb.895:                              ;   in Loop: Header=BB94_17 Depth=1
	s_or_saveexec_b64 s[56:57], s[56:57]
	v_mov_b32_e32 v66, s60
	s_xor_b64 exec, exec, s[56:57]
	s_cbranch_execnz .LBB94_1672
.LBB94_896:                             ;   in Loop: Header=BB94_17 Depth=1
	s_or_b64 exec, exec, s[56:57]
	s_and_saveexec_b64 s[56:57], s[54:55]
	s_cbranch_execz .LBB94_898
.LBB94_897:                             ;   in Loop: Header=BB94_17 Depth=1
	v_lshlrev_b32_e32 v15, 24, v14
	v_and_b32_e32 v14, 0xffff, v14
	v_and_b32_e32 v65, 7, v14
	v_ffbh_u32_e32 v67, v65
	v_min_u32_e32 v67, 32, v67
	v_subrev_u32_e32 v68, 28, v67
	v_bfe_u32 v66, v14, 3, 4
	v_lshlrev_b32_e32 v14, v68, v14
	v_sub_u32_e32 v67, 29, v67
	v_and_b32_e32 v14, 7, v14
	v_cmp_eq_u32_e32 vcc, 0, v66
	v_cndmask_b32_e32 v66, v66, v67, vcc
	v_cndmask_b32_e32 v14, v65, v14, vcc
	v_lshlrev_b32_e32 v14, 20, v14
	v_and_b32_e32 v15, 0x80000000, v15
	v_lshl_add_u32 v65, v66, 23, v30
	v_or3_b32 v66, v15, v65, v14
.LBB94_898:                             ;   in Loop: Header=BB94_17 Depth=1
	s_or_b64 exec, exec, s[56:57]
.LBB94_899:                             ;   in Loop: Header=BB94_17 Depth=1
	s_or_b64 exec, exec, s[52:53]
	s_andn2_b64 s[50:51], s[50:51], exec
	s_andn2_b64 s[48:49], s[48:49], exec
	s_or_b64 s[46:47], s[46:47], exec
.LBB94_900:                             ;   in Loop: Header=BB94_17 Depth=1
	s_or_b64 exec, exec, s[38:39]
	s_and_b64 s[38:39], s[50:51], exec
	s_and_b64 s[48:49], s[48:49], exec
	;; [unrolled: 1-line block ×3, first 2 shown]
                                        ; implicit-def: $vgpr14_vgpr15
.LBB94_901:                             ;   in Loop: Header=BB94_17 Depth=1
	s_andn2_saveexec_b64 s[36:37], s[36:37]
	s_cbranch_execz .LBB94_927
; %bb.902:                              ;   in Loop: Header=BB94_17 Depth=1
	v_cmp_gt_i16_sdwa vcc, v7, v31 src0_sel:BYTE_0 src1_sel:DWORD
	s_mov_b64 s[52:53], s[46:47]
                                        ; implicit-def: $vgpr66
	s_and_saveexec_b64 s[50:51], vcc
	s_xor_b64 s[50:51], exec, s[50:51]
	s_cbranch_execz .LBB94_916
; %bb.903:                              ;   in Loop: Header=BB94_17 Depth=1
	v_cmp_gt_i16_sdwa vcc, v7, v32 src0_sel:BYTE_0 src1_sel:DWORD
                                        ; implicit-def: $vgpr66
	s_and_saveexec_b64 s[52:53], vcc
	s_xor_b64 s[52:53], exec, s[52:53]
	s_cbranch_execz .LBB94_913
; %bb.904:                              ;   in Loop: Header=BB94_17 Depth=1
	v_cmp_gt_i16_sdwa vcc, v7, v33 src0_sel:BYTE_0 src1_sel:DWORD
                                        ; implicit-def: $vgpr66
	s_and_saveexec_b64 s[54:55], vcc
	s_xor_b64 s[54:55], exec, s[54:55]
	s_cbranch_execz .LBB94_910
; %bb.905:                              ;   in Loop: Header=BB94_17 Depth=1
	flat_load_ubyte v14, v[14:15]
	s_movk_i32 vcc_lo, 0x7f
	s_mov_b64 s[56:57], 0
                                        ; implicit-def: $sgpr62
	s_waitcnt vmcnt(0) lgkmcnt(0)
	v_cmp_lt_i16_e32 vcc, vcc_lo, v14
	s_and_saveexec_b64 s[58:59], vcc
	s_xor_b64 s[58:59], exec, s[58:59]
	s_cbranch_execnz .LBB94_1888
; %bb.906:                              ;   in Loop: Header=BB94_17 Depth=1
	s_or_saveexec_b64 s[58:59], s[58:59]
	v_mov_b32_e32 v66, s62
	s_xor_b64 exec, exec, s[58:59]
	s_cbranch_execnz .LBB94_1891
.LBB94_907:                             ;   in Loop: Header=BB94_17 Depth=1
	s_or_b64 exec, exec, s[58:59]
	s_and_saveexec_b64 s[58:59], s[56:57]
	s_cbranch_execz .LBB94_909
.LBB94_908:                             ;   in Loop: Header=BB94_17 Depth=1
	v_lshlrev_b32_e32 v15, 24, v14
	v_and_b32_e32 v14, 0xffff, v14
	v_and_b32_e32 v65, 3, v14
	v_ffbh_u32_e32 v67, v65
	v_min_u32_e32 v67, 32, v67
	v_subrev_u32_e32 v68, 29, v67
	v_bfe_u32 v66, v14, 2, 5
	v_lshlrev_b32_e32 v14, v68, v14
	v_sub_u32_e32 v67, 30, v67
	v_and_b32_e32 v14, 3, v14
	v_cmp_eq_u32_e32 vcc, 0, v66
	v_cndmask_b32_e32 v66, v66, v67, vcc
	v_cndmask_b32_e32 v14, v65, v14, vcc
	v_lshlrev_b32_e32 v14, 21, v14
	v_and_b32_e32 v15, 0x80000000, v15
	v_lshl_add_u32 v65, v66, 23, v34
	v_or3_b32 v66, v15, v65, v14
.LBB94_909:                             ;   in Loop: Header=BB94_17 Depth=1
	s_or_b64 exec, exec, s[58:59]
                                        ; implicit-def: $vgpr14_vgpr15
.LBB94_910:                             ;   in Loop: Header=BB94_17 Depth=1
	s_andn2_saveexec_b64 s[54:55], s[54:55]
	s_cbranch_execz .LBB94_912
; %bb.911:                              ;   in Loop: Header=BB94_17 Depth=1
	flat_load_ubyte v14, v[14:15]
	s_mov_b32 vcc_lo, 0x7f800000
	s_waitcnt vmcnt(0) lgkmcnt(0)
	v_lshlrev_b32_e32 v14, 24, v14
	v_and_b32_e32 v15, 0x7f000000, v14
	v_ffbh_u32_e32 v65, v15
	v_min_u32_e32 v65, 32, v65
	v_sub_u32_e64 v65, v65, 4 clamp
	v_lshlrev_b32_e32 v67, v65, v15
	v_lshlrev_b32_e32 v65, 23, v65
	v_lshrrev_b32_e32 v67, 4, v67
	v_add_u32_e32 v66, 0x1000000, v15
	v_sub_u32_e32 v65, v67, v65
	v_ashrrev_i32_e32 v66, 8, v66
	v_add_u32_e32 v65, 0x3c000000, v65
	v_and_or_b32 v65, v66, vcc_lo, v65
	v_cmp_ne_u32_e32 vcc, 0, v15
	v_cndmask_b32_e32 v15, 0, v65, vcc
	s_brev_b32 vcc_lo, 1
	v_and_or_b32 v66, v14, vcc_lo, v15
.LBB94_912:                             ;   in Loop: Header=BB94_17 Depth=1
	s_or_b64 exec, exec, s[54:55]
                                        ; implicit-def: $vgpr14_vgpr15
.LBB94_913:                             ;   in Loop: Header=BB94_17 Depth=1
	s_andn2_saveexec_b64 s[52:53], s[52:53]
	s_cbranch_execz .LBB94_915
; %bb.914:                              ;   in Loop: Header=BB94_17 Depth=1
	flat_load_ubyte v14, v[14:15]
	s_movk_i32 vcc_lo, 0x7f00
	s_waitcnt vmcnt(0) lgkmcnt(0)
	v_lshlrev_b16_e32 v15, 8, v14
	v_lshlrev_b32_e32 v14, 25, v14
	v_lshrrev_b32_e32 v65, 4, v14
	v_and_or_b32 v66, v15, vcc_lo, 0.5
	v_or_b32_e32 v65, 0x70000000, v65
	s_brev_b32 vcc_lo, 16
	v_add_f32_e32 v66, -0.5, v66
	v_mul_f32_e32 v65, 0x7800000, v65
	v_cmp_gt_u32_e32 vcc, vcc_lo, v14
	v_cndmask_b32_e32 v14, v65, v66, vcc
	v_bfe_i32 v15, v15, 0, 16
	s_brev_b32 vcc_lo, 1
	v_and_or_b32 v66, v15, vcc_lo, v14
.LBB94_915:                             ;   in Loop: Header=BB94_17 Depth=1
	s_or_b64 exec, exec, s[52:53]
	s_or_b64 s[52:53], s[46:47], exec
                                        ; implicit-def: $vgpr14_vgpr15
.LBB94_916:                             ;   in Loop: Header=BB94_17 Depth=1
	s_or_saveexec_b64 s[50:51], s[50:51]
                                        ; implicit-def: $vcc
                                        ; implicit-def: $sgpr58_sgpr59
	s_xor_b64 exec, exec, s[50:51]
	s_cbranch_execz .LBB94_926
; %bb.917:                              ;   in Loop: Header=BB94_17 Depth=1
	v_cmp_gt_i16_sdwa vcc, v7, v35 src0_sel:BYTE_0 src1_sel:DWORD
	s_mov_b64 s[56:57], s[52:53]
                                        ; implicit-def: $sgpr58_sgpr59
                                        ; implicit-def: $sgpr54_sgpr55
                                        ; implicit-def: $vgpr66
	s_and_saveexec_b64 s[60:61], vcc
	s_xor_b64 vcc, exec, s[60:61]
	s_cbranch_execz .LBB94_921
; %bb.918:                              ;   in Loop: Header=BB94_17 Depth=1
	v_cmp_eq_u16_sdwa s[58:59], v7, v36 src0_sel:BYTE_0 src1_sel:DWORD
	s_mov_b64 s[56:57], s[52:53]
                                        ; implicit-def: $vgpr66
	s_and_saveexec_b64 s[54:55], s[58:59]
	s_cbranch_execz .LBB94_920
; %bb.919:                              ;   in Loop: Header=BB94_17 Depth=1
	flat_load_ushort v14, v[14:15]
	s_or_b64 s[56:57], s[52:53], exec
	s_waitcnt vmcnt(0) lgkmcnt(0)
	v_lshlrev_b32_e32 v66, 16, v14
.LBB94_920:                             ;   in Loop: Header=BB94_17 Depth=1
	s_or_b64 exec, exec, s[54:55]
	s_andn2_b64 s[60:61], s[52:53], exec
	s_and_b64 s[56:57], s[56:57], exec
	s_mov_b64 s[54:55], -1
	s_mov_b64 s[58:59], 0
	s_or_b64 s[56:57], s[60:61], s[56:57]
                                        ; implicit-def: $vgpr14_vgpr15
.LBB94_921:                             ;   in Loop: Header=BB94_17 Depth=1
	s_andn2_saveexec_b64 s[60:61], vcc
	s_cbranch_execz .LBB94_925
; %bb.922:                              ;   in Loop: Header=BB94_17 Depth=1
	v_cmp_eq_u16_sdwa s[64:65], v7, v37 src0_sel:BYTE_0 src1_sel:DWORD
	s_mov_b64 vcc, s[56:57]
                                        ; implicit-def: $vgpr66
	s_and_saveexec_b64 s[62:63], s[64:65]
	s_cbranch_execz .LBB94_924
; %bb.923:                              ;   in Loop: Header=BB94_17 Depth=1
	flat_load_ubyte v14, v[14:15]
	s_waitcnt vmcnt(0) lgkmcnt(0)
	v_cmp_ne_u16_e32 vcc, 0, v14
	v_cndmask_b32_e64 v66, 0, 1.0, vcc
	s_or_b64 vcc, s[56:57], exec
.LBB94_924:                             ;   in Loop: Header=BB94_17 Depth=1
	s_or_b64 exec, exec, s[62:63]
	s_andn2_b64 s[56:57], s[56:57], exec
	s_and_b64 vcc, vcc, exec
	s_andn2_b64 s[58:59], s[58:59], exec
	s_or_b64 s[54:55], s[54:55], exec
	s_or_b64 s[56:57], s[56:57], vcc
.LBB94_925:                             ;   in Loop: Header=BB94_17 Depth=1
	s_or_b64 exec, exec, s[60:61]
	s_and_b64 vcc, s[54:55], exec
	s_andn2_b64 s[52:53], s[52:53], exec
	s_and_b64 s[54:55], s[56:57], exec
	s_and_b64 s[58:59], s[58:59], exec
	s_or_b64 s[52:53], s[52:53], s[54:55]
.LBB94_926:                             ;   in Loop: Header=BB94_17 Depth=1
	s_or_b64 exec, exec, s[50:51]
	s_andn2_b64 s[48:49], s[48:49], exec
	s_and_b64 vcc, vcc, exec
	s_andn2_b64 s[38:39], s[38:39], exec
	s_and_b64 s[50:51], s[58:59], exec
	s_or_b64 s[48:49], s[48:49], vcc
	s_andn2_b64 vcc, s[46:47], exec
	s_and_b64 s[46:47], s[52:53], exec
	s_or_b64 s[38:39], s[38:39], s[50:51]
	s_or_b64 s[46:47], vcc, s[46:47]
.LBB94_927:                             ;   in Loop: Header=BB94_17 Depth=1
	s_or_b64 exec, exec, s[36:37]
	s_and_b64 s[38:39], s[38:39], exec
	s_and_b64 s[36:37], s[48:49], exec
	s_and_b64 vcc, s[46:47], exec
                                        ; implicit-def: $vgpr14_vgpr15
	s_andn2_saveexec_b64 s[44:45], s[44:45]
	s_cbranch_execz .LBB94_764
.LBB94_928:                             ;   in Loop: Header=BB94_17 Depth=1
	v_cmp_gt_i16_sdwa s[46:47], v7, v38 src0_sel:BYTE_0 src1_sel:DWORD
                                        ; implicit-def: $vgpr66
	s_and_saveexec_b64 s[48:49], s[46:47]
	s_xor_b64 s[46:47], exec, s[48:49]
	s_cbranch_execz .LBB94_950
; %bb.929:                              ;   in Loop: Header=BB94_17 Depth=1
	v_cmp_gt_i16_sdwa s[48:49], v7, v39 src0_sel:BYTE_0 src1_sel:DWORD
                                        ; implicit-def: $vgpr66
	s_and_saveexec_b64 s[50:51], s[48:49]
	s_xor_b64 s[48:49], exec, s[50:51]
	s_cbranch_execz .LBB94_939
; %bb.930:                              ;   in Loop: Header=BB94_17 Depth=1
	;; [unrolled: 6-line block ×4, first 2 shown]
	flat_load_dwordx2 v[14:15], v[14:15]
	s_waitcnt vmcnt(0) lgkmcnt(0)
	v_cvt_f32_f64_e32 v66, v[14:15]
                                        ; implicit-def: $vgpr14_vgpr15
.LBB94_933:                             ;   in Loop: Header=BB94_17 Depth=1
	s_andn2_saveexec_b64 s[52:53], s[52:53]
	s_cbranch_execz .LBB94_935
; %bb.934:                              ;   in Loop: Header=BB94_17 Depth=1
	flat_load_dword v66, v[14:15]
.LBB94_935:                             ;   in Loop: Header=BB94_17 Depth=1
	s_or_b64 exec, exec, s[52:53]
                                        ; implicit-def: $vgpr14_vgpr15
.LBB94_936:                             ;   in Loop: Header=BB94_17 Depth=1
	s_andn2_saveexec_b64 s[50:51], s[50:51]
	s_cbranch_execz .LBB94_938
; %bb.937:                              ;   in Loop: Header=BB94_17 Depth=1
	flat_load_dword v14, v[14:15]
	s_waitcnt vmcnt(0) lgkmcnt(0)
	v_cvt_f32_f16_e32 v66, v14
.LBB94_938:                             ;   in Loop: Header=BB94_17 Depth=1
	s_or_b64 exec, exec, s[50:51]
                                        ; implicit-def: $vgpr14_vgpr15
.LBB94_939:                             ;   in Loop: Header=BB94_17 Depth=1
	s_andn2_saveexec_b64 s[48:49], s[48:49]
	s_cbranch_execz .LBB94_949
; %bb.940:                              ;   in Loop: Header=BB94_17 Depth=1
	v_cmp_gt_i16_sdwa s[50:51], v7, v50 src0_sel:BYTE_0 src1_sel:DWORD
                                        ; implicit-def: $vgpr66
	s_and_saveexec_b64 s[52:53], s[50:51]
	s_xor_b64 s[50:51], exec, s[52:53]
	s_cbranch_execz .LBB94_946
; %bb.941:                              ;   in Loop: Header=BB94_17 Depth=1
	v_cmp_gt_i16_sdwa s[52:53], v7, v51 src0_sel:BYTE_0 src1_sel:DWORD
                                        ; implicit-def: $vgpr66
	s_and_saveexec_b64 s[54:55], s[52:53]
	s_xor_b64 s[52:53], exec, s[54:55]
	s_cbranch_execz .LBB94_943
; %bb.942:                              ;   in Loop: Header=BB94_17 Depth=1
	flat_load_dwordx2 v[14:15], v[14:15]
	s_waitcnt vmcnt(0) lgkmcnt(0)
	v_cvt_f32_f64_e32 v66, v[14:15]
                                        ; implicit-def: $vgpr14_vgpr15
.LBB94_943:                             ;   in Loop: Header=BB94_17 Depth=1
	s_andn2_saveexec_b64 s[52:53], s[52:53]
	s_cbranch_execz .LBB94_945
; %bb.944:                              ;   in Loop: Header=BB94_17 Depth=1
	s_waitcnt vmcnt(0) lgkmcnt(0)
	flat_load_dword v66, v[14:15]
.LBB94_945:                             ;   in Loop: Header=BB94_17 Depth=1
	s_or_b64 exec, exec, s[52:53]
                                        ; implicit-def: $vgpr14_vgpr15
.LBB94_946:                             ;   in Loop: Header=BB94_17 Depth=1
	s_andn2_saveexec_b64 s[50:51], s[50:51]
	s_cbranch_execz .LBB94_948
; %bb.947:                              ;   in Loop: Header=BB94_17 Depth=1
	flat_load_ushort v14, v[14:15]
	s_waitcnt vmcnt(0) lgkmcnt(0)
	v_cvt_f32_f16_e32 v66, v14
.LBB94_948:                             ;   in Loop: Header=BB94_17 Depth=1
	s_or_b64 exec, exec, s[50:51]
.LBB94_949:                             ;   in Loop: Header=BB94_17 Depth=1
	s_or_b64 exec, exec, s[48:49]
                                        ; implicit-def: $vgpr14_vgpr15
.LBB94_950:                             ;   in Loop: Header=BB94_17 Depth=1
	s_andn2_saveexec_b64 s[46:47], s[46:47]
	s_cbranch_execz .LBB94_968
; %bb.951:                              ;   in Loop: Header=BB94_17 Depth=1
	v_cmp_gt_i16_sdwa s[48:49], v7, v52 src0_sel:BYTE_0 src1_sel:DWORD
                                        ; implicit-def: $vgpr66
	s_and_saveexec_b64 s[50:51], s[48:49]
	s_xor_b64 s[48:49], exec, s[50:51]
	s_cbranch_execz .LBB94_961
; %bb.952:                              ;   in Loop: Header=BB94_17 Depth=1
	v_cmp_gt_i16_sdwa s[50:51], v7, v53 src0_sel:BYTE_0 src1_sel:DWORD
                                        ; implicit-def: $vgpr66
	s_and_saveexec_b64 s[52:53], s[50:51]
	s_xor_b64 s[50:51], exec, s[52:53]
	;; [unrolled: 6-line block ×3, first 2 shown]
	s_cbranch_execz .LBB94_955
; %bb.954:                              ;   in Loop: Header=BB94_17 Depth=1
	flat_load_dwordx2 v[14:15], v[14:15]
	s_waitcnt vmcnt(0) lgkmcnt(0)
	v_xor_b32_e32 v66, v14, v15
	v_ffbh_i32_e32 v65, v15
	v_ashrrev_i32_e32 v66, 31, v66
	v_add_u32_e32 v65, -1, v65
	v_add_u32_e32 v66, 32, v66
	v_min_u32_e32 v65, v65, v66
	v_lshlrev_b64 v[14:15], v65, v[14:15]
	v_min_u32_e32 v14, 1, v14
	v_or_b32_e32 v14, v15, v14
	v_cvt_f32_i32_e32 v14, v14
	v_sub_u32_e32 v15, 32, v65
	v_ldexp_f32 v66, v14, v15
                                        ; implicit-def: $vgpr14_vgpr15
.LBB94_955:                             ;   in Loop: Header=BB94_17 Depth=1
	s_andn2_saveexec_b64 s[52:53], s[52:53]
	s_cbranch_execz .LBB94_957
; %bb.956:                              ;   in Loop: Header=BB94_17 Depth=1
	flat_load_dword v14, v[14:15]
	s_waitcnt vmcnt(0) lgkmcnt(0)
	v_cvt_f32_i32_e32 v66, v14
.LBB94_957:                             ;   in Loop: Header=BB94_17 Depth=1
	s_or_b64 exec, exec, s[52:53]
                                        ; implicit-def: $vgpr14_vgpr15
.LBB94_958:                             ;   in Loop: Header=BB94_17 Depth=1
	s_andn2_saveexec_b64 s[50:51], s[50:51]
	s_cbranch_execz .LBB94_960
; %bb.959:                              ;   in Loop: Header=BB94_17 Depth=1
	flat_load_sshort v14, v[14:15]
	s_waitcnt vmcnt(0) lgkmcnt(0)
	v_cvt_f32_i32_e32 v66, v14
.LBB94_960:                             ;   in Loop: Header=BB94_17 Depth=1
	s_or_b64 exec, exec, s[50:51]
                                        ; implicit-def: $vgpr14_vgpr15
.LBB94_961:                             ;   in Loop: Header=BB94_17 Depth=1
	s_andn2_saveexec_b64 s[48:49], s[48:49]
	s_cbranch_execz .LBB94_967
; %bb.962:                              ;   in Loop: Header=BB94_17 Depth=1
	v_cmp_gt_i16_sdwa s[50:51], v7, v16 src0_sel:BYTE_0 src1_sel:DWORD
                                        ; implicit-def: $vgpr66
	s_and_saveexec_b64 s[52:53], s[50:51]
	s_xor_b64 s[50:51], exec, s[52:53]
	s_cbranch_execz .LBB94_964
; %bb.963:                              ;   in Loop: Header=BB94_17 Depth=1
	flat_load_sbyte v14, v[14:15]
	s_waitcnt vmcnt(0) lgkmcnt(0)
	v_cvt_f32_i32_e32 v66, v14
                                        ; implicit-def: $vgpr14_vgpr15
.LBB94_964:                             ;   in Loop: Header=BB94_17 Depth=1
	s_andn2_saveexec_b64 s[50:51], s[50:51]
	s_cbranch_execz .LBB94_966
; %bb.965:                              ;   in Loop: Header=BB94_17 Depth=1
	flat_load_ubyte v14, v[14:15]
	s_waitcnt vmcnt(0) lgkmcnt(0)
	v_cvt_f32_ubyte0_e32 v66, v14
.LBB94_966:                             ;   in Loop: Header=BB94_17 Depth=1
	s_or_b64 exec, exec, s[50:51]
.LBB94_967:                             ;   in Loop: Header=BB94_17 Depth=1
	s_or_b64 exec, exec, s[48:49]
.LBB94_968:                             ;   in Loop: Header=BB94_17 Depth=1
	s_or_b64 exec, exec, s[46:47]
	s_andn2_b64 s[38:39], s[38:39], exec
	s_andn2_b64 s[36:37], s[36:37], exec
	s_or_b64 vcc, vcc, exec
	s_or_b64 exec, exec, s[44:45]
	s_mov_b64 s[46:47], 0
	s_and_saveexec_b64 s[44:45], vcc
	s_cbranch_execz .LBB94_974
.LBB94_969:                             ;   in Loop: Header=BB94_17 Depth=1
	v_mul_lo_u32 v14, v64, v10
	v_readlane_b32 s46, v44, 0
	v_add_co_u32_e32 v14, vcc, v4, v14
	v_add_u32_e32 v65, s46, v17
	v_addc_co_u32_e32 v15, vcc, 0, v5, vcc
	v_cmp_gt_i16_sdwa s[46:47], v8, v18 src0_sel:BYTE_0 src1_sel:DWORD
	s_mov_b64 s[50:51], 0
	s_waitcnt vmcnt(0) lgkmcnt(0)
	buffer_store_dword v66, v65, s[0:3], 0 offen offset:36
                                        ; implicit-def: $vcc
                                        ; implicit-def: $sgpr48_sgpr49
                                        ; implicit-def: $vgpr64
	s_and_saveexec_b64 s[52:53], s[46:47]
	s_xor_b64 s[46:47], exec, s[52:53]
	s_cbranch_execnz .LBB94_992
; %bb.970:                              ;   in Loop: Header=BB94_17 Depth=1
	s_andn2_saveexec_b64 s[46:47], s[46:47]
	s_cbranch_execnz .LBB94_1051
.LBB94_971:                             ;   in Loop: Header=BB94_17 Depth=1
	s_or_b64 exec, exec, s[46:47]
	s_mov_b64 s[46:47], 0
	s_and_saveexec_b64 s[52:53], s[50:51]
	s_cbranch_execz .LBB94_973
.LBB94_972:                             ;   in Loop: Header=BB94_17 Depth=1
	s_mov_b64 s[46:47], exec
	v_add_u32_e32 v55, 0x200, v55
	s_andn2_b64 s[48:49], s[48:49], exec
	s_andn2_b64 vcc, vcc, exec
	s_waitcnt vmcnt(0) lgkmcnt(0)
	buffer_store_dword v64, v65, s[0:3], 0 offen offset:32
.LBB94_973:                             ;   in Loop: Header=BB94_17 Depth=1
	s_or_b64 exec, exec, s[52:53]
	s_andn2_b64 s[38:39], s[38:39], exec
	s_and_b64 s[48:49], s[48:49], exec
	s_andn2_b64 s[36:37], s[36:37], exec
	s_and_b64 vcc, vcc, exec
	s_or_b64 s[38:39], s[38:39], s[48:49]
	s_or_b64 s[36:37], s[36:37], vcc
	s_and_b64 s[46:47], s[46:47], exec
.LBB94_974:                             ;   in Loop: Header=BB94_17 Depth=1
	s_or_b64 exec, exec, s[44:45]
	s_and_b64 s[38:39], s[38:39], exec
	s_and_b64 s[36:37], s[36:37], exec
	s_orn2_b64 s[44:45], s[46:47], exec
.LBB94_975:                             ;   in Loop: Header=BB94_17 Depth=1
	s_or_b64 exec, exec, s[40:41]
	s_and_saveexec_b64 s[40:41], s[44:45]
	s_cbranch_execz .LBB94_12
; %bb.976:                              ;   in Loop: Header=BB94_17 Depth=1
	v_cmp_lt_i32_e32 vcc, v55, v6
	s_mov_b64 s[48:49], -1
	s_mov_b64 s[50:51], -1
                                        ; implicit-def: $sgpr42_sgpr43
                                        ; implicit-def: $sgpr44_sgpr45
	s_and_saveexec_b64 s[46:47], vcc
	s_cbranch_execz .LBB94_1198
; %bb.977:                              ;   in Loop: Header=BB94_17 Depth=1
	v_readlane_b32 vcc_lo, v44, 1
	s_waitcnt vmcnt(0) lgkmcnt(0)
	v_add_u32_e32 v64, vcc_lo, v55
	v_mul_lo_u32 v14, v64, v9
	v_add_co_u32_e32 v14, vcc, v2, v14
	v_addc_co_u32_e32 v15, vcc, 0, v3, vcc
	v_cmp_gt_i16_sdwa s[50:51], v7, v18 src0_sel:BYTE_0 src1_sel:DWORD
	s_mov_b64 vcc, 0
                                        ; implicit-def: $sgpr42_sgpr43
                                        ; implicit-def: $sgpr44_sgpr45
                                        ; implicit-def: $vgpr66
	s_and_saveexec_b64 s[52:53], s[50:51]
	s_xor_b64 s[50:51], exec, s[52:53]
	s_cbranch_execnz .LBB94_1092
; %bb.978:                              ;   in Loop: Header=BB94_17 Depth=1
	s_andn2_saveexec_b64 s[50:51], s[50:51]
	s_cbranch_execnz .LBB94_1151
.LBB94_979:                             ;   in Loop: Header=BB94_17 Depth=1
	s_or_b64 exec, exec, s[50:51]
	s_mov_b64 s[52:53], 0
	s_and_saveexec_b64 s[50:51], vcc
	s_cbranch_execnz .LBB94_1192
	s_branch .LBB94_1197
.LBB94_980:                             ;   in Loop: Header=BB94_17 Depth=1
	s_movk_i32 vcc_lo, 0x80
	v_cmp_eq_u16_e32 vcc, vcc_lo, v14
	s_mov_b64 s[36:37], -1
                                        ; implicit-def: $sgpr42
	s_and_saveexec_b64 s[40:41], vcc
; %bb.981:                              ;   in Loop: Header=BB94_17 Depth=1
	s_mov_b32 s42, 0x7f800001
	s_xor_b64 s[36:37], exec, -1
; %bb.982:                              ;   in Loop: Header=BB94_17 Depth=1
	s_or_b64 exec, exec, s[40:41]
	s_and_b64 s[36:37], s[36:37], exec
	s_or_saveexec_b64 s[38:39], s[38:39]
	v_mov_b32_e32 v66, s42
	s_xor_b64 exec, exec, s[38:39]
	s_cbranch_execz .LBB94_59
.LBB94_983:                             ;   in Loop: Header=BB94_17 Depth=1
	v_cmp_ne_u16_e32 vcc, 0, v14
	s_andn2_b64 s[36:37], s[36:37], exec
	s_and_b64 vcc, vcc, exec
	v_mov_b32_e32 v66, 0
	s_or_b64 s[36:37], s[36:37], vcc
	s_or_b64 exec, exec, s[38:39]
	s_and_saveexec_b64 s[38:39], s[36:37]
	s_cbranch_execnz .LBB94_60
	s_branch .LBB94_61
.LBB94_984:                             ;   in Loop: Header=BB94_17 Depth=1
	s_movk_i32 vcc_lo, 0x80
	v_cmp_eq_u16_e32 vcc, vcc_lo, v14
	s_mov_b64 s[40:41], -1
                                        ; implicit-def: $sgpr46
	s_and_saveexec_b64 s[44:45], vcc
; %bb.985:                              ;   in Loop: Header=BB94_17 Depth=1
	s_mov_b32 s46, 0x7f800001
	s_xor_b64 s[40:41], exec, -1
; %bb.986:                              ;   in Loop: Header=BB94_17 Depth=1
	s_or_b64 exec, exec, s[44:45]
	s_and_b64 s[40:41], s[40:41], exec
	s_or_saveexec_b64 s[42:43], s[42:43]
	v_mov_b32_e32 v64, s46
	s_xor_b64 exec, exec, s[42:43]
	s_cbranch_execz .LBB94_159
.LBB94_987:                             ;   in Loop: Header=BB94_17 Depth=1
	v_cmp_ne_u16_e32 vcc, 0, v14
	s_andn2_b64 s[40:41], s[40:41], exec
	s_and_b64 vcc, vcc, exec
	v_mov_b32_e32 v64, 0
	s_or_b64 s[40:41], s[40:41], vcc
	s_or_b64 exec, exec, s[42:43]
	s_and_saveexec_b64 s[42:43], s[40:41]
	s_cbranch_execnz .LBB94_160
	s_branch .LBB94_161
.LBB94_988:                             ;   in Loop: Header=BB94_17 Depth=1
	s_movk_i32 vcc_lo, 0x80
	v_cmp_eq_u16_e32 vcc, vcc_lo, v14
	s_mov_b64 s[36:37], -1
                                        ; implicit-def: $sgpr42
	s_and_saveexec_b64 s[40:41], vcc
; %bb.989:                              ;   in Loop: Header=BB94_17 Depth=1
	s_mov_b32 s42, 0x7f800001
	s_xor_b64 s[36:37], exec, -1
; %bb.990:                              ;   in Loop: Header=BB94_17 Depth=1
	s_or_b64 exec, exec, s[40:41]
	s_and_b64 s[36:37], s[36:37], exec
	s_or_saveexec_b64 s[38:39], s[38:39]
	v_mov_b32_e32 v66, s42
	s_xor_b64 exec, exec, s[38:39]
	s_cbranch_execz .LBB94_259
.LBB94_991:                             ;   in Loop: Header=BB94_17 Depth=1
	v_cmp_ne_u16_e32 vcc, 0, v14
	s_andn2_b64 s[36:37], s[36:37], exec
	s_and_b64 vcc, vcc, exec
	v_mov_b32_e32 v66, 0
	s_or_b64 s[36:37], s[36:37], vcc
	s_or_b64 exec, exec, s[38:39]
	s_and_saveexec_b64 s[38:39], s[36:37]
	s_cbranch_execnz .LBB94_260
	s_branch .LBB94_261
.LBB94_992:                             ;   in Loop: Header=BB94_17 Depth=1
	v_cmp_gt_i16_sdwa vcc, v8, v19 src0_sel:BYTE_0 src1_sel:DWORD
                                        ; implicit-def: $sgpr52_sgpr53
                                        ; implicit-def: $sgpr54_sgpr55
                                        ; implicit-def: $vgpr64
	s_and_saveexec_b64 s[48:49], vcc
	s_xor_b64 s[48:49], exec, s[48:49]
	s_cbranch_execz .LBB94_1024
; %bb.993:                              ;   in Loop: Header=BB94_17 Depth=1
	v_cmp_gt_i16_sdwa vcc, v8, v20 src0_sel:BYTE_0 src1_sel:DWORD
                                        ; implicit-def: $sgpr52_sgpr53
                                        ; implicit-def: $sgpr56_sgpr57
                                        ; implicit-def: $vgpr64
	s_and_saveexec_b64 s[54:55], vcc
	s_xor_b64 s[54:55], exec, s[54:55]
	s_cbranch_execz .LBB94_1009
; %bb.994:                              ;   in Loop: Header=BB94_17 Depth=1
	v_cmp_gt_i16_sdwa s[50:51], v8, v21 src0_sel:BYTE_0 src1_sel:DWORD
	s_mov_b64 s[58:59], 0
                                        ; implicit-def: $vcc
                                        ; implicit-def: $sgpr56_sgpr57
                                        ; implicit-def: $vgpr64
	s_and_saveexec_b64 s[52:53], s[50:51]
	s_xor_b64 s[50:51], exec, s[52:53]
	s_cbranch_execz .LBB94_1004
; %bb.995:                              ;   in Loop: Header=BB94_17 Depth=1
	v_cmp_gt_i16_sdwa vcc, v8, v22 src0_sel:BYTE_0 src1_sel:DWORD
                                        ; implicit-def: $sgpr56_sgpr57
                                        ; implicit-def: $sgpr52_sgpr53
                                        ; implicit-def: $vgpr64
	s_and_saveexec_b64 s[60:61], vcc
	s_xor_b64 vcc, exec, s[60:61]
	s_cbranch_execz .LBB94_999
; %bb.996:                              ;   in Loop: Header=BB94_17 Depth=1
	v_cmp_eq_u16_sdwa s[60:61], v8, v23 src0_sel:BYTE_0 src1_sel:DWORD
	s_mov_b64 s[52:53], 0
                                        ; implicit-def: $vgpr64
	s_and_saveexec_b64 s[56:57], s[60:61]
	s_cbranch_execz .LBB94_998
; %bb.997:                              ;   in Loop: Header=BB94_17 Depth=1
	flat_load_dword v14, v[14:15]
	s_mov_b64 s[58:59], exec
	s_waitcnt vmcnt(0) lgkmcnt(0)
	v_lshlrev_b32_e32 v64, 16, v14
.LBB94_998:                             ;   in Loop: Header=BB94_17 Depth=1
	s_or_b64 exec, exec, s[56:57]
	s_mov_b64 s[56:57], -1
	s_and_b64 s[58:59], s[58:59], exec
                                        ; implicit-def: $vgpr14_vgpr15
.LBB94_999:                             ;   in Loop: Header=BB94_17 Depth=1
	s_andn2_saveexec_b64 s[60:61], vcc
	s_cbranch_execz .LBB94_1003
; %bb.1000:                             ;   in Loop: Header=BB94_17 Depth=1
	v_cmp_eq_u16_sdwa s[64:65], v8, v24 src0_sel:BYTE_0 src1_sel:DWORD
	s_mov_b64 vcc, s[58:59]
                                        ; implicit-def: $vgpr64
	s_and_saveexec_b64 s[62:63], s[64:65]
	s_cbranch_execz .LBB94_1002
; %bb.1001:                             ;   in Loop: Header=BB94_17 Depth=1
	flat_load_ubyte v14, v[14:15]
	s_movk_i32 vcc_lo, 0xff
	s_waitcnt vmcnt(0) lgkmcnt(0)
	v_lshlrev_b32_e32 v15, 23, v14
	v_cmp_ne_u32_e32 vcc, vcc_lo, v14
	v_cndmask_b32_e32 v15, v25, v15, vcc
	v_cmp_ne_u32_e32 vcc, 0, v14
	v_cndmask_b32_e32 v64, v26, v15, vcc
	s_or_b64 vcc, s[58:59], exec
.LBB94_1002:                            ;   in Loop: Header=BB94_17 Depth=1
	s_or_b64 exec, exec, s[62:63]
	s_andn2_b64 s[58:59], s[58:59], exec
	s_and_b64 vcc, vcc, exec
	s_or_b64 s[56:57], s[56:57], exec
	s_andn2_b64 s[52:53], s[52:53], exec
	s_or_b64 s[58:59], s[58:59], vcc
.LBB94_1003:                            ;   in Loop: Header=BB94_17 Depth=1
	s_or_b64 exec, exec, s[60:61]
	s_and_b64 s[56:57], s[56:57], exec
	s_and_b64 vcc, s[52:53], exec
	s_and_b64 s[58:59], s[58:59], exec
                                        ; implicit-def: $vgpr14_vgpr15
.LBB94_1004:                            ;   in Loop: Header=BB94_17 Depth=1
	s_andn2_saveexec_b64 s[50:51], s[50:51]
	s_cbranch_execz .LBB94_1008
; %bb.1005:                             ;   in Loop: Header=BB94_17 Depth=1
	v_cmp_eq_u16_sdwa s[62:63], v8, v27 src0_sel:BYTE_0 src1_sel:DWORD
	s_mov_b64 s[60:61], s[58:59]
                                        ; implicit-def: $vgpr64
	s_and_saveexec_b64 s[52:53], s[62:63]
	s_cbranch_execz .LBB94_1007
; %bb.1006:                             ;   in Loop: Header=BB94_17 Depth=1
	flat_load_dwordx2 v[14:15], v[14:15]
	s_or_b64 s[60:61], s[58:59], exec
	s_waitcnt vmcnt(0) lgkmcnt(0)
	v_ffbh_u32_e32 v64, v15
	v_min_u32_e32 v64, 32, v64
	v_lshlrev_b64 v[14:15], v64, v[14:15]
	v_min_u32_e32 v14, 1, v14
	v_or_b32_e32 v14, v15, v14
	v_cvt_f32_u32_e32 v14, v14
	v_sub_u32_e32 v15, 32, v64
	v_ldexp_f32 v64, v14, v15
.LBB94_1007:                            ;   in Loop: Header=BB94_17 Depth=1
	s_or_b64 exec, exec, s[52:53]
	s_andn2_b64 s[52:53], s[58:59], exec
	s_and_b64 s[58:59], s[60:61], exec
	s_or_b64 s[56:57], s[56:57], exec
	s_andn2_b64 vcc, vcc, exec
	s_or_b64 s[58:59], s[52:53], s[58:59]
.LBB94_1008:                            ;   in Loop: Header=BB94_17 Depth=1
	s_or_b64 exec, exec, s[50:51]
	s_and_b64 s[56:57], s[56:57], exec
	s_and_b64 s[52:53], vcc, exec
	s_and_b64 s[50:51], s[58:59], exec
                                        ; implicit-def: $vgpr14_vgpr15
.LBB94_1009:                            ;   in Loop: Header=BB94_17 Depth=1
	s_andn2_saveexec_b64 s[54:55], s[54:55]
	s_cbranch_execz .LBB94_1023
; %bb.1010:                             ;   in Loop: Header=BB94_17 Depth=1
	v_cmp_gt_i16_sdwa vcc, v8, v28 src0_sel:BYTE_0 src1_sel:DWORD
                                        ; implicit-def: $vgpr64
	s_and_saveexec_b64 s[58:59], vcc
	s_xor_b64 vcc, exec, s[58:59]
	s_cbranch_execz .LBB94_1016
; %bb.1011:                             ;   in Loop: Header=BB94_17 Depth=1
	v_cmp_gt_i16_sdwa s[58:59], v8, v29 src0_sel:BYTE_0 src1_sel:DWORD
                                        ; implicit-def: $vgpr64
	s_and_saveexec_b64 s[60:61], s[58:59]
	s_xor_b64 s[58:59], exec, s[60:61]
	s_cbranch_execz .LBB94_1013
; %bb.1012:                             ;   in Loop: Header=BB94_17 Depth=1
	flat_load_dword v14, v[14:15]
	s_waitcnt vmcnt(0) lgkmcnt(0)
	v_cvt_f32_u32_e32 v64, v14
                                        ; implicit-def: $vgpr14_vgpr15
.LBB94_1013:                            ;   in Loop: Header=BB94_17 Depth=1
	s_andn2_saveexec_b64 s[58:59], s[58:59]
	s_cbranch_execz .LBB94_1015
; %bb.1014:                             ;   in Loop: Header=BB94_17 Depth=1
	flat_load_ushort v14, v[14:15]
	s_waitcnt vmcnt(0) lgkmcnt(0)
	v_cvt_f32_u32_e32 v64, v14
.LBB94_1015:                            ;   in Loop: Header=BB94_17 Depth=1
	s_or_b64 exec, exec, s[58:59]
                                        ; implicit-def: $vgpr14_vgpr15
.LBB94_1016:                            ;   in Loop: Header=BB94_17 Depth=1
	s_andn2_saveexec_b64 s[58:59], vcc
	s_cbranch_execz .LBB94_1022
; %bb.1017:                             ;   in Loop: Header=BB94_17 Depth=1
	flat_load_ubyte v14, v[14:15]
	s_movk_i32 vcc_lo, 0x7f
	s_mov_b64 s[60:61], 0
                                        ; implicit-def: $sgpr66
	s_waitcnt vmcnt(0) lgkmcnt(0)
	v_cmp_lt_i16_e32 vcc, vcc_lo, v14
	s_and_saveexec_b64 s[62:63], vcc
	s_xor_b64 s[62:63], exec, s[62:63]
	s_cbranch_execnz .LBB94_1892
; %bb.1018:                             ;   in Loop: Header=BB94_17 Depth=1
	s_or_saveexec_b64 s[62:63], s[62:63]
	v_mov_b32_e32 v64, s66
	s_xor_b64 exec, exec, s[62:63]
	s_cbranch_execnz .LBB94_1895
.LBB94_1019:                            ;   in Loop: Header=BB94_17 Depth=1
	s_or_b64 exec, exec, s[62:63]
	s_and_saveexec_b64 s[62:63], s[60:61]
	s_cbranch_execz .LBB94_1021
.LBB94_1020:                            ;   in Loop: Header=BB94_17 Depth=1
	v_lshlrev_b32_e32 v15, 24, v14
	v_and_b32_e32 v14, 0xffff, v14
	v_and_b32_e32 v64, 7, v14
	v_ffbh_u32_e32 v67, v64
	v_min_u32_e32 v67, 32, v67
	v_subrev_u32_e32 v68, 28, v67
	v_bfe_u32 v66, v14, 3, 4
	v_lshlrev_b32_e32 v14, v68, v14
	v_sub_u32_e32 v67, 29, v67
	v_and_b32_e32 v14, 7, v14
	v_cmp_eq_u32_e32 vcc, 0, v66
	v_cndmask_b32_e32 v66, v66, v67, vcc
	v_cndmask_b32_e32 v14, v64, v14, vcc
	v_lshlrev_b32_e32 v14, 20, v14
	v_and_b32_e32 v15, 0x80000000, v15
	v_lshl_add_u32 v64, v66, 23, v30
	v_or3_b32 v64, v15, v64, v14
.LBB94_1021:                            ;   in Loop: Header=BB94_17 Depth=1
	s_or_b64 exec, exec, s[62:63]
.LBB94_1022:                            ;   in Loop: Header=BB94_17 Depth=1
	s_or_b64 exec, exec, s[58:59]
	s_andn2_b64 s[56:57], s[56:57], exec
	s_andn2_b64 s[52:53], s[52:53], exec
	s_or_b64 s[50:51], s[50:51], exec
.LBB94_1023:                            ;   in Loop: Header=BB94_17 Depth=1
	s_or_b64 exec, exec, s[54:55]
	s_and_b64 s[54:55], s[56:57], exec
	s_and_b64 s[52:53], s[52:53], exec
	;; [unrolled: 1-line block ×3, first 2 shown]
                                        ; implicit-def: $vgpr14_vgpr15
.LBB94_1024:                            ;   in Loop: Header=BB94_17 Depth=1
	s_andn2_saveexec_b64 s[48:49], s[48:49]
	s_cbranch_execz .LBB94_1050
; %bb.1025:                             ;   in Loop: Header=BB94_17 Depth=1
	v_cmp_gt_i16_sdwa vcc, v8, v31 src0_sel:BYTE_0 src1_sel:DWORD
	s_mov_b64 s[58:59], s[50:51]
                                        ; implicit-def: $vgpr64
	s_and_saveexec_b64 s[56:57], vcc
	s_xor_b64 s[56:57], exec, s[56:57]
	s_cbranch_execz .LBB94_1039
; %bb.1026:                             ;   in Loop: Header=BB94_17 Depth=1
	v_cmp_gt_i16_sdwa vcc, v8, v32 src0_sel:BYTE_0 src1_sel:DWORD
                                        ; implicit-def: $vgpr64
	s_and_saveexec_b64 s[58:59], vcc
	s_xor_b64 s[58:59], exec, s[58:59]
	s_cbranch_execz .LBB94_1036
; %bb.1027:                             ;   in Loop: Header=BB94_17 Depth=1
	v_cmp_gt_i16_sdwa vcc, v8, v33 src0_sel:BYTE_0 src1_sel:DWORD
                                        ; implicit-def: $vgpr64
	s_and_saveexec_b64 s[60:61], vcc
	s_xor_b64 s[60:61], exec, s[60:61]
	s_cbranch_execz .LBB94_1033
; %bb.1028:                             ;   in Loop: Header=BB94_17 Depth=1
	flat_load_ubyte v14, v[14:15]
	s_movk_i32 vcc_lo, 0x7f
	s_mov_b64 s[62:63], 0
                                        ; implicit-def: $sgpr68
	s_waitcnt vmcnt(0) lgkmcnt(0)
	v_cmp_lt_i16_e32 vcc, vcc_lo, v14
	s_and_saveexec_b64 s[64:65], vcc
	s_xor_b64 s[64:65], exec, s[64:65]
	s_cbranch_execnz .LBB94_2111
; %bb.1029:                             ;   in Loop: Header=BB94_17 Depth=1
	s_or_saveexec_b64 s[64:65], s[64:65]
	v_mov_b32_e32 v64, s68
	s_xor_b64 exec, exec, s[64:65]
	s_cbranch_execnz .LBB94_2114
.LBB94_1030:                            ;   in Loop: Header=BB94_17 Depth=1
	s_or_b64 exec, exec, s[64:65]
	s_and_saveexec_b64 s[64:65], s[62:63]
	s_cbranch_execz .LBB94_1032
.LBB94_1031:                            ;   in Loop: Header=BB94_17 Depth=1
	v_lshlrev_b32_e32 v15, 24, v14
	v_and_b32_e32 v14, 0xffff, v14
	v_and_b32_e32 v64, 3, v14
	v_ffbh_u32_e32 v67, v64
	v_min_u32_e32 v67, 32, v67
	v_subrev_u32_e32 v68, 29, v67
	v_bfe_u32 v66, v14, 2, 5
	v_lshlrev_b32_e32 v14, v68, v14
	v_sub_u32_e32 v67, 30, v67
	v_and_b32_e32 v14, 3, v14
	v_cmp_eq_u32_e32 vcc, 0, v66
	v_cndmask_b32_e32 v66, v66, v67, vcc
	v_cndmask_b32_e32 v14, v64, v14, vcc
	v_lshlrev_b32_e32 v14, 21, v14
	v_and_b32_e32 v15, 0x80000000, v15
	v_lshl_add_u32 v64, v66, 23, v34
	v_or3_b32 v64, v15, v64, v14
.LBB94_1032:                            ;   in Loop: Header=BB94_17 Depth=1
	s_or_b64 exec, exec, s[64:65]
                                        ; implicit-def: $vgpr14_vgpr15
.LBB94_1033:                            ;   in Loop: Header=BB94_17 Depth=1
	s_andn2_saveexec_b64 s[60:61], s[60:61]
	s_cbranch_execz .LBB94_1035
; %bb.1034:                             ;   in Loop: Header=BB94_17 Depth=1
	flat_load_ubyte v14, v[14:15]
	s_mov_b32 vcc_lo, 0x7f800000
	s_waitcnt vmcnt(0) lgkmcnt(0)
	v_lshlrev_b32_e32 v14, 24, v14
	v_and_b32_e32 v15, 0x7f000000, v14
	v_ffbh_u32_e32 v64, v15
	v_min_u32_e32 v64, 32, v64
	v_sub_u32_e64 v64, v64, 4 clamp
	v_lshlrev_b32_e32 v67, v64, v15
	v_lshlrev_b32_e32 v64, 23, v64
	v_lshrrev_b32_e32 v67, 4, v67
	v_add_u32_e32 v66, 0x1000000, v15
	v_sub_u32_e32 v64, v67, v64
	v_ashrrev_i32_e32 v66, 8, v66
	v_add_u32_e32 v64, 0x3c000000, v64
	v_and_or_b32 v64, v66, vcc_lo, v64
	v_cmp_ne_u32_e32 vcc, 0, v15
	v_cndmask_b32_e32 v15, 0, v64, vcc
	s_brev_b32 vcc_lo, 1
	v_and_or_b32 v64, v14, vcc_lo, v15
.LBB94_1035:                            ;   in Loop: Header=BB94_17 Depth=1
	s_or_b64 exec, exec, s[60:61]
                                        ; implicit-def: $vgpr14_vgpr15
.LBB94_1036:                            ;   in Loop: Header=BB94_17 Depth=1
	s_andn2_saveexec_b64 s[58:59], s[58:59]
	s_cbranch_execz .LBB94_1038
; %bb.1037:                             ;   in Loop: Header=BB94_17 Depth=1
	flat_load_ubyte v14, v[14:15]
	s_movk_i32 vcc_lo, 0x7f00
	s_waitcnt vmcnt(0) lgkmcnt(0)
	v_lshlrev_b16_e32 v15, 8, v14
	v_lshlrev_b32_e32 v14, 25, v14
	v_lshrrev_b32_e32 v64, 4, v14
	v_and_or_b32 v66, v15, vcc_lo, 0.5
	v_or_b32_e32 v64, 0x70000000, v64
	s_brev_b32 vcc_lo, 16
	v_add_f32_e32 v66, -0.5, v66
	v_mul_f32_e32 v64, 0x7800000, v64
	v_cmp_gt_u32_e32 vcc, vcc_lo, v14
	v_cndmask_b32_e32 v14, v64, v66, vcc
	v_bfe_i32 v15, v15, 0, 16
	s_brev_b32 vcc_lo, 1
	v_and_or_b32 v64, v15, vcc_lo, v14
.LBB94_1038:                            ;   in Loop: Header=BB94_17 Depth=1
	s_or_b64 exec, exec, s[58:59]
	s_or_b64 s[58:59], s[50:51], exec
                                        ; implicit-def: $vgpr14_vgpr15
.LBB94_1039:                            ;   in Loop: Header=BB94_17 Depth=1
	s_or_saveexec_b64 s[56:57], s[56:57]
                                        ; implicit-def: $vcc
                                        ; implicit-def: $sgpr64_sgpr65
	s_xor_b64 exec, exec, s[56:57]
	s_cbranch_execz .LBB94_1049
; %bb.1040:                             ;   in Loop: Header=BB94_17 Depth=1
	v_cmp_gt_i16_sdwa vcc, v8, v35 src0_sel:BYTE_0 src1_sel:DWORD
	s_mov_b64 s[62:63], s[58:59]
                                        ; implicit-def: $sgpr64_sgpr65
                                        ; implicit-def: $sgpr60_sgpr61
                                        ; implicit-def: $vgpr64
	s_and_saveexec_b64 s[66:67], vcc
	s_xor_b64 vcc, exec, s[66:67]
	s_cbranch_execz .LBB94_1044
; %bb.1041:                             ;   in Loop: Header=BB94_17 Depth=1
	v_cmp_eq_u16_sdwa s[64:65], v8, v36 src0_sel:BYTE_0 src1_sel:DWORD
	s_mov_b64 s[62:63], s[58:59]
                                        ; implicit-def: $vgpr64
	s_and_saveexec_b64 s[60:61], s[64:65]
	s_cbranch_execz .LBB94_1043
; %bb.1042:                             ;   in Loop: Header=BB94_17 Depth=1
	flat_load_ushort v14, v[14:15]
	s_or_b64 s[62:63], s[58:59], exec
	s_waitcnt vmcnt(0) lgkmcnt(0)
	v_lshlrev_b32_e32 v64, 16, v14
.LBB94_1043:                            ;   in Loop: Header=BB94_17 Depth=1
	s_or_b64 exec, exec, s[60:61]
	s_andn2_b64 s[66:67], s[58:59], exec
	s_and_b64 s[62:63], s[62:63], exec
	s_mov_b64 s[60:61], 0
	s_mov_b64 s[64:65], -1
	s_or_b64 s[62:63], s[66:67], s[62:63]
                                        ; implicit-def: $vgpr14_vgpr15
.LBB94_1044:                            ;   in Loop: Header=BB94_17 Depth=1
	s_andn2_saveexec_b64 s[66:67], vcc
	s_cbranch_execz .LBB94_1048
; %bb.1045:                             ;   in Loop: Header=BB94_17 Depth=1
	v_cmp_eq_u16_sdwa s[70:71], v8, v37 src0_sel:BYTE_0 src1_sel:DWORD
	s_mov_b64 vcc, s[62:63]
                                        ; implicit-def: $vgpr64
	s_and_saveexec_b64 s[68:69], s[70:71]
	s_cbranch_execz .LBB94_1047
; %bb.1046:                             ;   in Loop: Header=BB94_17 Depth=1
	flat_load_ubyte v14, v[14:15]
	s_waitcnt vmcnt(0) lgkmcnt(0)
	v_cmp_ne_u16_e32 vcc, 0, v14
	v_cndmask_b32_e64 v64, 0, 1.0, vcc
	s_or_b64 vcc, s[62:63], exec
.LBB94_1047:                            ;   in Loop: Header=BB94_17 Depth=1
	s_or_b64 exec, exec, s[68:69]
	s_andn2_b64 s[62:63], s[62:63], exec
	s_and_b64 vcc, vcc, exec
	s_or_b64 s[64:65], s[64:65], exec
	s_andn2_b64 s[60:61], s[60:61], exec
	s_or_b64 s[62:63], s[62:63], vcc
.LBB94_1048:                            ;   in Loop: Header=BB94_17 Depth=1
	s_or_b64 exec, exec, s[66:67]
	s_and_b64 vcc, s[60:61], exec
	s_andn2_b64 s[58:59], s[58:59], exec
	s_and_b64 s[60:61], s[62:63], exec
	s_and_b64 s[64:65], s[64:65], exec
	s_or_b64 s[58:59], s[58:59], s[60:61]
.LBB94_1049:                            ;   in Loop: Header=BB94_17 Depth=1
	s_or_b64 exec, exec, s[56:57]
	s_andn2_b64 s[52:53], s[52:53], exec
	s_and_b64 vcc, vcc, exec
	s_andn2_b64 s[54:55], s[54:55], exec
	s_and_b64 s[56:57], s[64:65], exec
	s_or_b64 s[52:53], s[52:53], vcc
	s_andn2_b64 vcc, s[50:51], exec
	s_and_b64 s[50:51], s[58:59], exec
	s_or_b64 s[54:55], s[54:55], s[56:57]
	s_or_b64 s[50:51], vcc, s[50:51]
.LBB94_1050:                            ;   in Loop: Header=BB94_17 Depth=1
	s_or_b64 exec, exec, s[48:49]
	s_and_b64 s[48:49], s[54:55], exec
	s_and_b64 vcc, s[52:53], exec
	s_and_b64 s[50:51], s[50:51], exec
                                        ; implicit-def: $vgpr14_vgpr15
	s_andn2_saveexec_b64 s[46:47], s[46:47]
	s_cbranch_execz .LBB94_971
.LBB94_1051:                            ;   in Loop: Header=BB94_17 Depth=1
	v_cmp_gt_i16_sdwa s[52:53], v8, v38 src0_sel:BYTE_0 src1_sel:DWORD
                                        ; implicit-def: $vgpr64
	s_and_saveexec_b64 s[54:55], s[52:53]
	s_xor_b64 s[52:53], exec, s[54:55]
	s_cbranch_execz .LBB94_1073
; %bb.1052:                             ;   in Loop: Header=BB94_17 Depth=1
	v_cmp_gt_i16_sdwa s[54:55], v8, v39 src0_sel:BYTE_0 src1_sel:DWORD
                                        ; implicit-def: $vgpr64
	s_and_saveexec_b64 s[56:57], s[54:55]
	s_xor_b64 s[54:55], exec, s[56:57]
	s_cbranch_execz .LBB94_1062
; %bb.1053:                             ;   in Loop: Header=BB94_17 Depth=1
	;; [unrolled: 6-line block ×4, first 2 shown]
	flat_load_dwordx2 v[14:15], v[14:15]
	s_waitcnt vmcnt(0) lgkmcnt(0)
	v_cvt_f32_f64_e32 v64, v[14:15]
                                        ; implicit-def: $vgpr14_vgpr15
.LBB94_1056:                            ;   in Loop: Header=BB94_17 Depth=1
	s_andn2_saveexec_b64 s[58:59], s[58:59]
	s_cbranch_execz .LBB94_1058
; %bb.1057:                             ;   in Loop: Header=BB94_17 Depth=1
	flat_load_dword v64, v[14:15]
.LBB94_1058:                            ;   in Loop: Header=BB94_17 Depth=1
	s_or_b64 exec, exec, s[58:59]
                                        ; implicit-def: $vgpr14_vgpr15
.LBB94_1059:                            ;   in Loop: Header=BB94_17 Depth=1
	s_andn2_saveexec_b64 s[56:57], s[56:57]
	s_cbranch_execz .LBB94_1061
; %bb.1060:                             ;   in Loop: Header=BB94_17 Depth=1
	flat_load_dword v14, v[14:15]
	s_waitcnt vmcnt(0) lgkmcnt(0)
	v_cvt_f32_f16_e32 v64, v14
.LBB94_1061:                            ;   in Loop: Header=BB94_17 Depth=1
	s_or_b64 exec, exec, s[56:57]
                                        ; implicit-def: $vgpr14_vgpr15
.LBB94_1062:                            ;   in Loop: Header=BB94_17 Depth=1
	s_andn2_saveexec_b64 s[54:55], s[54:55]
	s_cbranch_execz .LBB94_1072
; %bb.1063:                             ;   in Loop: Header=BB94_17 Depth=1
	v_cmp_gt_i16_sdwa s[56:57], v8, v50 src0_sel:BYTE_0 src1_sel:DWORD
                                        ; implicit-def: $vgpr64
	s_and_saveexec_b64 s[58:59], s[56:57]
	s_xor_b64 s[56:57], exec, s[58:59]
	s_cbranch_execz .LBB94_1069
; %bb.1064:                             ;   in Loop: Header=BB94_17 Depth=1
	v_cmp_gt_i16_sdwa s[58:59], v8, v51 src0_sel:BYTE_0 src1_sel:DWORD
                                        ; implicit-def: $vgpr64
	s_and_saveexec_b64 s[60:61], s[58:59]
	s_xor_b64 s[58:59], exec, s[60:61]
	s_cbranch_execz .LBB94_1066
; %bb.1065:                             ;   in Loop: Header=BB94_17 Depth=1
	flat_load_dwordx2 v[14:15], v[14:15]
	s_waitcnt vmcnt(0) lgkmcnt(0)
	v_cvt_f32_f64_e32 v64, v[14:15]
                                        ; implicit-def: $vgpr14_vgpr15
.LBB94_1066:                            ;   in Loop: Header=BB94_17 Depth=1
	s_andn2_saveexec_b64 s[58:59], s[58:59]
	s_cbranch_execz .LBB94_1068
; %bb.1067:                             ;   in Loop: Header=BB94_17 Depth=1
	s_waitcnt vmcnt(0) lgkmcnt(0)
	flat_load_dword v64, v[14:15]
.LBB94_1068:                            ;   in Loop: Header=BB94_17 Depth=1
	s_or_b64 exec, exec, s[58:59]
                                        ; implicit-def: $vgpr14_vgpr15
.LBB94_1069:                            ;   in Loop: Header=BB94_17 Depth=1
	s_andn2_saveexec_b64 s[56:57], s[56:57]
	s_cbranch_execz .LBB94_1071
; %bb.1070:                             ;   in Loop: Header=BB94_17 Depth=1
	flat_load_ushort v14, v[14:15]
	s_waitcnt vmcnt(0) lgkmcnt(0)
	v_cvt_f32_f16_e32 v64, v14
.LBB94_1071:                            ;   in Loop: Header=BB94_17 Depth=1
	s_or_b64 exec, exec, s[56:57]
.LBB94_1072:                            ;   in Loop: Header=BB94_17 Depth=1
	s_or_b64 exec, exec, s[54:55]
                                        ; implicit-def: $vgpr14_vgpr15
.LBB94_1073:                            ;   in Loop: Header=BB94_17 Depth=1
	s_andn2_saveexec_b64 s[52:53], s[52:53]
	s_cbranch_execz .LBB94_1091
; %bb.1074:                             ;   in Loop: Header=BB94_17 Depth=1
	v_cmp_gt_i16_sdwa s[54:55], v8, v52 src0_sel:BYTE_0 src1_sel:DWORD
                                        ; implicit-def: $vgpr64
	s_and_saveexec_b64 s[56:57], s[54:55]
	s_xor_b64 s[54:55], exec, s[56:57]
	s_cbranch_execz .LBB94_1084
; %bb.1075:                             ;   in Loop: Header=BB94_17 Depth=1
	v_cmp_gt_i16_sdwa s[56:57], v8, v53 src0_sel:BYTE_0 src1_sel:DWORD
                                        ; implicit-def: $vgpr64
	s_and_saveexec_b64 s[58:59], s[56:57]
	s_xor_b64 s[56:57], exec, s[58:59]
	;; [unrolled: 6-line block ×3, first 2 shown]
	s_cbranch_execz .LBB94_1078
; %bb.1077:                             ;   in Loop: Header=BB94_17 Depth=1
	flat_load_dwordx2 v[14:15], v[14:15]
	s_waitcnt vmcnt(0) lgkmcnt(0)
	v_xor_b32_e32 v66, v14, v15
	v_ffbh_i32_e32 v64, v15
	v_ashrrev_i32_e32 v66, 31, v66
	v_add_u32_e32 v64, -1, v64
	v_add_u32_e32 v66, 32, v66
	v_min_u32_e32 v64, v64, v66
	v_lshlrev_b64 v[14:15], v64, v[14:15]
	v_min_u32_e32 v14, 1, v14
	v_or_b32_e32 v14, v15, v14
	v_cvt_f32_i32_e32 v14, v14
	v_sub_u32_e32 v15, 32, v64
	v_ldexp_f32 v64, v14, v15
                                        ; implicit-def: $vgpr14_vgpr15
.LBB94_1078:                            ;   in Loop: Header=BB94_17 Depth=1
	s_andn2_saveexec_b64 s[58:59], s[58:59]
	s_cbranch_execz .LBB94_1080
; %bb.1079:                             ;   in Loop: Header=BB94_17 Depth=1
	flat_load_dword v14, v[14:15]
	s_waitcnt vmcnt(0) lgkmcnt(0)
	v_cvt_f32_i32_e32 v64, v14
.LBB94_1080:                            ;   in Loop: Header=BB94_17 Depth=1
	s_or_b64 exec, exec, s[58:59]
                                        ; implicit-def: $vgpr14_vgpr15
.LBB94_1081:                            ;   in Loop: Header=BB94_17 Depth=1
	s_andn2_saveexec_b64 s[56:57], s[56:57]
	s_cbranch_execz .LBB94_1083
; %bb.1082:                             ;   in Loop: Header=BB94_17 Depth=1
	flat_load_sshort v14, v[14:15]
	s_waitcnt vmcnt(0) lgkmcnt(0)
	v_cvt_f32_i32_e32 v64, v14
.LBB94_1083:                            ;   in Loop: Header=BB94_17 Depth=1
	s_or_b64 exec, exec, s[56:57]
                                        ; implicit-def: $vgpr14_vgpr15
.LBB94_1084:                            ;   in Loop: Header=BB94_17 Depth=1
	s_andn2_saveexec_b64 s[54:55], s[54:55]
	s_cbranch_execz .LBB94_1090
; %bb.1085:                             ;   in Loop: Header=BB94_17 Depth=1
	v_cmp_gt_i16_sdwa s[56:57], v8, v16 src0_sel:BYTE_0 src1_sel:DWORD
                                        ; implicit-def: $vgpr64
	s_and_saveexec_b64 s[58:59], s[56:57]
	s_xor_b64 s[56:57], exec, s[58:59]
	s_cbranch_execz .LBB94_1087
; %bb.1086:                             ;   in Loop: Header=BB94_17 Depth=1
	flat_load_sbyte v14, v[14:15]
	s_waitcnt vmcnt(0) lgkmcnt(0)
	v_cvt_f32_i32_e32 v64, v14
                                        ; implicit-def: $vgpr14_vgpr15
.LBB94_1087:                            ;   in Loop: Header=BB94_17 Depth=1
	s_andn2_saveexec_b64 s[56:57], s[56:57]
	s_cbranch_execz .LBB94_1089
; %bb.1088:                             ;   in Loop: Header=BB94_17 Depth=1
	flat_load_ubyte v14, v[14:15]
	s_waitcnt vmcnt(0) lgkmcnt(0)
	v_cvt_f32_ubyte0_e32 v64, v14
.LBB94_1089:                            ;   in Loop: Header=BB94_17 Depth=1
	s_or_b64 exec, exec, s[56:57]
.LBB94_1090:                            ;   in Loop: Header=BB94_17 Depth=1
	s_or_b64 exec, exec, s[54:55]
.LBB94_1091:                            ;   in Loop: Header=BB94_17 Depth=1
	s_or_b64 exec, exec, s[52:53]
	s_andn2_b64 s[48:49], s[48:49], exec
	s_andn2_b64 vcc, vcc, exec
	s_or_b64 s[50:51], s[50:51], exec
	s_or_b64 exec, exec, s[46:47]
	s_mov_b64 s[46:47], 0
	s_and_saveexec_b64 s[52:53], s[50:51]
	s_cbranch_execnz .LBB94_972
	s_branch .LBB94_973
.LBB94_1092:                            ;   in Loop: Header=BB94_17 Depth=1
	v_cmp_gt_i16_sdwa vcc, v7, v19 src0_sel:BYTE_0 src1_sel:DWORD
	s_mov_b64 s[52:53], 0
                                        ; implicit-def: $sgpr54_sgpr55
                                        ; implicit-def: $sgpr44_sgpr45
                                        ; implicit-def: $vgpr66
	s_and_saveexec_b64 s[42:43], vcc
	s_xor_b64 s[42:43], exec, s[42:43]
	s_cbranch_execz .LBB94_1124
; %bb.1093:                             ;   in Loop: Header=BB94_17 Depth=1
	v_cmp_gt_i16_sdwa vcc, v7, v20 src0_sel:BYTE_0 src1_sel:DWORD
                                        ; implicit-def: $sgpr54_sgpr55
                                        ; implicit-def: $sgpr56_sgpr57
                                        ; implicit-def: $vgpr66
	s_and_saveexec_b64 s[44:45], vcc
	s_xor_b64 s[44:45], exec, s[44:45]
	s_cbranch_execz .LBB94_1109
; %bb.1094:                             ;   in Loop: Header=BB94_17 Depth=1
	v_cmp_gt_i16_sdwa s[52:53], v7, v21 src0_sel:BYTE_0 src1_sel:DWORD
	s_mov_b64 s[58:59], 0
                                        ; implicit-def: $vcc
                                        ; implicit-def: $sgpr54_sgpr55
                                        ; implicit-def: $vgpr66
	s_and_saveexec_b64 s[56:57], s[52:53]
	s_xor_b64 s[52:53], exec, s[56:57]
	s_cbranch_execz .LBB94_1104
; %bb.1095:                             ;   in Loop: Header=BB94_17 Depth=1
	v_cmp_gt_i16_sdwa vcc, v7, v22 src0_sel:BYTE_0 src1_sel:DWORD
	s_mov_b64 s[56:57], 0
                                        ; implicit-def: $sgpr54_sgpr55
                                        ; implicit-def: $sgpr58_sgpr59
                                        ; implicit-def: $vgpr66
	s_and_saveexec_b64 s[60:61], vcc
	s_xor_b64 vcc, exec, s[60:61]
	s_cbranch_execz .LBB94_1099
; %bb.1096:                             ;   in Loop: Header=BB94_17 Depth=1
	v_cmp_eq_u16_sdwa s[60:61], v7, v23 src0_sel:BYTE_0 src1_sel:DWORD
	s_mov_b64 s[54:55], 0
                                        ; implicit-def: $vgpr66
	s_and_saveexec_b64 s[58:59], s[60:61]
	s_cbranch_execz .LBB94_1098
; %bb.1097:                             ;   in Loop: Header=BB94_17 Depth=1
	flat_load_dword v14, v[14:15]
	s_mov_b64 s[56:57], exec
	s_waitcnt vmcnt(0) lgkmcnt(0)
	v_lshlrev_b32_e32 v66, 16, v14
.LBB94_1098:                            ;   in Loop: Header=BB94_17 Depth=1
	s_or_b64 exec, exec, s[58:59]
	s_mov_b64 s[58:59], -1
	s_and_b64 s[56:57], s[56:57], exec
                                        ; implicit-def: $vgpr14_vgpr15
.LBB94_1099:                            ;   in Loop: Header=BB94_17 Depth=1
	s_andn2_saveexec_b64 s[60:61], vcc
	s_cbranch_execz .LBB94_1103
; %bb.1100:                             ;   in Loop: Header=BB94_17 Depth=1
	v_cmp_eq_u16_sdwa s[64:65], v7, v24 src0_sel:BYTE_0 src1_sel:DWORD
	s_mov_b64 vcc, s[56:57]
                                        ; implicit-def: $vgpr66
	s_and_saveexec_b64 s[62:63], s[64:65]
	s_cbranch_execz .LBB94_1102
; %bb.1101:                             ;   in Loop: Header=BB94_17 Depth=1
	flat_load_ubyte v14, v[14:15]
	s_movk_i32 vcc_lo, 0xff
	s_waitcnt vmcnt(0) lgkmcnt(0)
	v_lshlrev_b32_e32 v15, 23, v14
	v_cmp_ne_u32_e32 vcc, vcc_lo, v14
	v_cndmask_b32_e32 v15, v25, v15, vcc
	v_cmp_ne_u32_e32 vcc, 0, v14
	v_cndmask_b32_e32 v66, v26, v15, vcc
	s_or_b64 vcc, s[56:57], exec
.LBB94_1102:                            ;   in Loop: Header=BB94_17 Depth=1
	s_or_b64 exec, exec, s[62:63]
	s_andn2_b64 s[56:57], s[56:57], exec
	s_and_b64 vcc, vcc, exec
	s_andn2_b64 s[54:55], s[54:55], exec
	s_or_b64 s[58:59], s[58:59], exec
	s_or_b64 s[56:57], s[56:57], vcc
.LBB94_1103:                            ;   in Loop: Header=BB94_17 Depth=1
	s_or_b64 exec, exec, s[60:61]
	s_and_b64 s[54:55], s[54:55], exec
	s_and_b64 vcc, s[58:59], exec
	s_and_b64 s[58:59], s[56:57], exec
                                        ; implicit-def: $vgpr14_vgpr15
.LBB94_1104:                            ;   in Loop: Header=BB94_17 Depth=1
	s_andn2_saveexec_b64 s[52:53], s[52:53]
	s_cbranch_execz .LBB94_1108
; %bb.1105:                             ;   in Loop: Header=BB94_17 Depth=1
	v_cmp_eq_u16_sdwa s[62:63], v7, v27 src0_sel:BYTE_0 src1_sel:DWORD
	s_mov_b64 s[60:61], s[58:59]
                                        ; implicit-def: $vgpr66
	s_and_saveexec_b64 s[56:57], s[62:63]
	s_cbranch_execz .LBB94_1107
; %bb.1106:                             ;   in Loop: Header=BB94_17 Depth=1
	flat_load_dwordx2 v[14:15], v[14:15]
	s_or_b64 s[60:61], s[58:59], exec
	s_waitcnt vmcnt(0) lgkmcnt(0)
	v_ffbh_u32_e32 v65, v15
	v_min_u32_e32 v65, 32, v65
	v_lshlrev_b64 v[14:15], v65, v[14:15]
	v_min_u32_e32 v14, 1, v14
	v_or_b32_e32 v14, v15, v14
	v_cvt_f32_u32_e32 v14, v14
	v_sub_u32_e32 v15, 32, v65
	v_ldexp_f32 v66, v14, v15
.LBB94_1107:                            ;   in Loop: Header=BB94_17 Depth=1
	s_or_b64 exec, exec, s[56:57]
	s_andn2_b64 s[56:57], s[58:59], exec
	s_and_b64 s[58:59], s[60:61], exec
	s_andn2_b64 s[54:55], s[54:55], exec
	s_or_b64 vcc, vcc, exec
	s_or_b64 s[58:59], s[56:57], s[58:59]
.LBB94_1108:                            ;   in Loop: Header=BB94_17 Depth=1
	s_or_b64 exec, exec, s[52:53]
	s_and_b64 s[56:57], s[54:55], exec
	s_and_b64 s[54:55], vcc, exec
	s_and_b64 s[52:53], s[58:59], exec
                                        ; implicit-def: $vgpr14_vgpr15
.LBB94_1109:                            ;   in Loop: Header=BB94_17 Depth=1
	s_andn2_saveexec_b64 s[44:45], s[44:45]
	s_cbranch_execz .LBB94_1123
; %bb.1110:                             ;   in Loop: Header=BB94_17 Depth=1
	v_cmp_gt_i16_sdwa vcc, v7, v28 src0_sel:BYTE_0 src1_sel:DWORD
                                        ; implicit-def: $vgpr66
	s_and_saveexec_b64 s[58:59], vcc
	s_xor_b64 vcc, exec, s[58:59]
	s_cbranch_execz .LBB94_1116
; %bb.1111:                             ;   in Loop: Header=BB94_17 Depth=1
	v_cmp_gt_i16_sdwa s[58:59], v7, v29 src0_sel:BYTE_0 src1_sel:DWORD
                                        ; implicit-def: $vgpr66
	s_and_saveexec_b64 s[60:61], s[58:59]
	s_xor_b64 s[58:59], exec, s[60:61]
	s_cbranch_execz .LBB94_1113
; %bb.1112:                             ;   in Loop: Header=BB94_17 Depth=1
	flat_load_dword v14, v[14:15]
	s_waitcnt vmcnt(0) lgkmcnt(0)
	v_cvt_f32_u32_e32 v66, v14
                                        ; implicit-def: $vgpr14_vgpr15
.LBB94_1113:                            ;   in Loop: Header=BB94_17 Depth=1
	s_andn2_saveexec_b64 s[58:59], s[58:59]
	s_cbranch_execz .LBB94_1115
; %bb.1114:                             ;   in Loop: Header=BB94_17 Depth=1
	flat_load_ushort v14, v[14:15]
	s_waitcnt vmcnt(0) lgkmcnt(0)
	v_cvt_f32_u32_e32 v66, v14
.LBB94_1115:                            ;   in Loop: Header=BB94_17 Depth=1
	s_or_b64 exec, exec, s[58:59]
                                        ; implicit-def: $vgpr14_vgpr15
.LBB94_1116:                            ;   in Loop: Header=BB94_17 Depth=1
	s_andn2_saveexec_b64 s[58:59], vcc
	s_cbranch_execz .LBB94_1122
; %bb.1117:                             ;   in Loop: Header=BB94_17 Depth=1
	flat_load_ubyte v14, v[14:15]
	s_movk_i32 vcc_lo, 0x7f
	s_mov_b64 s[60:61], 0
                                        ; implicit-def: $sgpr66
	s_waitcnt vmcnt(0) lgkmcnt(0)
	v_cmp_lt_i16_e32 vcc, vcc_lo, v14
	s_and_saveexec_b64 s[62:63], vcc
	s_xor_b64 s[62:63], exec, s[62:63]
	s_cbranch_execnz .LBB94_1896
; %bb.1118:                             ;   in Loop: Header=BB94_17 Depth=1
	s_or_saveexec_b64 s[62:63], s[62:63]
	v_mov_b32_e32 v66, s66
	s_xor_b64 exec, exec, s[62:63]
	s_cbranch_execnz .LBB94_1899
.LBB94_1119:                            ;   in Loop: Header=BB94_17 Depth=1
	s_or_b64 exec, exec, s[62:63]
	s_and_saveexec_b64 s[62:63], s[60:61]
	s_cbranch_execz .LBB94_1121
.LBB94_1120:                            ;   in Loop: Header=BB94_17 Depth=1
	v_lshlrev_b32_e32 v15, 24, v14
	v_and_b32_e32 v14, 0xffff, v14
	v_and_b32_e32 v65, 7, v14
	v_ffbh_u32_e32 v67, v65
	v_min_u32_e32 v67, 32, v67
	v_subrev_u32_e32 v68, 28, v67
	v_bfe_u32 v66, v14, 3, 4
	v_lshlrev_b32_e32 v14, v68, v14
	v_sub_u32_e32 v67, 29, v67
	v_and_b32_e32 v14, 7, v14
	v_cmp_eq_u32_e32 vcc, 0, v66
	v_cndmask_b32_e32 v66, v66, v67, vcc
	v_cndmask_b32_e32 v14, v65, v14, vcc
	v_lshlrev_b32_e32 v14, 20, v14
	v_and_b32_e32 v15, 0x80000000, v15
	v_lshl_add_u32 v65, v66, 23, v30
	v_or3_b32 v66, v15, v65, v14
.LBB94_1121:                            ;   in Loop: Header=BB94_17 Depth=1
	s_or_b64 exec, exec, s[62:63]
.LBB94_1122:                            ;   in Loop: Header=BB94_17 Depth=1
	s_or_b64 exec, exec, s[58:59]
	s_andn2_b64 s[56:57], s[56:57], exec
	s_andn2_b64 s[54:55], s[54:55], exec
	s_or_b64 s[52:53], s[52:53], exec
.LBB94_1123:                            ;   in Loop: Header=BB94_17 Depth=1
	s_or_b64 exec, exec, s[44:45]
	s_and_b64 s[44:45], s[56:57], exec
	s_and_b64 s[54:55], s[54:55], exec
	;; [unrolled: 1-line block ×3, first 2 shown]
                                        ; implicit-def: $vgpr14_vgpr15
.LBB94_1124:                            ;   in Loop: Header=BB94_17 Depth=1
	s_andn2_saveexec_b64 s[42:43], s[42:43]
	s_cbranch_execz .LBB94_1150
; %bb.1125:                             ;   in Loop: Header=BB94_17 Depth=1
	v_cmp_gt_i16_sdwa vcc, v7, v31 src0_sel:BYTE_0 src1_sel:DWORD
	s_mov_b64 s[58:59], s[52:53]
                                        ; implicit-def: $vgpr66
	s_and_saveexec_b64 s[56:57], vcc
	s_xor_b64 s[56:57], exec, s[56:57]
	s_cbranch_execz .LBB94_1139
; %bb.1126:                             ;   in Loop: Header=BB94_17 Depth=1
	v_cmp_gt_i16_sdwa vcc, v7, v32 src0_sel:BYTE_0 src1_sel:DWORD
                                        ; implicit-def: $vgpr66
	s_and_saveexec_b64 s[58:59], vcc
	s_xor_b64 s[58:59], exec, s[58:59]
	s_cbranch_execz .LBB94_1136
; %bb.1127:                             ;   in Loop: Header=BB94_17 Depth=1
	v_cmp_gt_i16_sdwa vcc, v7, v33 src0_sel:BYTE_0 src1_sel:DWORD
                                        ; implicit-def: $vgpr66
	s_and_saveexec_b64 s[60:61], vcc
	s_xor_b64 s[60:61], exec, s[60:61]
	s_cbranch_execz .LBB94_1133
; %bb.1128:                             ;   in Loop: Header=BB94_17 Depth=1
	flat_load_ubyte v14, v[14:15]
	s_movk_i32 vcc_lo, 0x7f
	s_mov_b64 s[62:63], 0
                                        ; implicit-def: $sgpr68
	s_waitcnt vmcnt(0) lgkmcnt(0)
	v_cmp_lt_i16_e32 vcc, vcc_lo, v14
	s_and_saveexec_b64 s[64:65], vcc
	s_xor_b64 s[64:65], exec, s[64:65]
	s_cbranch_execnz .LBB94_2115
; %bb.1129:                             ;   in Loop: Header=BB94_17 Depth=1
	s_or_saveexec_b64 s[64:65], s[64:65]
	v_mov_b32_e32 v66, s68
	s_xor_b64 exec, exec, s[64:65]
	s_cbranch_execnz .LBB94_2118
.LBB94_1130:                            ;   in Loop: Header=BB94_17 Depth=1
	s_or_b64 exec, exec, s[64:65]
	s_and_saveexec_b64 s[64:65], s[62:63]
	s_cbranch_execz .LBB94_1132
.LBB94_1131:                            ;   in Loop: Header=BB94_17 Depth=1
	v_lshlrev_b32_e32 v15, 24, v14
	v_and_b32_e32 v14, 0xffff, v14
	v_and_b32_e32 v65, 3, v14
	v_ffbh_u32_e32 v67, v65
	v_min_u32_e32 v67, 32, v67
	v_subrev_u32_e32 v68, 29, v67
	v_bfe_u32 v66, v14, 2, 5
	v_lshlrev_b32_e32 v14, v68, v14
	v_sub_u32_e32 v67, 30, v67
	v_and_b32_e32 v14, 3, v14
	v_cmp_eq_u32_e32 vcc, 0, v66
	v_cndmask_b32_e32 v66, v66, v67, vcc
	v_cndmask_b32_e32 v14, v65, v14, vcc
	v_lshlrev_b32_e32 v14, 21, v14
	v_and_b32_e32 v15, 0x80000000, v15
	v_lshl_add_u32 v65, v66, 23, v34
	v_or3_b32 v66, v15, v65, v14
.LBB94_1132:                            ;   in Loop: Header=BB94_17 Depth=1
	s_or_b64 exec, exec, s[64:65]
                                        ; implicit-def: $vgpr14_vgpr15
.LBB94_1133:                            ;   in Loop: Header=BB94_17 Depth=1
	s_andn2_saveexec_b64 s[60:61], s[60:61]
	s_cbranch_execz .LBB94_1135
; %bb.1134:                             ;   in Loop: Header=BB94_17 Depth=1
	flat_load_ubyte v14, v[14:15]
	s_mov_b32 vcc_lo, 0x7f800000
	s_waitcnt vmcnt(0) lgkmcnt(0)
	v_lshlrev_b32_e32 v14, 24, v14
	v_and_b32_e32 v15, 0x7f000000, v14
	v_ffbh_u32_e32 v65, v15
	v_min_u32_e32 v65, 32, v65
	v_sub_u32_e64 v65, v65, 4 clamp
	v_lshlrev_b32_e32 v67, v65, v15
	v_lshlrev_b32_e32 v65, 23, v65
	v_lshrrev_b32_e32 v67, 4, v67
	v_add_u32_e32 v66, 0x1000000, v15
	v_sub_u32_e32 v65, v67, v65
	v_ashrrev_i32_e32 v66, 8, v66
	v_add_u32_e32 v65, 0x3c000000, v65
	v_and_or_b32 v65, v66, vcc_lo, v65
	v_cmp_ne_u32_e32 vcc, 0, v15
	v_cndmask_b32_e32 v15, 0, v65, vcc
	s_brev_b32 vcc_lo, 1
	v_and_or_b32 v66, v14, vcc_lo, v15
.LBB94_1135:                            ;   in Loop: Header=BB94_17 Depth=1
	s_or_b64 exec, exec, s[60:61]
                                        ; implicit-def: $vgpr14_vgpr15
.LBB94_1136:                            ;   in Loop: Header=BB94_17 Depth=1
	s_andn2_saveexec_b64 s[58:59], s[58:59]
	s_cbranch_execz .LBB94_1138
; %bb.1137:                             ;   in Loop: Header=BB94_17 Depth=1
	flat_load_ubyte v14, v[14:15]
	s_movk_i32 vcc_lo, 0x7f00
	s_waitcnt vmcnt(0) lgkmcnt(0)
	v_lshlrev_b16_e32 v15, 8, v14
	v_lshlrev_b32_e32 v14, 25, v14
	v_lshrrev_b32_e32 v65, 4, v14
	v_and_or_b32 v66, v15, vcc_lo, 0.5
	v_or_b32_e32 v65, 0x70000000, v65
	s_brev_b32 vcc_lo, 16
	v_add_f32_e32 v66, -0.5, v66
	v_mul_f32_e32 v65, 0x7800000, v65
	v_cmp_gt_u32_e32 vcc, vcc_lo, v14
	v_cndmask_b32_e32 v14, v65, v66, vcc
	v_bfe_i32 v15, v15, 0, 16
	s_brev_b32 vcc_lo, 1
	v_and_or_b32 v66, v15, vcc_lo, v14
.LBB94_1138:                            ;   in Loop: Header=BB94_17 Depth=1
	s_or_b64 exec, exec, s[58:59]
	s_or_b64 s[58:59], s[52:53], exec
                                        ; implicit-def: $vgpr14_vgpr15
.LBB94_1139:                            ;   in Loop: Header=BB94_17 Depth=1
	s_or_saveexec_b64 s[56:57], s[56:57]
                                        ; implicit-def: $vcc
                                        ; implicit-def: $sgpr64_sgpr65
	s_xor_b64 exec, exec, s[56:57]
	s_cbranch_execz .LBB94_1149
; %bb.1140:                             ;   in Loop: Header=BB94_17 Depth=1
	v_cmp_gt_i16_sdwa vcc, v7, v35 src0_sel:BYTE_0 src1_sel:DWORD
	s_mov_b64 s[62:63], s[58:59]
                                        ; implicit-def: $sgpr64_sgpr65
                                        ; implicit-def: $sgpr60_sgpr61
                                        ; implicit-def: $vgpr66
	s_and_saveexec_b64 s[66:67], vcc
	s_xor_b64 vcc, exec, s[66:67]
	s_cbranch_execz .LBB94_1144
; %bb.1141:                             ;   in Loop: Header=BB94_17 Depth=1
	v_cmp_eq_u16_sdwa s[64:65], v7, v36 src0_sel:BYTE_0 src1_sel:DWORD
	s_mov_b64 s[62:63], s[58:59]
                                        ; implicit-def: $vgpr66
	s_and_saveexec_b64 s[60:61], s[64:65]
	s_cbranch_execz .LBB94_1143
; %bb.1142:                             ;   in Loop: Header=BB94_17 Depth=1
	flat_load_ushort v14, v[14:15]
	s_or_b64 s[62:63], s[58:59], exec
	s_waitcnt vmcnt(0) lgkmcnt(0)
	v_lshlrev_b32_e32 v66, 16, v14
.LBB94_1143:                            ;   in Loop: Header=BB94_17 Depth=1
	s_or_b64 exec, exec, s[60:61]
	s_andn2_b64 s[66:67], s[58:59], exec
	s_and_b64 s[62:63], s[62:63], exec
	s_mov_b64 s[60:61], -1
	s_mov_b64 s[64:65], 0
	s_or_b64 s[62:63], s[66:67], s[62:63]
                                        ; implicit-def: $vgpr14_vgpr15
.LBB94_1144:                            ;   in Loop: Header=BB94_17 Depth=1
	s_andn2_saveexec_b64 s[66:67], vcc
	s_cbranch_execz .LBB94_1148
; %bb.1145:                             ;   in Loop: Header=BB94_17 Depth=1
	v_cmp_eq_u16_sdwa s[70:71], v7, v37 src0_sel:BYTE_0 src1_sel:DWORD
	s_mov_b64 vcc, s[62:63]
                                        ; implicit-def: $vgpr66
	s_and_saveexec_b64 s[68:69], s[70:71]
	s_cbranch_execz .LBB94_1147
; %bb.1146:                             ;   in Loop: Header=BB94_17 Depth=1
	flat_load_ubyte v14, v[14:15]
	s_waitcnt vmcnt(0) lgkmcnt(0)
	v_cmp_ne_u16_e32 vcc, 0, v14
	v_cndmask_b32_e64 v66, 0, 1.0, vcc
	s_or_b64 vcc, s[62:63], exec
.LBB94_1147:                            ;   in Loop: Header=BB94_17 Depth=1
	s_or_b64 exec, exec, s[68:69]
	s_andn2_b64 s[62:63], s[62:63], exec
	s_and_b64 vcc, vcc, exec
	s_andn2_b64 s[64:65], s[64:65], exec
	s_or_b64 s[60:61], s[60:61], exec
	s_or_b64 s[62:63], s[62:63], vcc
.LBB94_1148:                            ;   in Loop: Header=BB94_17 Depth=1
	s_or_b64 exec, exec, s[66:67]
	s_and_b64 vcc, s[60:61], exec
	s_andn2_b64 s[58:59], s[58:59], exec
	s_and_b64 s[60:61], s[62:63], exec
	s_and_b64 s[64:65], s[64:65], exec
	s_or_b64 s[58:59], s[58:59], s[60:61]
.LBB94_1149:                            ;   in Loop: Header=BB94_17 Depth=1
	s_or_b64 exec, exec, s[56:57]
	s_andn2_b64 s[54:55], s[54:55], exec
	s_and_b64 vcc, vcc, exec
	s_andn2_b64 s[44:45], s[44:45], exec
	s_and_b64 s[56:57], s[64:65], exec
	s_or_b64 s[54:55], s[54:55], vcc
	s_andn2_b64 vcc, s[52:53], exec
	s_and_b64 s[52:53], s[58:59], exec
	s_or_b64 s[44:45], s[44:45], s[56:57]
	s_or_b64 s[52:53], vcc, s[52:53]
.LBB94_1150:                            ;   in Loop: Header=BB94_17 Depth=1
	s_or_b64 exec, exec, s[42:43]
	s_and_b64 s[44:45], s[44:45], exec
	s_and_b64 s[42:43], s[54:55], exec
	s_and_b64 vcc, s[52:53], exec
                                        ; implicit-def: $vgpr14_vgpr15
	s_andn2_saveexec_b64 s[50:51], s[50:51]
	s_cbranch_execz .LBB94_979
.LBB94_1151:                            ;   in Loop: Header=BB94_17 Depth=1
	v_cmp_gt_i16_sdwa s[52:53], v7, v38 src0_sel:BYTE_0 src1_sel:DWORD
                                        ; implicit-def: $vgpr66
	s_and_saveexec_b64 s[54:55], s[52:53]
	s_xor_b64 s[52:53], exec, s[54:55]
	s_cbranch_execz .LBB94_1173
; %bb.1152:                             ;   in Loop: Header=BB94_17 Depth=1
	v_cmp_gt_i16_sdwa s[54:55], v7, v39 src0_sel:BYTE_0 src1_sel:DWORD
                                        ; implicit-def: $vgpr66
	s_and_saveexec_b64 s[56:57], s[54:55]
	s_xor_b64 s[54:55], exec, s[56:57]
	s_cbranch_execz .LBB94_1162
; %bb.1153:                             ;   in Loop: Header=BB94_17 Depth=1
	;; [unrolled: 6-line block ×4, first 2 shown]
	flat_load_dwordx2 v[14:15], v[14:15]
	s_waitcnt vmcnt(0) lgkmcnt(0)
	v_cvt_f32_f64_e32 v66, v[14:15]
                                        ; implicit-def: $vgpr14_vgpr15
.LBB94_1156:                            ;   in Loop: Header=BB94_17 Depth=1
	s_andn2_saveexec_b64 s[58:59], s[58:59]
	s_cbranch_execz .LBB94_1158
; %bb.1157:                             ;   in Loop: Header=BB94_17 Depth=1
	flat_load_dword v66, v[14:15]
.LBB94_1158:                            ;   in Loop: Header=BB94_17 Depth=1
	s_or_b64 exec, exec, s[58:59]
                                        ; implicit-def: $vgpr14_vgpr15
.LBB94_1159:                            ;   in Loop: Header=BB94_17 Depth=1
	s_andn2_saveexec_b64 s[56:57], s[56:57]
	s_cbranch_execz .LBB94_1161
; %bb.1160:                             ;   in Loop: Header=BB94_17 Depth=1
	flat_load_dword v14, v[14:15]
	s_waitcnt vmcnt(0) lgkmcnt(0)
	v_cvt_f32_f16_e32 v66, v14
.LBB94_1161:                            ;   in Loop: Header=BB94_17 Depth=1
	s_or_b64 exec, exec, s[56:57]
                                        ; implicit-def: $vgpr14_vgpr15
.LBB94_1162:                            ;   in Loop: Header=BB94_17 Depth=1
	s_andn2_saveexec_b64 s[54:55], s[54:55]
	s_cbranch_execz .LBB94_1172
; %bb.1163:                             ;   in Loop: Header=BB94_17 Depth=1
	v_cmp_gt_i16_sdwa s[56:57], v7, v50 src0_sel:BYTE_0 src1_sel:DWORD
                                        ; implicit-def: $vgpr66
	s_and_saveexec_b64 s[58:59], s[56:57]
	s_xor_b64 s[56:57], exec, s[58:59]
	s_cbranch_execz .LBB94_1169
; %bb.1164:                             ;   in Loop: Header=BB94_17 Depth=1
	v_cmp_gt_i16_sdwa s[58:59], v7, v51 src0_sel:BYTE_0 src1_sel:DWORD
                                        ; implicit-def: $vgpr66
	s_and_saveexec_b64 s[60:61], s[58:59]
	s_xor_b64 s[58:59], exec, s[60:61]
	s_cbranch_execz .LBB94_1166
; %bb.1165:                             ;   in Loop: Header=BB94_17 Depth=1
	flat_load_dwordx2 v[14:15], v[14:15]
	s_waitcnt vmcnt(0) lgkmcnt(0)
	v_cvt_f32_f64_e32 v66, v[14:15]
                                        ; implicit-def: $vgpr14_vgpr15
.LBB94_1166:                            ;   in Loop: Header=BB94_17 Depth=1
	s_andn2_saveexec_b64 s[58:59], s[58:59]
	s_cbranch_execz .LBB94_1168
; %bb.1167:                             ;   in Loop: Header=BB94_17 Depth=1
	s_waitcnt vmcnt(0) lgkmcnt(0)
	flat_load_dword v66, v[14:15]
.LBB94_1168:                            ;   in Loop: Header=BB94_17 Depth=1
	s_or_b64 exec, exec, s[58:59]
                                        ; implicit-def: $vgpr14_vgpr15
.LBB94_1169:                            ;   in Loop: Header=BB94_17 Depth=1
	s_andn2_saveexec_b64 s[56:57], s[56:57]
	s_cbranch_execz .LBB94_1171
; %bb.1170:                             ;   in Loop: Header=BB94_17 Depth=1
	flat_load_ushort v14, v[14:15]
	s_waitcnt vmcnt(0) lgkmcnt(0)
	v_cvt_f32_f16_e32 v66, v14
.LBB94_1171:                            ;   in Loop: Header=BB94_17 Depth=1
	s_or_b64 exec, exec, s[56:57]
.LBB94_1172:                            ;   in Loop: Header=BB94_17 Depth=1
	s_or_b64 exec, exec, s[54:55]
                                        ; implicit-def: $vgpr14_vgpr15
.LBB94_1173:                            ;   in Loop: Header=BB94_17 Depth=1
	s_andn2_saveexec_b64 s[52:53], s[52:53]
	s_cbranch_execz .LBB94_1191
; %bb.1174:                             ;   in Loop: Header=BB94_17 Depth=1
	v_cmp_gt_i16_sdwa s[54:55], v7, v52 src0_sel:BYTE_0 src1_sel:DWORD
                                        ; implicit-def: $vgpr66
	s_and_saveexec_b64 s[56:57], s[54:55]
	s_xor_b64 s[54:55], exec, s[56:57]
	s_cbranch_execz .LBB94_1184
; %bb.1175:                             ;   in Loop: Header=BB94_17 Depth=1
	v_cmp_gt_i16_sdwa s[56:57], v7, v53 src0_sel:BYTE_0 src1_sel:DWORD
                                        ; implicit-def: $vgpr66
	s_and_saveexec_b64 s[58:59], s[56:57]
	s_xor_b64 s[56:57], exec, s[58:59]
	;; [unrolled: 6-line block ×3, first 2 shown]
	s_cbranch_execz .LBB94_1178
; %bb.1177:                             ;   in Loop: Header=BB94_17 Depth=1
	flat_load_dwordx2 v[14:15], v[14:15]
	s_waitcnt vmcnt(0) lgkmcnt(0)
	v_xor_b32_e32 v66, v14, v15
	v_ffbh_i32_e32 v65, v15
	v_ashrrev_i32_e32 v66, 31, v66
	v_add_u32_e32 v65, -1, v65
	v_add_u32_e32 v66, 32, v66
	v_min_u32_e32 v65, v65, v66
	v_lshlrev_b64 v[14:15], v65, v[14:15]
	v_min_u32_e32 v14, 1, v14
	v_or_b32_e32 v14, v15, v14
	v_cvt_f32_i32_e32 v14, v14
	v_sub_u32_e32 v15, 32, v65
	v_ldexp_f32 v66, v14, v15
                                        ; implicit-def: $vgpr14_vgpr15
.LBB94_1178:                            ;   in Loop: Header=BB94_17 Depth=1
	s_andn2_saveexec_b64 s[58:59], s[58:59]
	s_cbranch_execz .LBB94_1180
; %bb.1179:                             ;   in Loop: Header=BB94_17 Depth=1
	flat_load_dword v14, v[14:15]
	s_waitcnt vmcnt(0) lgkmcnt(0)
	v_cvt_f32_i32_e32 v66, v14
.LBB94_1180:                            ;   in Loop: Header=BB94_17 Depth=1
	s_or_b64 exec, exec, s[58:59]
                                        ; implicit-def: $vgpr14_vgpr15
.LBB94_1181:                            ;   in Loop: Header=BB94_17 Depth=1
	s_andn2_saveexec_b64 s[56:57], s[56:57]
	s_cbranch_execz .LBB94_1183
; %bb.1182:                             ;   in Loop: Header=BB94_17 Depth=1
	flat_load_sshort v14, v[14:15]
	s_waitcnt vmcnt(0) lgkmcnt(0)
	v_cvt_f32_i32_e32 v66, v14
.LBB94_1183:                            ;   in Loop: Header=BB94_17 Depth=1
	s_or_b64 exec, exec, s[56:57]
                                        ; implicit-def: $vgpr14_vgpr15
.LBB94_1184:                            ;   in Loop: Header=BB94_17 Depth=1
	s_andn2_saveexec_b64 s[54:55], s[54:55]
	s_cbranch_execz .LBB94_1190
; %bb.1185:                             ;   in Loop: Header=BB94_17 Depth=1
	v_cmp_gt_i16_sdwa s[56:57], v7, v16 src0_sel:BYTE_0 src1_sel:DWORD
                                        ; implicit-def: $vgpr66
	s_and_saveexec_b64 s[58:59], s[56:57]
	s_xor_b64 s[56:57], exec, s[58:59]
	s_cbranch_execz .LBB94_1187
; %bb.1186:                             ;   in Loop: Header=BB94_17 Depth=1
	flat_load_sbyte v14, v[14:15]
	s_waitcnt vmcnt(0) lgkmcnt(0)
	v_cvt_f32_i32_e32 v66, v14
                                        ; implicit-def: $vgpr14_vgpr15
.LBB94_1187:                            ;   in Loop: Header=BB94_17 Depth=1
	s_andn2_saveexec_b64 s[56:57], s[56:57]
	s_cbranch_execz .LBB94_1189
; %bb.1188:                             ;   in Loop: Header=BB94_17 Depth=1
	flat_load_ubyte v14, v[14:15]
	s_waitcnt vmcnt(0) lgkmcnt(0)
	v_cvt_f32_ubyte0_e32 v66, v14
.LBB94_1189:                            ;   in Loop: Header=BB94_17 Depth=1
	s_or_b64 exec, exec, s[56:57]
.LBB94_1190:                            ;   in Loop: Header=BB94_17 Depth=1
	s_or_b64 exec, exec, s[54:55]
.LBB94_1191:                            ;   in Loop: Header=BB94_17 Depth=1
	s_or_b64 exec, exec, s[52:53]
	s_andn2_b64 s[44:45], s[44:45], exec
	s_andn2_b64 s[42:43], s[42:43], exec
	s_or_b64 vcc, vcc, exec
	s_or_b64 exec, exec, s[50:51]
	s_mov_b64 s[52:53], 0
	s_and_saveexec_b64 s[50:51], vcc
	s_cbranch_execz .LBB94_1197
.LBB94_1192:                            ;   in Loop: Header=BB94_17 Depth=1
	v_mul_lo_u32 v14, v64, v10
	v_readlane_b32 s52, v44, 0
	v_add_co_u32_e32 v14, vcc, v4, v14
	v_add_u32_e32 v65, s52, v17
	v_addc_co_u32_e32 v15, vcc, 0, v5, vcc
	v_cmp_gt_i16_sdwa s[52:53], v8, v18 src0_sel:BYTE_0 src1_sel:DWORD
	s_mov_b64 s[56:57], 0
	s_waitcnt vmcnt(0) lgkmcnt(0)
	buffer_store_dword v66, v65, s[0:3], 0 offen offset:44
                                        ; implicit-def: $vcc
                                        ; implicit-def: $sgpr54_sgpr55
                                        ; implicit-def: $vgpr64
	s_and_saveexec_b64 s[58:59], s[52:53]
	s_xor_b64 s[52:53], exec, s[58:59]
	s_cbranch_execnz .LBB94_1219
; %bb.1193:                             ;   in Loop: Header=BB94_17 Depth=1
	s_andn2_saveexec_b64 s[52:53], s[52:53]
	s_cbranch_execnz .LBB94_1278
.LBB94_1194:                            ;   in Loop: Header=BB94_17 Depth=1
	s_or_b64 exec, exec, s[52:53]
	s_mov_b64 s[52:53], 0
	s_and_saveexec_b64 s[58:59], s[56:57]
	s_cbranch_execz .LBB94_1196
.LBB94_1195:                            ;   in Loop: Header=BB94_17 Depth=1
	s_mov_b64 s[52:53], exec
	v_add_u32_e32 v55, 0x200, v55
	s_andn2_b64 s[54:55], s[54:55], exec
	s_andn2_b64 vcc, vcc, exec
	s_waitcnt vmcnt(0) lgkmcnt(0)
	buffer_store_dword v64, v65, s[0:3], 0 offen offset:40
.LBB94_1196:                            ;   in Loop: Header=BB94_17 Depth=1
	s_or_b64 exec, exec, s[58:59]
	s_andn2_b64 s[44:45], s[44:45], exec
	s_and_b64 s[54:55], s[54:55], exec
	s_andn2_b64 s[42:43], s[42:43], exec
	s_and_b64 vcc, vcc, exec
	s_or_b64 s[44:45], s[44:45], s[54:55]
	s_or_b64 s[42:43], s[42:43], vcc
	s_and_b64 s[52:53], s[52:53], exec
.LBB94_1197:                            ;   in Loop: Header=BB94_17 Depth=1
	s_or_b64 exec, exec, s[50:51]
	s_and_b64 s[44:45], s[44:45], exec
	s_and_b64 s[42:43], s[42:43], exec
	s_orn2_b64 s[50:51], s[52:53], exec
.LBB94_1198:                            ;   in Loop: Header=BB94_17 Depth=1
	s_or_b64 exec, exec, s[46:47]
	s_and_saveexec_b64 s[46:47], s[50:51]
	s_cbranch_execz .LBB94_11
; %bb.1199:                             ;   in Loop: Header=BB94_17 Depth=1
	v_cmp_lt_i32_e32 vcc, v55, v6
	s_mov_b64 s[54:55], -1
	s_mov_b64 s[56:57], -1
                                        ; implicit-def: $sgpr48_sgpr49
                                        ; implicit-def: $sgpr50_sgpr51
	s_and_saveexec_b64 s[52:53], vcc
	s_cbranch_execz .LBB94_1425
; %bb.1200:                             ;   in Loop: Header=BB94_17 Depth=1
	v_readlane_b32 vcc_lo, v44, 1
	s_waitcnt vmcnt(0) lgkmcnt(0)
	v_add_u32_e32 v64, vcc_lo, v55
	v_mul_lo_u32 v14, v64, v9
	v_add_co_u32_e32 v14, vcc, v2, v14
	v_addc_co_u32_e32 v15, vcc, 0, v3, vcc
	v_cmp_gt_i16_sdwa s[56:57], v7, v18 src0_sel:BYTE_0 src1_sel:DWORD
	s_mov_b64 vcc, 0
                                        ; implicit-def: $sgpr48_sgpr49
                                        ; implicit-def: $sgpr50_sgpr51
                                        ; implicit-def: $vgpr66
	s_and_saveexec_b64 s[58:59], s[56:57]
	s_xor_b64 s[56:57], exec, s[58:59]
	s_cbranch_execnz .LBB94_1319
; %bb.1201:                             ;   in Loop: Header=BB94_17 Depth=1
	s_andn2_saveexec_b64 s[56:57], s[56:57]
	s_cbranch_execnz .LBB94_1378
.LBB94_1202:                            ;   in Loop: Header=BB94_17 Depth=1
	s_or_b64 exec, exec, s[56:57]
	s_mov_b64 s[58:59], 0
	s_and_saveexec_b64 s[56:57], vcc
	s_cbranch_execnz .LBB94_1419
	s_branch .LBB94_1424
.LBB94_1203:                            ;   in Loop: Header=BB94_17 Depth=1
	s_movk_i32 vcc_lo, 0x80
	v_cmp_eq_u16_e32 vcc, vcc_lo, v14
	s_mov_b64 s[42:43], -1
                                        ; implicit-def: $sgpr48
	s_and_saveexec_b64 s[46:47], vcc
; %bb.1204:                             ;   in Loop: Header=BB94_17 Depth=1
	s_mov_b32 s48, 0x7f800001
	s_xor_b64 s[42:43], exec, -1
; %bb.1205:                             ;   in Loop: Header=BB94_17 Depth=1
	s_or_b64 exec, exec, s[46:47]
	s_and_b64 s[42:43], s[42:43], exec
	s_or_saveexec_b64 s[44:45], s[44:45]
	v_mov_b32_e32 v64, s48
	s_xor_b64 exec, exec, s[44:45]
	s_cbranch_execz .LBB94_170
.LBB94_1206:                            ;   in Loop: Header=BB94_17 Depth=1
	v_cmp_ne_u16_e32 vcc, 0, v14
	s_andn2_b64 s[42:43], s[42:43], exec
	s_and_b64 vcc, vcc, exec
	v_mov_b32_e32 v64, 0
	s_or_b64 s[42:43], s[42:43], vcc
	s_or_b64 exec, exec, s[44:45]
	s_and_saveexec_b64 s[44:45], s[42:43]
	s_cbranch_execnz .LBB94_171
	s_branch .LBB94_172
.LBB94_1207:                            ;   in Loop: Header=BB94_17 Depth=1
	s_movk_i32 vcc_lo, 0x80
	v_cmp_eq_u16_e32 vcc, vcc_lo, v14
	s_mov_b64 s[38:39], -1
                                        ; implicit-def: $sgpr44
	s_and_saveexec_b64 s[42:43], vcc
; %bb.1208:                             ;   in Loop: Header=BB94_17 Depth=1
	s_mov_b32 s44, 0x7f800001
	s_xor_b64 s[38:39], exec, -1
; %bb.1209:                             ;   in Loop: Header=BB94_17 Depth=1
	s_or_b64 exec, exec, s[42:43]
	s_and_b64 s[38:39], s[38:39], exec
	s_or_saveexec_b64 s[40:41], s[40:41]
	v_mov_b32_e32 v66, s44
	s_xor_b64 exec, exec, s[40:41]
	s_cbranch_execz .LBB94_270
.LBB94_1210:                            ;   in Loop: Header=BB94_17 Depth=1
	v_cmp_ne_u16_e32 vcc, 0, v14
	s_andn2_b64 s[38:39], s[38:39], exec
	s_and_b64 vcc, vcc, exec
	v_mov_b32_e32 v66, 0
	s_or_b64 s[38:39], s[38:39], vcc
	s_or_b64 exec, exec, s[40:41]
	s_and_saveexec_b64 s[40:41], s[38:39]
	s_cbranch_execnz .LBB94_271
	s_branch .LBB94_272
.LBB94_1211:                            ;   in Loop: Header=BB94_17 Depth=1
	s_movk_i32 vcc_lo, 0x80
	v_cmp_eq_u16_e32 vcc, vcc_lo, v14
	s_mov_b64 s[42:43], -1
                                        ; implicit-def: $sgpr48
	s_and_saveexec_b64 s[46:47], vcc
; %bb.1212:                             ;   in Loop: Header=BB94_17 Depth=1
	s_mov_b32 s48, 0x7f800001
	s_xor_b64 s[42:43], exec, -1
; %bb.1213:                             ;   in Loop: Header=BB94_17 Depth=1
	s_or_b64 exec, exec, s[46:47]
	s_and_b64 s[42:43], s[42:43], exec
	s_or_saveexec_b64 s[44:45], s[44:45]
	v_mov_b32_e32 v64, s48
	s_xor_b64 exec, exec, s[44:45]
	s_cbranch_execz .LBB94_370
.LBB94_1214:                            ;   in Loop: Header=BB94_17 Depth=1
	v_cmp_ne_u16_e32 vcc, 0, v14
	s_andn2_b64 s[42:43], s[42:43], exec
	s_and_b64 vcc, vcc, exec
	v_mov_b32_e32 v64, 0
	s_or_b64 s[42:43], s[42:43], vcc
	s_or_b64 exec, exec, s[44:45]
	s_and_saveexec_b64 s[44:45], s[42:43]
	s_cbranch_execnz .LBB94_371
	s_branch .LBB94_372
.LBB94_1215:                            ;   in Loop: Header=BB94_17 Depth=1
	s_movk_i32 vcc_lo, 0x80
	v_cmp_eq_u16_e32 vcc, vcc_lo, v14
	s_mov_b64 s[42:43], -1
                                        ; implicit-def: $sgpr48
	s_and_saveexec_b64 s[46:47], vcc
; %bb.1216:                             ;   in Loop: Header=BB94_17 Depth=1
	s_mov_b32 s48, 0x7f800001
	s_xor_b64 s[42:43], exec, -1
; %bb.1217:                             ;   in Loop: Header=BB94_17 Depth=1
	s_or_b64 exec, exec, s[46:47]
	s_and_b64 s[42:43], s[42:43], exec
	s_or_saveexec_b64 s[44:45], s[44:45]
	v_mov_b32_e32 v66, s48
	s_xor_b64 exec, exec, s[44:45]
	s_cbranch_execz .LBB94_470
.LBB94_1218:                            ;   in Loop: Header=BB94_17 Depth=1
	v_cmp_ne_u16_e32 vcc, 0, v14
	s_andn2_b64 s[42:43], s[42:43], exec
	s_and_b64 vcc, vcc, exec
	v_mov_b32_e32 v66, 0
	s_or_b64 s[42:43], s[42:43], vcc
	s_or_b64 exec, exec, s[44:45]
	s_and_saveexec_b64 s[44:45], s[42:43]
	s_cbranch_execnz .LBB94_471
	s_branch .LBB94_472
.LBB94_1219:                            ;   in Loop: Header=BB94_17 Depth=1
	v_cmp_gt_i16_sdwa vcc, v8, v19 src0_sel:BYTE_0 src1_sel:DWORD
                                        ; implicit-def: $sgpr58_sgpr59
                                        ; implicit-def: $sgpr60_sgpr61
                                        ; implicit-def: $vgpr64
	s_and_saveexec_b64 s[54:55], vcc
	s_xor_b64 s[54:55], exec, s[54:55]
	s_cbranch_execz .LBB94_1251
; %bb.1220:                             ;   in Loop: Header=BB94_17 Depth=1
	v_cmp_gt_i16_sdwa vcc, v8, v20 src0_sel:BYTE_0 src1_sel:DWORD
                                        ; implicit-def: $sgpr58_sgpr59
                                        ; implicit-def: $sgpr62_sgpr63
                                        ; implicit-def: $vgpr64
	s_and_saveexec_b64 s[60:61], vcc
	s_xor_b64 s[60:61], exec, s[60:61]
	s_cbranch_execz .LBB94_1236
; %bb.1221:                             ;   in Loop: Header=BB94_17 Depth=1
	v_cmp_gt_i16_sdwa s[56:57], v8, v21 src0_sel:BYTE_0 src1_sel:DWORD
	s_mov_b64 s[64:65], 0
                                        ; implicit-def: $vcc
                                        ; implicit-def: $sgpr62_sgpr63
                                        ; implicit-def: $vgpr64
	s_and_saveexec_b64 s[58:59], s[56:57]
	s_xor_b64 s[56:57], exec, s[58:59]
	s_cbranch_execz .LBB94_1231
; %bb.1222:                             ;   in Loop: Header=BB94_17 Depth=1
	v_cmp_gt_i16_sdwa vcc, v8, v22 src0_sel:BYTE_0 src1_sel:DWORD
                                        ; implicit-def: $sgpr62_sgpr63
                                        ; implicit-def: $sgpr58_sgpr59
                                        ; implicit-def: $vgpr64
	s_and_saveexec_b64 s[66:67], vcc
	s_xor_b64 vcc, exec, s[66:67]
	s_cbranch_execz .LBB94_1226
; %bb.1223:                             ;   in Loop: Header=BB94_17 Depth=1
	v_cmp_eq_u16_sdwa s[66:67], v8, v23 src0_sel:BYTE_0 src1_sel:DWORD
	s_mov_b64 s[58:59], 0
                                        ; implicit-def: $vgpr64
	s_and_saveexec_b64 s[62:63], s[66:67]
	s_cbranch_execz .LBB94_1225
; %bb.1224:                             ;   in Loop: Header=BB94_17 Depth=1
	flat_load_dword v14, v[14:15]
	s_mov_b64 s[64:65], exec
	s_waitcnt vmcnt(0) lgkmcnt(0)
	v_lshlrev_b32_e32 v64, 16, v14
.LBB94_1225:                            ;   in Loop: Header=BB94_17 Depth=1
	s_or_b64 exec, exec, s[62:63]
	s_mov_b64 s[62:63], -1
	s_and_b64 s[64:65], s[64:65], exec
                                        ; implicit-def: $vgpr14_vgpr15
.LBB94_1226:                            ;   in Loop: Header=BB94_17 Depth=1
	s_andn2_saveexec_b64 s[66:67], vcc
	s_cbranch_execz .LBB94_1230
; %bb.1227:                             ;   in Loop: Header=BB94_17 Depth=1
	v_cmp_eq_u16_sdwa s[70:71], v8, v24 src0_sel:BYTE_0 src1_sel:DWORD
	s_mov_b64 vcc, s[64:65]
                                        ; implicit-def: $vgpr64
	s_and_saveexec_b64 s[68:69], s[70:71]
	s_cbranch_execz .LBB94_1229
; %bb.1228:                             ;   in Loop: Header=BB94_17 Depth=1
	flat_load_ubyte v14, v[14:15]
	s_movk_i32 vcc_lo, 0xff
	s_waitcnt vmcnt(0) lgkmcnt(0)
	v_lshlrev_b32_e32 v15, 23, v14
	v_cmp_ne_u32_e32 vcc, vcc_lo, v14
	v_cndmask_b32_e32 v15, v25, v15, vcc
	v_cmp_ne_u32_e32 vcc, 0, v14
	v_cndmask_b32_e32 v64, v26, v15, vcc
	s_or_b64 vcc, s[64:65], exec
.LBB94_1229:                            ;   in Loop: Header=BB94_17 Depth=1
	s_or_b64 exec, exec, s[68:69]
	s_andn2_b64 s[64:65], s[64:65], exec
	s_and_b64 vcc, vcc, exec
	s_or_b64 s[62:63], s[62:63], exec
	s_andn2_b64 s[58:59], s[58:59], exec
	s_or_b64 s[64:65], s[64:65], vcc
.LBB94_1230:                            ;   in Loop: Header=BB94_17 Depth=1
	s_or_b64 exec, exec, s[66:67]
	s_and_b64 s[62:63], s[62:63], exec
	s_and_b64 vcc, s[58:59], exec
	s_and_b64 s[64:65], s[64:65], exec
                                        ; implicit-def: $vgpr14_vgpr15
.LBB94_1231:                            ;   in Loop: Header=BB94_17 Depth=1
	s_andn2_saveexec_b64 s[56:57], s[56:57]
	s_cbranch_execz .LBB94_1235
; %bb.1232:                             ;   in Loop: Header=BB94_17 Depth=1
	v_cmp_eq_u16_sdwa s[68:69], v8, v27 src0_sel:BYTE_0 src1_sel:DWORD
	s_mov_b64 s[66:67], s[64:65]
                                        ; implicit-def: $vgpr64
	s_and_saveexec_b64 s[58:59], s[68:69]
	s_cbranch_execz .LBB94_1234
; %bb.1233:                             ;   in Loop: Header=BB94_17 Depth=1
	flat_load_dwordx2 v[14:15], v[14:15]
	s_or_b64 s[66:67], s[64:65], exec
	s_waitcnt vmcnt(0) lgkmcnt(0)
	v_ffbh_u32_e32 v64, v15
	v_min_u32_e32 v64, 32, v64
	v_lshlrev_b64 v[14:15], v64, v[14:15]
	v_min_u32_e32 v14, 1, v14
	v_or_b32_e32 v14, v15, v14
	v_cvt_f32_u32_e32 v14, v14
	v_sub_u32_e32 v15, 32, v64
	v_ldexp_f32 v64, v14, v15
.LBB94_1234:                            ;   in Loop: Header=BB94_17 Depth=1
	s_or_b64 exec, exec, s[58:59]
	s_andn2_b64 s[58:59], s[64:65], exec
	s_and_b64 s[64:65], s[66:67], exec
	s_or_b64 s[62:63], s[62:63], exec
	s_andn2_b64 vcc, vcc, exec
	s_or_b64 s[64:65], s[58:59], s[64:65]
.LBB94_1235:                            ;   in Loop: Header=BB94_17 Depth=1
	s_or_b64 exec, exec, s[56:57]
	s_and_b64 s[62:63], s[62:63], exec
	s_and_b64 s[58:59], vcc, exec
	s_and_b64 s[56:57], s[64:65], exec
                                        ; implicit-def: $vgpr14_vgpr15
.LBB94_1236:                            ;   in Loop: Header=BB94_17 Depth=1
	s_andn2_saveexec_b64 s[60:61], s[60:61]
	s_cbranch_execz .LBB94_1250
; %bb.1237:                             ;   in Loop: Header=BB94_17 Depth=1
	v_cmp_gt_i16_sdwa vcc, v8, v28 src0_sel:BYTE_0 src1_sel:DWORD
                                        ; implicit-def: $vgpr64
	s_and_saveexec_b64 s[64:65], vcc
	s_xor_b64 vcc, exec, s[64:65]
	s_cbranch_execz .LBB94_1243
; %bb.1238:                             ;   in Loop: Header=BB94_17 Depth=1
	v_cmp_gt_i16_sdwa s[64:65], v8, v29 src0_sel:BYTE_0 src1_sel:DWORD
                                        ; implicit-def: $vgpr64
	s_and_saveexec_b64 s[66:67], s[64:65]
	s_xor_b64 s[64:65], exec, s[66:67]
	s_cbranch_execz .LBB94_1240
; %bb.1239:                             ;   in Loop: Header=BB94_17 Depth=1
	flat_load_dword v14, v[14:15]
	s_waitcnt vmcnt(0) lgkmcnt(0)
	v_cvt_f32_u32_e32 v64, v14
                                        ; implicit-def: $vgpr14_vgpr15
.LBB94_1240:                            ;   in Loop: Header=BB94_17 Depth=1
	s_andn2_saveexec_b64 s[64:65], s[64:65]
	s_cbranch_execz .LBB94_1242
; %bb.1241:                             ;   in Loop: Header=BB94_17 Depth=1
	flat_load_ushort v14, v[14:15]
	s_waitcnt vmcnt(0) lgkmcnt(0)
	v_cvt_f32_u32_e32 v64, v14
.LBB94_1242:                            ;   in Loop: Header=BB94_17 Depth=1
	s_or_b64 exec, exec, s[64:65]
                                        ; implicit-def: $vgpr14_vgpr15
.LBB94_1243:                            ;   in Loop: Header=BB94_17 Depth=1
	s_andn2_saveexec_b64 s[64:65], vcc
	s_cbranch_execz .LBB94_1249
; %bb.1244:                             ;   in Loop: Header=BB94_17 Depth=1
	flat_load_ubyte v14, v[14:15]
	s_movk_i32 vcc_lo, 0x7f
	s_mov_b64 s[66:67], 0
                                        ; implicit-def: $sgpr72
	s_waitcnt vmcnt(0) lgkmcnt(0)
	v_cmp_lt_i16_e32 vcc, vcc_lo, v14
	s_and_saveexec_b64 s[68:69], vcc
	s_xor_b64 s[68:69], exec, s[68:69]
	s_cbranch_execnz .LBB94_2119
; %bb.1245:                             ;   in Loop: Header=BB94_17 Depth=1
	s_or_saveexec_b64 s[68:69], s[68:69]
	v_mov_b32_e32 v64, s72
	s_xor_b64 exec, exec, s[68:69]
	s_cbranch_execnz .LBB94_2122
.LBB94_1246:                            ;   in Loop: Header=BB94_17 Depth=1
	s_or_b64 exec, exec, s[68:69]
	s_and_saveexec_b64 s[68:69], s[66:67]
	s_cbranch_execz .LBB94_1248
.LBB94_1247:                            ;   in Loop: Header=BB94_17 Depth=1
	v_lshlrev_b32_e32 v15, 24, v14
	v_and_b32_e32 v14, 0xffff, v14
	v_and_b32_e32 v64, 7, v14
	v_ffbh_u32_e32 v67, v64
	v_min_u32_e32 v67, 32, v67
	v_subrev_u32_e32 v68, 28, v67
	v_bfe_u32 v66, v14, 3, 4
	v_lshlrev_b32_e32 v14, v68, v14
	v_sub_u32_e32 v67, 29, v67
	v_and_b32_e32 v14, 7, v14
	v_cmp_eq_u32_e32 vcc, 0, v66
	v_cndmask_b32_e32 v66, v66, v67, vcc
	v_cndmask_b32_e32 v14, v64, v14, vcc
	v_lshlrev_b32_e32 v14, 20, v14
	v_and_b32_e32 v15, 0x80000000, v15
	v_lshl_add_u32 v64, v66, 23, v30
	v_or3_b32 v64, v15, v64, v14
.LBB94_1248:                            ;   in Loop: Header=BB94_17 Depth=1
	s_or_b64 exec, exec, s[68:69]
.LBB94_1249:                            ;   in Loop: Header=BB94_17 Depth=1
	s_or_b64 exec, exec, s[64:65]
	s_andn2_b64 s[62:63], s[62:63], exec
	s_andn2_b64 s[58:59], s[58:59], exec
	s_or_b64 s[56:57], s[56:57], exec
.LBB94_1250:                            ;   in Loop: Header=BB94_17 Depth=1
	s_or_b64 exec, exec, s[60:61]
	s_and_b64 s[60:61], s[62:63], exec
	s_and_b64 s[58:59], s[58:59], exec
	;; [unrolled: 1-line block ×3, first 2 shown]
                                        ; implicit-def: $vgpr14_vgpr15
.LBB94_1251:                            ;   in Loop: Header=BB94_17 Depth=1
	s_andn2_saveexec_b64 s[54:55], s[54:55]
	s_cbranch_execz .LBB94_1277
; %bb.1252:                             ;   in Loop: Header=BB94_17 Depth=1
	v_cmp_gt_i16_sdwa vcc, v8, v31 src0_sel:BYTE_0 src1_sel:DWORD
	s_mov_b64 s[64:65], s[56:57]
                                        ; implicit-def: $vgpr64
	s_and_saveexec_b64 s[62:63], vcc
	s_xor_b64 s[62:63], exec, s[62:63]
	s_cbranch_execz .LBB94_1266
; %bb.1253:                             ;   in Loop: Header=BB94_17 Depth=1
	v_cmp_gt_i16_sdwa vcc, v8, v32 src0_sel:BYTE_0 src1_sel:DWORD
                                        ; implicit-def: $vgpr64
	s_and_saveexec_b64 s[64:65], vcc
	s_xor_b64 s[64:65], exec, s[64:65]
	s_cbranch_execz .LBB94_1263
; %bb.1254:                             ;   in Loop: Header=BB94_17 Depth=1
	v_cmp_gt_i16_sdwa vcc, v8, v33 src0_sel:BYTE_0 src1_sel:DWORD
                                        ; implicit-def: $vgpr64
	s_and_saveexec_b64 s[66:67], vcc
	s_xor_b64 s[66:67], exec, s[66:67]
	s_cbranch_execz .LBB94_1260
; %bb.1255:                             ;   in Loop: Header=BB94_17 Depth=1
	flat_load_ubyte v14, v[14:15]
	s_movk_i32 vcc_lo, 0x7f
	s_mov_b64 s[68:69], 0
                                        ; implicit-def: $sgpr74
	s_waitcnt vmcnt(0) lgkmcnt(0)
	v_cmp_lt_i16_e32 vcc, vcc_lo, v14
	s_and_saveexec_b64 s[70:71], vcc
	s_xor_b64 s[70:71], exec, s[70:71]
	s_cbranch_execnz .LBB94_2338
; %bb.1256:                             ;   in Loop: Header=BB94_17 Depth=1
	s_or_saveexec_b64 s[70:71], s[70:71]
	v_mov_b32_e32 v64, s74
	s_xor_b64 exec, exec, s[70:71]
	s_cbranch_execnz .LBB94_2341
.LBB94_1257:                            ;   in Loop: Header=BB94_17 Depth=1
	s_or_b64 exec, exec, s[70:71]
	s_and_saveexec_b64 s[70:71], s[68:69]
	s_cbranch_execz .LBB94_1259
.LBB94_1258:                            ;   in Loop: Header=BB94_17 Depth=1
	v_lshlrev_b32_e32 v15, 24, v14
	v_and_b32_e32 v14, 0xffff, v14
	v_and_b32_e32 v64, 3, v14
	v_ffbh_u32_e32 v67, v64
	v_min_u32_e32 v67, 32, v67
	v_subrev_u32_e32 v68, 29, v67
	v_bfe_u32 v66, v14, 2, 5
	v_lshlrev_b32_e32 v14, v68, v14
	v_sub_u32_e32 v67, 30, v67
	v_and_b32_e32 v14, 3, v14
	v_cmp_eq_u32_e32 vcc, 0, v66
	v_cndmask_b32_e32 v66, v66, v67, vcc
	v_cndmask_b32_e32 v14, v64, v14, vcc
	v_lshlrev_b32_e32 v14, 21, v14
	v_and_b32_e32 v15, 0x80000000, v15
	v_lshl_add_u32 v64, v66, 23, v34
	v_or3_b32 v64, v15, v64, v14
.LBB94_1259:                            ;   in Loop: Header=BB94_17 Depth=1
	s_or_b64 exec, exec, s[70:71]
                                        ; implicit-def: $vgpr14_vgpr15
.LBB94_1260:                            ;   in Loop: Header=BB94_17 Depth=1
	s_andn2_saveexec_b64 s[66:67], s[66:67]
	s_cbranch_execz .LBB94_1262
; %bb.1261:                             ;   in Loop: Header=BB94_17 Depth=1
	flat_load_ubyte v14, v[14:15]
	s_mov_b32 vcc_lo, 0x7f800000
	s_waitcnt vmcnt(0) lgkmcnt(0)
	v_lshlrev_b32_e32 v14, 24, v14
	v_and_b32_e32 v15, 0x7f000000, v14
	v_ffbh_u32_e32 v64, v15
	v_min_u32_e32 v64, 32, v64
	v_sub_u32_e64 v64, v64, 4 clamp
	v_lshlrev_b32_e32 v67, v64, v15
	v_lshlrev_b32_e32 v64, 23, v64
	v_lshrrev_b32_e32 v67, 4, v67
	v_add_u32_e32 v66, 0x1000000, v15
	v_sub_u32_e32 v64, v67, v64
	v_ashrrev_i32_e32 v66, 8, v66
	v_add_u32_e32 v64, 0x3c000000, v64
	v_and_or_b32 v64, v66, vcc_lo, v64
	v_cmp_ne_u32_e32 vcc, 0, v15
	v_cndmask_b32_e32 v15, 0, v64, vcc
	s_brev_b32 vcc_lo, 1
	v_and_or_b32 v64, v14, vcc_lo, v15
.LBB94_1262:                            ;   in Loop: Header=BB94_17 Depth=1
	s_or_b64 exec, exec, s[66:67]
                                        ; implicit-def: $vgpr14_vgpr15
.LBB94_1263:                            ;   in Loop: Header=BB94_17 Depth=1
	s_andn2_saveexec_b64 s[64:65], s[64:65]
	s_cbranch_execz .LBB94_1265
; %bb.1264:                             ;   in Loop: Header=BB94_17 Depth=1
	flat_load_ubyte v14, v[14:15]
	s_movk_i32 vcc_lo, 0x7f00
	s_waitcnt vmcnt(0) lgkmcnt(0)
	v_lshlrev_b16_e32 v15, 8, v14
	v_lshlrev_b32_e32 v14, 25, v14
	v_lshrrev_b32_e32 v64, 4, v14
	v_and_or_b32 v66, v15, vcc_lo, 0.5
	v_or_b32_e32 v64, 0x70000000, v64
	s_brev_b32 vcc_lo, 16
	v_add_f32_e32 v66, -0.5, v66
	v_mul_f32_e32 v64, 0x7800000, v64
	v_cmp_gt_u32_e32 vcc, vcc_lo, v14
	v_cndmask_b32_e32 v14, v64, v66, vcc
	v_bfe_i32 v15, v15, 0, 16
	s_brev_b32 vcc_lo, 1
	v_and_or_b32 v64, v15, vcc_lo, v14
.LBB94_1265:                            ;   in Loop: Header=BB94_17 Depth=1
	s_or_b64 exec, exec, s[64:65]
	s_or_b64 s[64:65], s[56:57], exec
                                        ; implicit-def: $vgpr14_vgpr15
.LBB94_1266:                            ;   in Loop: Header=BB94_17 Depth=1
	s_or_saveexec_b64 s[62:63], s[62:63]
                                        ; implicit-def: $vcc
                                        ; implicit-def: $sgpr70_sgpr71
	s_xor_b64 exec, exec, s[62:63]
	s_cbranch_execz .LBB94_1276
; %bb.1267:                             ;   in Loop: Header=BB94_17 Depth=1
	v_cmp_gt_i16_sdwa vcc, v8, v35 src0_sel:BYTE_0 src1_sel:DWORD
	s_mov_b64 s[68:69], s[64:65]
                                        ; implicit-def: $sgpr70_sgpr71
                                        ; implicit-def: $sgpr66_sgpr67
                                        ; implicit-def: $vgpr64
	s_and_saveexec_b64 s[72:73], vcc
	s_xor_b64 vcc, exec, s[72:73]
	s_cbranch_execz .LBB94_1271
; %bb.1268:                             ;   in Loop: Header=BB94_17 Depth=1
	v_cmp_eq_u16_sdwa s[70:71], v8, v36 src0_sel:BYTE_0 src1_sel:DWORD
	s_mov_b64 s[68:69], s[64:65]
                                        ; implicit-def: $vgpr64
	s_and_saveexec_b64 s[66:67], s[70:71]
	s_cbranch_execz .LBB94_1270
; %bb.1269:                             ;   in Loop: Header=BB94_17 Depth=1
	flat_load_ushort v14, v[14:15]
	s_or_b64 s[68:69], s[64:65], exec
	s_waitcnt vmcnt(0) lgkmcnt(0)
	v_lshlrev_b32_e32 v64, 16, v14
.LBB94_1270:                            ;   in Loop: Header=BB94_17 Depth=1
	s_or_b64 exec, exec, s[66:67]
	s_andn2_b64 s[72:73], s[64:65], exec
	s_and_b64 s[68:69], s[68:69], exec
	s_mov_b64 s[66:67], 0
	s_mov_b64 s[70:71], -1
	s_or_b64 s[68:69], s[72:73], s[68:69]
                                        ; implicit-def: $vgpr14_vgpr15
.LBB94_1271:                            ;   in Loop: Header=BB94_17 Depth=1
	s_andn2_saveexec_b64 s[72:73], vcc
	s_cbranch_execz .LBB94_1275
; %bb.1272:                             ;   in Loop: Header=BB94_17 Depth=1
	v_cmp_eq_u16_sdwa s[76:77], v8, v37 src0_sel:BYTE_0 src1_sel:DWORD
	s_mov_b64 vcc, s[68:69]
                                        ; implicit-def: $vgpr64
	s_and_saveexec_b64 s[74:75], s[76:77]
	s_cbranch_execz .LBB94_1274
; %bb.1273:                             ;   in Loop: Header=BB94_17 Depth=1
	flat_load_ubyte v14, v[14:15]
	s_waitcnt vmcnt(0) lgkmcnt(0)
	v_cmp_ne_u16_e32 vcc, 0, v14
	v_cndmask_b32_e64 v64, 0, 1.0, vcc
	s_or_b64 vcc, s[68:69], exec
.LBB94_1274:                            ;   in Loop: Header=BB94_17 Depth=1
	s_or_b64 exec, exec, s[74:75]
	s_andn2_b64 s[68:69], s[68:69], exec
	s_and_b64 vcc, vcc, exec
	s_or_b64 s[70:71], s[70:71], exec
	s_andn2_b64 s[66:67], s[66:67], exec
	s_or_b64 s[68:69], s[68:69], vcc
.LBB94_1275:                            ;   in Loop: Header=BB94_17 Depth=1
	s_or_b64 exec, exec, s[72:73]
	s_and_b64 vcc, s[66:67], exec
	s_andn2_b64 s[64:65], s[64:65], exec
	s_and_b64 s[66:67], s[68:69], exec
	s_and_b64 s[70:71], s[70:71], exec
	s_or_b64 s[64:65], s[64:65], s[66:67]
.LBB94_1276:                            ;   in Loop: Header=BB94_17 Depth=1
	s_or_b64 exec, exec, s[62:63]
	s_andn2_b64 s[58:59], s[58:59], exec
	s_and_b64 vcc, vcc, exec
	s_andn2_b64 s[60:61], s[60:61], exec
	s_and_b64 s[62:63], s[70:71], exec
	s_or_b64 s[58:59], s[58:59], vcc
	s_andn2_b64 vcc, s[56:57], exec
	s_and_b64 s[56:57], s[64:65], exec
	s_or_b64 s[60:61], s[60:61], s[62:63]
	s_or_b64 s[56:57], vcc, s[56:57]
.LBB94_1277:                            ;   in Loop: Header=BB94_17 Depth=1
	s_or_b64 exec, exec, s[54:55]
	s_and_b64 s[54:55], s[60:61], exec
	s_and_b64 vcc, s[58:59], exec
	s_and_b64 s[56:57], s[56:57], exec
                                        ; implicit-def: $vgpr14_vgpr15
	s_andn2_saveexec_b64 s[52:53], s[52:53]
	s_cbranch_execz .LBB94_1194
.LBB94_1278:                            ;   in Loop: Header=BB94_17 Depth=1
	v_cmp_gt_i16_sdwa s[58:59], v8, v38 src0_sel:BYTE_0 src1_sel:DWORD
                                        ; implicit-def: $vgpr64
	s_and_saveexec_b64 s[60:61], s[58:59]
	s_xor_b64 s[58:59], exec, s[60:61]
	s_cbranch_execz .LBB94_1300
; %bb.1279:                             ;   in Loop: Header=BB94_17 Depth=1
	v_cmp_gt_i16_sdwa s[60:61], v8, v39 src0_sel:BYTE_0 src1_sel:DWORD
                                        ; implicit-def: $vgpr64
	s_and_saveexec_b64 s[62:63], s[60:61]
	s_xor_b64 s[60:61], exec, s[62:63]
	s_cbranch_execz .LBB94_1289
; %bb.1280:                             ;   in Loop: Header=BB94_17 Depth=1
	;; [unrolled: 6-line block ×4, first 2 shown]
	flat_load_dwordx2 v[14:15], v[14:15]
	s_waitcnt vmcnt(0) lgkmcnt(0)
	v_cvt_f32_f64_e32 v64, v[14:15]
                                        ; implicit-def: $vgpr14_vgpr15
.LBB94_1283:                            ;   in Loop: Header=BB94_17 Depth=1
	s_andn2_saveexec_b64 s[64:65], s[64:65]
	s_cbranch_execz .LBB94_1285
; %bb.1284:                             ;   in Loop: Header=BB94_17 Depth=1
	flat_load_dword v64, v[14:15]
.LBB94_1285:                            ;   in Loop: Header=BB94_17 Depth=1
	s_or_b64 exec, exec, s[64:65]
                                        ; implicit-def: $vgpr14_vgpr15
.LBB94_1286:                            ;   in Loop: Header=BB94_17 Depth=1
	s_andn2_saveexec_b64 s[62:63], s[62:63]
	s_cbranch_execz .LBB94_1288
; %bb.1287:                             ;   in Loop: Header=BB94_17 Depth=1
	flat_load_dword v14, v[14:15]
	s_waitcnt vmcnt(0) lgkmcnt(0)
	v_cvt_f32_f16_e32 v64, v14
.LBB94_1288:                            ;   in Loop: Header=BB94_17 Depth=1
	s_or_b64 exec, exec, s[62:63]
                                        ; implicit-def: $vgpr14_vgpr15
.LBB94_1289:                            ;   in Loop: Header=BB94_17 Depth=1
	s_andn2_saveexec_b64 s[60:61], s[60:61]
	s_cbranch_execz .LBB94_1299
; %bb.1290:                             ;   in Loop: Header=BB94_17 Depth=1
	v_cmp_gt_i16_sdwa s[62:63], v8, v50 src0_sel:BYTE_0 src1_sel:DWORD
                                        ; implicit-def: $vgpr64
	s_and_saveexec_b64 s[64:65], s[62:63]
	s_xor_b64 s[62:63], exec, s[64:65]
	s_cbranch_execz .LBB94_1296
; %bb.1291:                             ;   in Loop: Header=BB94_17 Depth=1
	v_cmp_gt_i16_sdwa s[64:65], v8, v51 src0_sel:BYTE_0 src1_sel:DWORD
                                        ; implicit-def: $vgpr64
	s_and_saveexec_b64 s[66:67], s[64:65]
	s_xor_b64 s[64:65], exec, s[66:67]
	s_cbranch_execz .LBB94_1293
; %bb.1292:                             ;   in Loop: Header=BB94_17 Depth=1
	flat_load_dwordx2 v[14:15], v[14:15]
	s_waitcnt vmcnt(0) lgkmcnt(0)
	v_cvt_f32_f64_e32 v64, v[14:15]
                                        ; implicit-def: $vgpr14_vgpr15
.LBB94_1293:                            ;   in Loop: Header=BB94_17 Depth=1
	s_andn2_saveexec_b64 s[64:65], s[64:65]
	s_cbranch_execz .LBB94_1295
; %bb.1294:                             ;   in Loop: Header=BB94_17 Depth=1
	s_waitcnt vmcnt(0) lgkmcnt(0)
	flat_load_dword v64, v[14:15]
.LBB94_1295:                            ;   in Loop: Header=BB94_17 Depth=1
	s_or_b64 exec, exec, s[64:65]
                                        ; implicit-def: $vgpr14_vgpr15
.LBB94_1296:                            ;   in Loop: Header=BB94_17 Depth=1
	s_andn2_saveexec_b64 s[62:63], s[62:63]
	s_cbranch_execz .LBB94_1298
; %bb.1297:                             ;   in Loop: Header=BB94_17 Depth=1
	flat_load_ushort v14, v[14:15]
	s_waitcnt vmcnt(0) lgkmcnt(0)
	v_cvt_f32_f16_e32 v64, v14
.LBB94_1298:                            ;   in Loop: Header=BB94_17 Depth=1
	s_or_b64 exec, exec, s[62:63]
.LBB94_1299:                            ;   in Loop: Header=BB94_17 Depth=1
	s_or_b64 exec, exec, s[60:61]
                                        ; implicit-def: $vgpr14_vgpr15
.LBB94_1300:                            ;   in Loop: Header=BB94_17 Depth=1
	s_andn2_saveexec_b64 s[58:59], s[58:59]
	s_cbranch_execz .LBB94_1318
; %bb.1301:                             ;   in Loop: Header=BB94_17 Depth=1
	v_cmp_gt_i16_sdwa s[60:61], v8, v52 src0_sel:BYTE_0 src1_sel:DWORD
                                        ; implicit-def: $vgpr64
	s_and_saveexec_b64 s[62:63], s[60:61]
	s_xor_b64 s[60:61], exec, s[62:63]
	s_cbranch_execz .LBB94_1311
; %bb.1302:                             ;   in Loop: Header=BB94_17 Depth=1
	v_cmp_gt_i16_sdwa s[62:63], v8, v53 src0_sel:BYTE_0 src1_sel:DWORD
                                        ; implicit-def: $vgpr64
	s_and_saveexec_b64 s[64:65], s[62:63]
	s_xor_b64 s[62:63], exec, s[64:65]
	;; [unrolled: 6-line block ×3, first 2 shown]
	s_cbranch_execz .LBB94_1305
; %bb.1304:                             ;   in Loop: Header=BB94_17 Depth=1
	flat_load_dwordx2 v[14:15], v[14:15]
	s_waitcnt vmcnt(0) lgkmcnt(0)
	v_xor_b32_e32 v66, v14, v15
	v_ffbh_i32_e32 v64, v15
	v_ashrrev_i32_e32 v66, 31, v66
	v_add_u32_e32 v64, -1, v64
	v_add_u32_e32 v66, 32, v66
	v_min_u32_e32 v64, v64, v66
	v_lshlrev_b64 v[14:15], v64, v[14:15]
	v_min_u32_e32 v14, 1, v14
	v_or_b32_e32 v14, v15, v14
	v_cvt_f32_i32_e32 v14, v14
	v_sub_u32_e32 v15, 32, v64
	v_ldexp_f32 v64, v14, v15
                                        ; implicit-def: $vgpr14_vgpr15
.LBB94_1305:                            ;   in Loop: Header=BB94_17 Depth=1
	s_andn2_saveexec_b64 s[64:65], s[64:65]
	s_cbranch_execz .LBB94_1307
; %bb.1306:                             ;   in Loop: Header=BB94_17 Depth=1
	flat_load_dword v14, v[14:15]
	s_waitcnt vmcnt(0) lgkmcnt(0)
	v_cvt_f32_i32_e32 v64, v14
.LBB94_1307:                            ;   in Loop: Header=BB94_17 Depth=1
	s_or_b64 exec, exec, s[64:65]
                                        ; implicit-def: $vgpr14_vgpr15
.LBB94_1308:                            ;   in Loop: Header=BB94_17 Depth=1
	s_andn2_saveexec_b64 s[62:63], s[62:63]
	s_cbranch_execz .LBB94_1310
; %bb.1309:                             ;   in Loop: Header=BB94_17 Depth=1
	flat_load_sshort v14, v[14:15]
	s_waitcnt vmcnt(0) lgkmcnt(0)
	v_cvt_f32_i32_e32 v64, v14
.LBB94_1310:                            ;   in Loop: Header=BB94_17 Depth=1
	s_or_b64 exec, exec, s[62:63]
                                        ; implicit-def: $vgpr14_vgpr15
.LBB94_1311:                            ;   in Loop: Header=BB94_17 Depth=1
	s_andn2_saveexec_b64 s[60:61], s[60:61]
	s_cbranch_execz .LBB94_1317
; %bb.1312:                             ;   in Loop: Header=BB94_17 Depth=1
	v_cmp_gt_i16_sdwa s[62:63], v8, v16 src0_sel:BYTE_0 src1_sel:DWORD
                                        ; implicit-def: $vgpr64
	s_and_saveexec_b64 s[64:65], s[62:63]
	s_xor_b64 s[62:63], exec, s[64:65]
	s_cbranch_execz .LBB94_1314
; %bb.1313:                             ;   in Loop: Header=BB94_17 Depth=1
	flat_load_sbyte v14, v[14:15]
	s_waitcnt vmcnt(0) lgkmcnt(0)
	v_cvt_f32_i32_e32 v64, v14
                                        ; implicit-def: $vgpr14_vgpr15
.LBB94_1314:                            ;   in Loop: Header=BB94_17 Depth=1
	s_andn2_saveexec_b64 s[62:63], s[62:63]
	s_cbranch_execz .LBB94_1316
; %bb.1315:                             ;   in Loop: Header=BB94_17 Depth=1
	flat_load_ubyte v14, v[14:15]
	s_waitcnt vmcnt(0) lgkmcnt(0)
	v_cvt_f32_ubyte0_e32 v64, v14
.LBB94_1316:                            ;   in Loop: Header=BB94_17 Depth=1
	s_or_b64 exec, exec, s[62:63]
.LBB94_1317:                            ;   in Loop: Header=BB94_17 Depth=1
	s_or_b64 exec, exec, s[60:61]
.LBB94_1318:                            ;   in Loop: Header=BB94_17 Depth=1
	s_or_b64 exec, exec, s[58:59]
	s_andn2_b64 s[54:55], s[54:55], exec
	s_andn2_b64 vcc, vcc, exec
	s_or_b64 s[56:57], s[56:57], exec
	s_or_b64 exec, exec, s[52:53]
	s_mov_b64 s[52:53], 0
	s_and_saveexec_b64 s[58:59], s[56:57]
	s_cbranch_execnz .LBB94_1195
	s_branch .LBB94_1196
.LBB94_1319:                            ;   in Loop: Header=BB94_17 Depth=1
	v_cmp_gt_i16_sdwa vcc, v7, v19 src0_sel:BYTE_0 src1_sel:DWORD
	s_mov_b64 s[58:59], 0
                                        ; implicit-def: $sgpr60_sgpr61
                                        ; implicit-def: $sgpr50_sgpr51
                                        ; implicit-def: $vgpr66
	s_and_saveexec_b64 s[48:49], vcc
	s_xor_b64 s[48:49], exec, s[48:49]
	s_cbranch_execz .LBB94_1351
; %bb.1320:                             ;   in Loop: Header=BB94_17 Depth=1
	v_cmp_gt_i16_sdwa vcc, v7, v20 src0_sel:BYTE_0 src1_sel:DWORD
                                        ; implicit-def: $sgpr60_sgpr61
                                        ; implicit-def: $sgpr62_sgpr63
                                        ; implicit-def: $vgpr66
	s_and_saveexec_b64 s[50:51], vcc
	s_xor_b64 s[50:51], exec, s[50:51]
	s_cbranch_execz .LBB94_1336
; %bb.1321:                             ;   in Loop: Header=BB94_17 Depth=1
	v_cmp_gt_i16_sdwa s[58:59], v7, v21 src0_sel:BYTE_0 src1_sel:DWORD
	s_mov_b64 s[64:65], 0
                                        ; implicit-def: $vcc
                                        ; implicit-def: $sgpr60_sgpr61
                                        ; implicit-def: $vgpr66
	s_and_saveexec_b64 s[62:63], s[58:59]
	s_xor_b64 s[58:59], exec, s[62:63]
	s_cbranch_execz .LBB94_1331
; %bb.1322:                             ;   in Loop: Header=BB94_17 Depth=1
	v_cmp_gt_i16_sdwa vcc, v7, v22 src0_sel:BYTE_0 src1_sel:DWORD
	s_mov_b64 s[62:63], 0
                                        ; implicit-def: $sgpr60_sgpr61
                                        ; implicit-def: $sgpr64_sgpr65
                                        ; implicit-def: $vgpr66
	s_and_saveexec_b64 s[66:67], vcc
	s_xor_b64 vcc, exec, s[66:67]
	s_cbranch_execz .LBB94_1326
; %bb.1323:                             ;   in Loop: Header=BB94_17 Depth=1
	v_cmp_eq_u16_sdwa s[66:67], v7, v23 src0_sel:BYTE_0 src1_sel:DWORD
	s_mov_b64 s[60:61], 0
                                        ; implicit-def: $vgpr66
	s_and_saveexec_b64 s[64:65], s[66:67]
	s_cbranch_execz .LBB94_1325
; %bb.1324:                             ;   in Loop: Header=BB94_17 Depth=1
	flat_load_dword v14, v[14:15]
	s_mov_b64 s[62:63], exec
	s_waitcnt vmcnt(0) lgkmcnt(0)
	v_lshlrev_b32_e32 v66, 16, v14
.LBB94_1325:                            ;   in Loop: Header=BB94_17 Depth=1
	s_or_b64 exec, exec, s[64:65]
	s_mov_b64 s[64:65], -1
	s_and_b64 s[62:63], s[62:63], exec
                                        ; implicit-def: $vgpr14_vgpr15
.LBB94_1326:                            ;   in Loop: Header=BB94_17 Depth=1
	s_andn2_saveexec_b64 s[66:67], vcc
	s_cbranch_execz .LBB94_1330
; %bb.1327:                             ;   in Loop: Header=BB94_17 Depth=1
	v_cmp_eq_u16_sdwa s[70:71], v7, v24 src0_sel:BYTE_0 src1_sel:DWORD
	s_mov_b64 vcc, s[62:63]
                                        ; implicit-def: $vgpr66
	s_and_saveexec_b64 s[68:69], s[70:71]
	s_cbranch_execz .LBB94_1329
; %bb.1328:                             ;   in Loop: Header=BB94_17 Depth=1
	flat_load_ubyte v14, v[14:15]
	s_movk_i32 vcc_lo, 0xff
	s_waitcnt vmcnt(0) lgkmcnt(0)
	v_lshlrev_b32_e32 v15, 23, v14
	v_cmp_ne_u32_e32 vcc, vcc_lo, v14
	v_cndmask_b32_e32 v15, v25, v15, vcc
	v_cmp_ne_u32_e32 vcc, 0, v14
	v_cndmask_b32_e32 v66, v26, v15, vcc
	s_or_b64 vcc, s[62:63], exec
.LBB94_1329:                            ;   in Loop: Header=BB94_17 Depth=1
	s_or_b64 exec, exec, s[68:69]
	s_andn2_b64 s[62:63], s[62:63], exec
	s_and_b64 vcc, vcc, exec
	s_andn2_b64 s[60:61], s[60:61], exec
	s_or_b64 s[64:65], s[64:65], exec
	s_or_b64 s[62:63], s[62:63], vcc
.LBB94_1330:                            ;   in Loop: Header=BB94_17 Depth=1
	s_or_b64 exec, exec, s[66:67]
	s_and_b64 s[60:61], s[60:61], exec
	s_and_b64 vcc, s[64:65], exec
	s_and_b64 s[64:65], s[62:63], exec
                                        ; implicit-def: $vgpr14_vgpr15
.LBB94_1331:                            ;   in Loop: Header=BB94_17 Depth=1
	s_andn2_saveexec_b64 s[58:59], s[58:59]
	s_cbranch_execz .LBB94_1335
; %bb.1332:                             ;   in Loop: Header=BB94_17 Depth=1
	v_cmp_eq_u16_sdwa s[68:69], v7, v27 src0_sel:BYTE_0 src1_sel:DWORD
	s_mov_b64 s[66:67], s[64:65]
                                        ; implicit-def: $vgpr66
	s_and_saveexec_b64 s[62:63], s[68:69]
	s_cbranch_execz .LBB94_1334
; %bb.1333:                             ;   in Loop: Header=BB94_17 Depth=1
	flat_load_dwordx2 v[14:15], v[14:15]
	s_or_b64 s[66:67], s[64:65], exec
	s_waitcnt vmcnt(0) lgkmcnt(0)
	v_ffbh_u32_e32 v65, v15
	v_min_u32_e32 v65, 32, v65
	v_lshlrev_b64 v[14:15], v65, v[14:15]
	v_min_u32_e32 v14, 1, v14
	v_or_b32_e32 v14, v15, v14
	v_cvt_f32_u32_e32 v14, v14
	v_sub_u32_e32 v15, 32, v65
	v_ldexp_f32 v66, v14, v15
.LBB94_1334:                            ;   in Loop: Header=BB94_17 Depth=1
	s_or_b64 exec, exec, s[62:63]
	s_andn2_b64 s[62:63], s[64:65], exec
	s_and_b64 s[64:65], s[66:67], exec
	s_andn2_b64 s[60:61], s[60:61], exec
	s_or_b64 vcc, vcc, exec
	s_or_b64 s[64:65], s[62:63], s[64:65]
.LBB94_1335:                            ;   in Loop: Header=BB94_17 Depth=1
	s_or_b64 exec, exec, s[58:59]
	s_and_b64 s[62:63], s[60:61], exec
	s_and_b64 s[60:61], vcc, exec
	s_and_b64 s[58:59], s[64:65], exec
                                        ; implicit-def: $vgpr14_vgpr15
.LBB94_1336:                            ;   in Loop: Header=BB94_17 Depth=1
	s_andn2_saveexec_b64 s[50:51], s[50:51]
	s_cbranch_execz .LBB94_1350
; %bb.1337:                             ;   in Loop: Header=BB94_17 Depth=1
	v_cmp_gt_i16_sdwa vcc, v7, v28 src0_sel:BYTE_0 src1_sel:DWORD
                                        ; implicit-def: $vgpr66
	s_and_saveexec_b64 s[64:65], vcc
	s_xor_b64 vcc, exec, s[64:65]
	s_cbranch_execz .LBB94_1343
; %bb.1338:                             ;   in Loop: Header=BB94_17 Depth=1
	v_cmp_gt_i16_sdwa s[64:65], v7, v29 src0_sel:BYTE_0 src1_sel:DWORD
                                        ; implicit-def: $vgpr66
	s_and_saveexec_b64 s[66:67], s[64:65]
	s_xor_b64 s[64:65], exec, s[66:67]
	s_cbranch_execz .LBB94_1340
; %bb.1339:                             ;   in Loop: Header=BB94_17 Depth=1
	flat_load_dword v14, v[14:15]
	s_waitcnt vmcnt(0) lgkmcnt(0)
	v_cvt_f32_u32_e32 v66, v14
                                        ; implicit-def: $vgpr14_vgpr15
.LBB94_1340:                            ;   in Loop: Header=BB94_17 Depth=1
	s_andn2_saveexec_b64 s[64:65], s[64:65]
	s_cbranch_execz .LBB94_1342
; %bb.1341:                             ;   in Loop: Header=BB94_17 Depth=1
	flat_load_ushort v14, v[14:15]
	s_waitcnt vmcnt(0) lgkmcnt(0)
	v_cvt_f32_u32_e32 v66, v14
.LBB94_1342:                            ;   in Loop: Header=BB94_17 Depth=1
	s_or_b64 exec, exec, s[64:65]
                                        ; implicit-def: $vgpr14_vgpr15
.LBB94_1343:                            ;   in Loop: Header=BB94_17 Depth=1
	s_andn2_saveexec_b64 s[64:65], vcc
	s_cbranch_execz .LBB94_1349
; %bb.1344:                             ;   in Loop: Header=BB94_17 Depth=1
	flat_load_ubyte v14, v[14:15]
	s_movk_i32 vcc_lo, 0x7f
	s_mov_b64 s[66:67], 0
                                        ; implicit-def: $sgpr72
	s_waitcnt vmcnt(0) lgkmcnt(0)
	v_cmp_lt_i16_e32 vcc, vcc_lo, v14
	s_and_saveexec_b64 s[68:69], vcc
	s_xor_b64 s[68:69], exec, s[68:69]
	s_cbranch_execnz .LBB94_2123
; %bb.1345:                             ;   in Loop: Header=BB94_17 Depth=1
	s_or_saveexec_b64 s[68:69], s[68:69]
	v_mov_b32_e32 v66, s72
	s_xor_b64 exec, exec, s[68:69]
	s_cbranch_execnz .LBB94_2126
.LBB94_1346:                            ;   in Loop: Header=BB94_17 Depth=1
	s_or_b64 exec, exec, s[68:69]
	s_and_saveexec_b64 s[68:69], s[66:67]
	s_cbranch_execz .LBB94_1348
.LBB94_1347:                            ;   in Loop: Header=BB94_17 Depth=1
	v_lshlrev_b32_e32 v15, 24, v14
	v_and_b32_e32 v14, 0xffff, v14
	v_and_b32_e32 v65, 7, v14
	v_ffbh_u32_e32 v67, v65
	v_min_u32_e32 v67, 32, v67
	v_subrev_u32_e32 v68, 28, v67
	v_bfe_u32 v66, v14, 3, 4
	v_lshlrev_b32_e32 v14, v68, v14
	v_sub_u32_e32 v67, 29, v67
	v_and_b32_e32 v14, 7, v14
	v_cmp_eq_u32_e32 vcc, 0, v66
	v_cndmask_b32_e32 v66, v66, v67, vcc
	v_cndmask_b32_e32 v14, v65, v14, vcc
	v_lshlrev_b32_e32 v14, 20, v14
	v_and_b32_e32 v15, 0x80000000, v15
	v_lshl_add_u32 v65, v66, 23, v30
	v_or3_b32 v66, v15, v65, v14
.LBB94_1348:                            ;   in Loop: Header=BB94_17 Depth=1
	s_or_b64 exec, exec, s[68:69]
.LBB94_1349:                            ;   in Loop: Header=BB94_17 Depth=1
	s_or_b64 exec, exec, s[64:65]
	s_andn2_b64 s[62:63], s[62:63], exec
	s_andn2_b64 s[60:61], s[60:61], exec
	s_or_b64 s[58:59], s[58:59], exec
.LBB94_1350:                            ;   in Loop: Header=BB94_17 Depth=1
	s_or_b64 exec, exec, s[50:51]
	s_and_b64 s[50:51], s[62:63], exec
	s_and_b64 s[60:61], s[60:61], exec
	;; [unrolled: 1-line block ×3, first 2 shown]
                                        ; implicit-def: $vgpr14_vgpr15
.LBB94_1351:                            ;   in Loop: Header=BB94_17 Depth=1
	s_andn2_saveexec_b64 s[48:49], s[48:49]
	s_cbranch_execz .LBB94_1377
; %bb.1352:                             ;   in Loop: Header=BB94_17 Depth=1
	v_cmp_gt_i16_sdwa vcc, v7, v31 src0_sel:BYTE_0 src1_sel:DWORD
	s_mov_b64 s[64:65], s[58:59]
                                        ; implicit-def: $vgpr66
	s_and_saveexec_b64 s[62:63], vcc
	s_xor_b64 s[62:63], exec, s[62:63]
	s_cbranch_execz .LBB94_1366
; %bb.1353:                             ;   in Loop: Header=BB94_17 Depth=1
	v_cmp_gt_i16_sdwa vcc, v7, v32 src0_sel:BYTE_0 src1_sel:DWORD
                                        ; implicit-def: $vgpr66
	s_and_saveexec_b64 s[64:65], vcc
	s_xor_b64 s[64:65], exec, s[64:65]
	s_cbranch_execz .LBB94_1363
; %bb.1354:                             ;   in Loop: Header=BB94_17 Depth=1
	v_cmp_gt_i16_sdwa vcc, v7, v33 src0_sel:BYTE_0 src1_sel:DWORD
                                        ; implicit-def: $vgpr66
	s_and_saveexec_b64 s[66:67], vcc
	s_xor_b64 s[66:67], exec, s[66:67]
	s_cbranch_execz .LBB94_1360
; %bb.1355:                             ;   in Loop: Header=BB94_17 Depth=1
	flat_load_ubyte v14, v[14:15]
	s_movk_i32 vcc_lo, 0x7f
	s_mov_b64 s[68:69], 0
                                        ; implicit-def: $sgpr74
	s_waitcnt vmcnt(0) lgkmcnt(0)
	v_cmp_lt_i16_e32 vcc, vcc_lo, v14
	s_and_saveexec_b64 s[70:71], vcc
	s_xor_b64 s[70:71], exec, s[70:71]
	s_cbranch_execnz .LBB94_2342
; %bb.1356:                             ;   in Loop: Header=BB94_17 Depth=1
	s_or_saveexec_b64 s[70:71], s[70:71]
	v_mov_b32_e32 v66, s74
	s_xor_b64 exec, exec, s[70:71]
	s_cbranch_execnz .LBB94_2345
.LBB94_1357:                            ;   in Loop: Header=BB94_17 Depth=1
	s_or_b64 exec, exec, s[70:71]
	s_and_saveexec_b64 s[70:71], s[68:69]
	s_cbranch_execz .LBB94_1359
.LBB94_1358:                            ;   in Loop: Header=BB94_17 Depth=1
	v_lshlrev_b32_e32 v15, 24, v14
	v_and_b32_e32 v14, 0xffff, v14
	v_and_b32_e32 v65, 3, v14
	v_ffbh_u32_e32 v67, v65
	v_min_u32_e32 v67, 32, v67
	v_subrev_u32_e32 v68, 29, v67
	v_bfe_u32 v66, v14, 2, 5
	v_lshlrev_b32_e32 v14, v68, v14
	v_sub_u32_e32 v67, 30, v67
	v_and_b32_e32 v14, 3, v14
	v_cmp_eq_u32_e32 vcc, 0, v66
	v_cndmask_b32_e32 v66, v66, v67, vcc
	v_cndmask_b32_e32 v14, v65, v14, vcc
	v_lshlrev_b32_e32 v14, 21, v14
	v_and_b32_e32 v15, 0x80000000, v15
	v_lshl_add_u32 v65, v66, 23, v34
	v_or3_b32 v66, v15, v65, v14
.LBB94_1359:                            ;   in Loop: Header=BB94_17 Depth=1
	s_or_b64 exec, exec, s[70:71]
                                        ; implicit-def: $vgpr14_vgpr15
.LBB94_1360:                            ;   in Loop: Header=BB94_17 Depth=1
	s_andn2_saveexec_b64 s[66:67], s[66:67]
	s_cbranch_execz .LBB94_1362
; %bb.1361:                             ;   in Loop: Header=BB94_17 Depth=1
	flat_load_ubyte v14, v[14:15]
	s_mov_b32 vcc_lo, 0x7f800000
	s_waitcnt vmcnt(0) lgkmcnt(0)
	v_lshlrev_b32_e32 v14, 24, v14
	v_and_b32_e32 v15, 0x7f000000, v14
	v_ffbh_u32_e32 v65, v15
	v_min_u32_e32 v65, 32, v65
	v_sub_u32_e64 v65, v65, 4 clamp
	v_lshlrev_b32_e32 v67, v65, v15
	v_lshlrev_b32_e32 v65, 23, v65
	v_lshrrev_b32_e32 v67, 4, v67
	v_add_u32_e32 v66, 0x1000000, v15
	v_sub_u32_e32 v65, v67, v65
	v_ashrrev_i32_e32 v66, 8, v66
	v_add_u32_e32 v65, 0x3c000000, v65
	v_and_or_b32 v65, v66, vcc_lo, v65
	v_cmp_ne_u32_e32 vcc, 0, v15
	v_cndmask_b32_e32 v15, 0, v65, vcc
	s_brev_b32 vcc_lo, 1
	v_and_or_b32 v66, v14, vcc_lo, v15
.LBB94_1362:                            ;   in Loop: Header=BB94_17 Depth=1
	s_or_b64 exec, exec, s[66:67]
                                        ; implicit-def: $vgpr14_vgpr15
.LBB94_1363:                            ;   in Loop: Header=BB94_17 Depth=1
	s_andn2_saveexec_b64 s[64:65], s[64:65]
	s_cbranch_execz .LBB94_1365
; %bb.1364:                             ;   in Loop: Header=BB94_17 Depth=1
	flat_load_ubyte v14, v[14:15]
	s_movk_i32 vcc_lo, 0x7f00
	s_waitcnt vmcnt(0) lgkmcnt(0)
	v_lshlrev_b16_e32 v15, 8, v14
	v_lshlrev_b32_e32 v14, 25, v14
	v_lshrrev_b32_e32 v65, 4, v14
	v_and_or_b32 v66, v15, vcc_lo, 0.5
	v_or_b32_e32 v65, 0x70000000, v65
	s_brev_b32 vcc_lo, 16
	v_add_f32_e32 v66, -0.5, v66
	v_mul_f32_e32 v65, 0x7800000, v65
	v_cmp_gt_u32_e32 vcc, vcc_lo, v14
	v_cndmask_b32_e32 v14, v65, v66, vcc
	v_bfe_i32 v15, v15, 0, 16
	s_brev_b32 vcc_lo, 1
	v_and_or_b32 v66, v15, vcc_lo, v14
.LBB94_1365:                            ;   in Loop: Header=BB94_17 Depth=1
	s_or_b64 exec, exec, s[64:65]
	s_or_b64 s[64:65], s[58:59], exec
                                        ; implicit-def: $vgpr14_vgpr15
.LBB94_1366:                            ;   in Loop: Header=BB94_17 Depth=1
	s_or_saveexec_b64 s[62:63], s[62:63]
                                        ; implicit-def: $vcc
                                        ; implicit-def: $sgpr70_sgpr71
	s_xor_b64 exec, exec, s[62:63]
	s_cbranch_execz .LBB94_1376
; %bb.1367:                             ;   in Loop: Header=BB94_17 Depth=1
	v_cmp_gt_i16_sdwa vcc, v7, v35 src0_sel:BYTE_0 src1_sel:DWORD
	s_mov_b64 s[68:69], s[64:65]
                                        ; implicit-def: $sgpr70_sgpr71
                                        ; implicit-def: $sgpr66_sgpr67
                                        ; implicit-def: $vgpr66
	s_and_saveexec_b64 s[72:73], vcc
	s_xor_b64 vcc, exec, s[72:73]
	s_cbranch_execz .LBB94_1371
; %bb.1368:                             ;   in Loop: Header=BB94_17 Depth=1
	v_cmp_eq_u16_sdwa s[70:71], v7, v36 src0_sel:BYTE_0 src1_sel:DWORD
	s_mov_b64 s[68:69], s[64:65]
                                        ; implicit-def: $vgpr66
	s_and_saveexec_b64 s[66:67], s[70:71]
	s_cbranch_execz .LBB94_1370
; %bb.1369:                             ;   in Loop: Header=BB94_17 Depth=1
	flat_load_ushort v14, v[14:15]
	s_or_b64 s[68:69], s[64:65], exec
	s_waitcnt vmcnt(0) lgkmcnt(0)
	v_lshlrev_b32_e32 v66, 16, v14
.LBB94_1370:                            ;   in Loop: Header=BB94_17 Depth=1
	s_or_b64 exec, exec, s[66:67]
	s_andn2_b64 s[72:73], s[64:65], exec
	s_and_b64 s[68:69], s[68:69], exec
	s_mov_b64 s[66:67], -1
	s_mov_b64 s[70:71], 0
	s_or_b64 s[68:69], s[72:73], s[68:69]
                                        ; implicit-def: $vgpr14_vgpr15
.LBB94_1371:                            ;   in Loop: Header=BB94_17 Depth=1
	s_andn2_saveexec_b64 s[72:73], vcc
	s_cbranch_execz .LBB94_1375
; %bb.1372:                             ;   in Loop: Header=BB94_17 Depth=1
	v_cmp_eq_u16_sdwa s[76:77], v7, v37 src0_sel:BYTE_0 src1_sel:DWORD
	s_mov_b64 vcc, s[68:69]
                                        ; implicit-def: $vgpr66
	s_and_saveexec_b64 s[74:75], s[76:77]
	s_cbranch_execz .LBB94_1374
; %bb.1373:                             ;   in Loop: Header=BB94_17 Depth=1
	flat_load_ubyte v14, v[14:15]
	s_waitcnt vmcnt(0) lgkmcnt(0)
	v_cmp_ne_u16_e32 vcc, 0, v14
	v_cndmask_b32_e64 v66, 0, 1.0, vcc
	s_or_b64 vcc, s[68:69], exec
.LBB94_1374:                            ;   in Loop: Header=BB94_17 Depth=1
	s_or_b64 exec, exec, s[74:75]
	s_andn2_b64 s[68:69], s[68:69], exec
	s_and_b64 vcc, vcc, exec
	s_andn2_b64 s[70:71], s[70:71], exec
	s_or_b64 s[66:67], s[66:67], exec
	s_or_b64 s[68:69], s[68:69], vcc
.LBB94_1375:                            ;   in Loop: Header=BB94_17 Depth=1
	s_or_b64 exec, exec, s[72:73]
	s_and_b64 vcc, s[66:67], exec
	s_andn2_b64 s[64:65], s[64:65], exec
	s_and_b64 s[66:67], s[68:69], exec
	s_and_b64 s[70:71], s[70:71], exec
	s_or_b64 s[64:65], s[64:65], s[66:67]
.LBB94_1376:                            ;   in Loop: Header=BB94_17 Depth=1
	s_or_b64 exec, exec, s[62:63]
	s_andn2_b64 s[60:61], s[60:61], exec
	s_and_b64 vcc, vcc, exec
	s_andn2_b64 s[50:51], s[50:51], exec
	s_and_b64 s[62:63], s[70:71], exec
	s_or_b64 s[60:61], s[60:61], vcc
	s_andn2_b64 vcc, s[58:59], exec
	s_and_b64 s[58:59], s[64:65], exec
	s_or_b64 s[50:51], s[50:51], s[62:63]
	s_or_b64 s[58:59], vcc, s[58:59]
.LBB94_1377:                            ;   in Loop: Header=BB94_17 Depth=1
	s_or_b64 exec, exec, s[48:49]
	s_and_b64 s[50:51], s[50:51], exec
	s_and_b64 s[48:49], s[60:61], exec
	s_and_b64 vcc, s[58:59], exec
                                        ; implicit-def: $vgpr14_vgpr15
	s_andn2_saveexec_b64 s[56:57], s[56:57]
	s_cbranch_execz .LBB94_1202
.LBB94_1378:                            ;   in Loop: Header=BB94_17 Depth=1
	v_cmp_gt_i16_sdwa s[58:59], v7, v38 src0_sel:BYTE_0 src1_sel:DWORD
                                        ; implicit-def: $vgpr66
	s_and_saveexec_b64 s[60:61], s[58:59]
	s_xor_b64 s[58:59], exec, s[60:61]
	s_cbranch_execz .LBB94_1400
; %bb.1379:                             ;   in Loop: Header=BB94_17 Depth=1
	v_cmp_gt_i16_sdwa s[60:61], v7, v39 src0_sel:BYTE_0 src1_sel:DWORD
                                        ; implicit-def: $vgpr66
	s_and_saveexec_b64 s[62:63], s[60:61]
	s_xor_b64 s[60:61], exec, s[62:63]
	s_cbranch_execz .LBB94_1389
; %bb.1380:                             ;   in Loop: Header=BB94_17 Depth=1
	;; [unrolled: 6-line block ×4, first 2 shown]
	flat_load_dwordx2 v[14:15], v[14:15]
	s_waitcnt vmcnt(0) lgkmcnt(0)
	v_cvt_f32_f64_e32 v66, v[14:15]
                                        ; implicit-def: $vgpr14_vgpr15
.LBB94_1383:                            ;   in Loop: Header=BB94_17 Depth=1
	s_andn2_saveexec_b64 s[64:65], s[64:65]
	s_cbranch_execz .LBB94_1385
; %bb.1384:                             ;   in Loop: Header=BB94_17 Depth=1
	flat_load_dword v66, v[14:15]
.LBB94_1385:                            ;   in Loop: Header=BB94_17 Depth=1
	s_or_b64 exec, exec, s[64:65]
                                        ; implicit-def: $vgpr14_vgpr15
.LBB94_1386:                            ;   in Loop: Header=BB94_17 Depth=1
	s_andn2_saveexec_b64 s[62:63], s[62:63]
	s_cbranch_execz .LBB94_1388
; %bb.1387:                             ;   in Loop: Header=BB94_17 Depth=1
	flat_load_dword v14, v[14:15]
	s_waitcnt vmcnt(0) lgkmcnt(0)
	v_cvt_f32_f16_e32 v66, v14
.LBB94_1388:                            ;   in Loop: Header=BB94_17 Depth=1
	s_or_b64 exec, exec, s[62:63]
                                        ; implicit-def: $vgpr14_vgpr15
.LBB94_1389:                            ;   in Loop: Header=BB94_17 Depth=1
	s_andn2_saveexec_b64 s[60:61], s[60:61]
	s_cbranch_execz .LBB94_1399
; %bb.1390:                             ;   in Loop: Header=BB94_17 Depth=1
	v_cmp_gt_i16_sdwa s[62:63], v7, v50 src0_sel:BYTE_0 src1_sel:DWORD
                                        ; implicit-def: $vgpr66
	s_and_saveexec_b64 s[64:65], s[62:63]
	s_xor_b64 s[62:63], exec, s[64:65]
	s_cbranch_execz .LBB94_1396
; %bb.1391:                             ;   in Loop: Header=BB94_17 Depth=1
	v_cmp_gt_i16_sdwa s[64:65], v7, v51 src0_sel:BYTE_0 src1_sel:DWORD
                                        ; implicit-def: $vgpr66
	s_and_saveexec_b64 s[66:67], s[64:65]
	s_xor_b64 s[64:65], exec, s[66:67]
	s_cbranch_execz .LBB94_1393
; %bb.1392:                             ;   in Loop: Header=BB94_17 Depth=1
	flat_load_dwordx2 v[14:15], v[14:15]
	s_waitcnt vmcnt(0) lgkmcnt(0)
	v_cvt_f32_f64_e32 v66, v[14:15]
                                        ; implicit-def: $vgpr14_vgpr15
.LBB94_1393:                            ;   in Loop: Header=BB94_17 Depth=1
	s_andn2_saveexec_b64 s[64:65], s[64:65]
	s_cbranch_execz .LBB94_1395
; %bb.1394:                             ;   in Loop: Header=BB94_17 Depth=1
	s_waitcnt vmcnt(0) lgkmcnt(0)
	flat_load_dword v66, v[14:15]
.LBB94_1395:                            ;   in Loop: Header=BB94_17 Depth=1
	s_or_b64 exec, exec, s[64:65]
                                        ; implicit-def: $vgpr14_vgpr15
.LBB94_1396:                            ;   in Loop: Header=BB94_17 Depth=1
	s_andn2_saveexec_b64 s[62:63], s[62:63]
	s_cbranch_execz .LBB94_1398
; %bb.1397:                             ;   in Loop: Header=BB94_17 Depth=1
	flat_load_ushort v14, v[14:15]
	s_waitcnt vmcnt(0) lgkmcnt(0)
	v_cvt_f32_f16_e32 v66, v14
.LBB94_1398:                            ;   in Loop: Header=BB94_17 Depth=1
	s_or_b64 exec, exec, s[62:63]
.LBB94_1399:                            ;   in Loop: Header=BB94_17 Depth=1
	s_or_b64 exec, exec, s[60:61]
                                        ; implicit-def: $vgpr14_vgpr15
.LBB94_1400:                            ;   in Loop: Header=BB94_17 Depth=1
	s_andn2_saveexec_b64 s[58:59], s[58:59]
	s_cbranch_execz .LBB94_1418
; %bb.1401:                             ;   in Loop: Header=BB94_17 Depth=1
	v_cmp_gt_i16_sdwa s[60:61], v7, v52 src0_sel:BYTE_0 src1_sel:DWORD
                                        ; implicit-def: $vgpr66
	s_and_saveexec_b64 s[62:63], s[60:61]
	s_xor_b64 s[60:61], exec, s[62:63]
	s_cbranch_execz .LBB94_1411
; %bb.1402:                             ;   in Loop: Header=BB94_17 Depth=1
	v_cmp_gt_i16_sdwa s[62:63], v7, v53 src0_sel:BYTE_0 src1_sel:DWORD
                                        ; implicit-def: $vgpr66
	s_and_saveexec_b64 s[64:65], s[62:63]
	s_xor_b64 s[62:63], exec, s[64:65]
	;; [unrolled: 6-line block ×3, first 2 shown]
	s_cbranch_execz .LBB94_1405
; %bb.1404:                             ;   in Loop: Header=BB94_17 Depth=1
	flat_load_dwordx2 v[14:15], v[14:15]
	s_waitcnt vmcnt(0) lgkmcnt(0)
	v_xor_b32_e32 v66, v14, v15
	v_ffbh_i32_e32 v65, v15
	v_ashrrev_i32_e32 v66, 31, v66
	v_add_u32_e32 v65, -1, v65
	v_add_u32_e32 v66, 32, v66
	v_min_u32_e32 v65, v65, v66
	v_lshlrev_b64 v[14:15], v65, v[14:15]
	v_min_u32_e32 v14, 1, v14
	v_or_b32_e32 v14, v15, v14
	v_cvt_f32_i32_e32 v14, v14
	v_sub_u32_e32 v15, 32, v65
	v_ldexp_f32 v66, v14, v15
                                        ; implicit-def: $vgpr14_vgpr15
.LBB94_1405:                            ;   in Loop: Header=BB94_17 Depth=1
	s_andn2_saveexec_b64 s[64:65], s[64:65]
	s_cbranch_execz .LBB94_1407
; %bb.1406:                             ;   in Loop: Header=BB94_17 Depth=1
	flat_load_dword v14, v[14:15]
	s_waitcnt vmcnt(0) lgkmcnt(0)
	v_cvt_f32_i32_e32 v66, v14
.LBB94_1407:                            ;   in Loop: Header=BB94_17 Depth=1
	s_or_b64 exec, exec, s[64:65]
                                        ; implicit-def: $vgpr14_vgpr15
.LBB94_1408:                            ;   in Loop: Header=BB94_17 Depth=1
	s_andn2_saveexec_b64 s[62:63], s[62:63]
	s_cbranch_execz .LBB94_1410
; %bb.1409:                             ;   in Loop: Header=BB94_17 Depth=1
	flat_load_sshort v14, v[14:15]
	s_waitcnt vmcnt(0) lgkmcnt(0)
	v_cvt_f32_i32_e32 v66, v14
.LBB94_1410:                            ;   in Loop: Header=BB94_17 Depth=1
	s_or_b64 exec, exec, s[62:63]
                                        ; implicit-def: $vgpr14_vgpr15
.LBB94_1411:                            ;   in Loop: Header=BB94_17 Depth=1
	s_andn2_saveexec_b64 s[60:61], s[60:61]
	s_cbranch_execz .LBB94_1417
; %bb.1412:                             ;   in Loop: Header=BB94_17 Depth=1
	v_cmp_gt_i16_sdwa s[62:63], v7, v16 src0_sel:BYTE_0 src1_sel:DWORD
                                        ; implicit-def: $vgpr66
	s_and_saveexec_b64 s[64:65], s[62:63]
	s_xor_b64 s[62:63], exec, s[64:65]
	s_cbranch_execz .LBB94_1414
; %bb.1413:                             ;   in Loop: Header=BB94_17 Depth=1
	flat_load_sbyte v14, v[14:15]
	s_waitcnt vmcnt(0) lgkmcnt(0)
	v_cvt_f32_i32_e32 v66, v14
                                        ; implicit-def: $vgpr14_vgpr15
.LBB94_1414:                            ;   in Loop: Header=BB94_17 Depth=1
	s_andn2_saveexec_b64 s[62:63], s[62:63]
	s_cbranch_execz .LBB94_1416
; %bb.1415:                             ;   in Loop: Header=BB94_17 Depth=1
	flat_load_ubyte v14, v[14:15]
	s_waitcnt vmcnt(0) lgkmcnt(0)
	v_cvt_f32_ubyte0_e32 v66, v14
.LBB94_1416:                            ;   in Loop: Header=BB94_17 Depth=1
	s_or_b64 exec, exec, s[62:63]
.LBB94_1417:                            ;   in Loop: Header=BB94_17 Depth=1
	s_or_b64 exec, exec, s[60:61]
.LBB94_1418:                            ;   in Loop: Header=BB94_17 Depth=1
	s_or_b64 exec, exec, s[58:59]
	s_andn2_b64 s[50:51], s[50:51], exec
	s_andn2_b64 s[48:49], s[48:49], exec
	s_or_b64 vcc, vcc, exec
	s_or_b64 exec, exec, s[56:57]
	s_mov_b64 s[58:59], 0
	s_and_saveexec_b64 s[56:57], vcc
	s_cbranch_execz .LBB94_1424
.LBB94_1419:                            ;   in Loop: Header=BB94_17 Depth=1
	v_mul_lo_u32 v14, v64, v10
	v_readlane_b32 s58, v44, 0
	v_add_co_u32_e32 v14, vcc, v4, v14
	v_add_u32_e32 v65, s58, v17
	v_addc_co_u32_e32 v15, vcc, 0, v5, vcc
	v_cmp_gt_i16_sdwa s[58:59], v8, v18 src0_sel:BYTE_0 src1_sel:DWORD
	s_mov_b64 s[62:63], 0
	s_waitcnt vmcnt(0) lgkmcnt(0)
	buffer_store_dword v66, v65, s[0:3], 0 offen offset:52
                                        ; implicit-def: $vcc
                                        ; implicit-def: $sgpr60_sgpr61
                                        ; implicit-def: $vgpr64
	s_and_saveexec_b64 s[64:65], s[58:59]
	s_xor_b64 s[58:59], exec, s[64:65]
	s_cbranch_execnz .LBB94_1446
; %bb.1420:                             ;   in Loop: Header=BB94_17 Depth=1
	s_andn2_saveexec_b64 s[58:59], s[58:59]
	s_cbranch_execnz .LBB94_1505
.LBB94_1421:                            ;   in Loop: Header=BB94_17 Depth=1
	s_or_b64 exec, exec, s[58:59]
	s_mov_b64 s[58:59], 0
	s_and_saveexec_b64 s[64:65], s[62:63]
	s_cbranch_execz .LBB94_1423
.LBB94_1422:                            ;   in Loop: Header=BB94_17 Depth=1
	s_mov_b64 s[58:59], exec
	v_add_u32_e32 v55, 0x200, v55
	s_andn2_b64 s[60:61], s[60:61], exec
	s_andn2_b64 vcc, vcc, exec
	s_waitcnt vmcnt(0) lgkmcnt(0)
	buffer_store_dword v64, v65, s[0:3], 0 offen offset:48
.LBB94_1423:                            ;   in Loop: Header=BB94_17 Depth=1
	s_or_b64 exec, exec, s[64:65]
	s_andn2_b64 s[50:51], s[50:51], exec
	s_and_b64 s[60:61], s[60:61], exec
	s_andn2_b64 s[48:49], s[48:49], exec
	s_and_b64 vcc, vcc, exec
	s_or_b64 s[50:51], s[50:51], s[60:61]
	s_or_b64 s[48:49], s[48:49], vcc
	s_and_b64 s[58:59], s[58:59], exec
.LBB94_1424:                            ;   in Loop: Header=BB94_17 Depth=1
	s_or_b64 exec, exec, s[56:57]
	s_and_b64 s[50:51], s[50:51], exec
	s_and_b64 s[48:49], s[48:49], exec
	s_orn2_b64 s[56:57], s[58:59], exec
.LBB94_1425:                            ;   in Loop: Header=BB94_17 Depth=1
	s_or_b64 exec, exec, s[52:53]
	s_and_saveexec_b64 s[52:53], s[56:57]
	s_cbranch_execz .LBB94_10
; %bb.1426:                             ;   in Loop: Header=BB94_17 Depth=1
	v_cmp_lt_i32_e32 vcc, v55, v6
	s_mov_b64 s[60:61], -1
	s_mov_b64 s[62:63], -1
                                        ; implicit-def: $sgpr54_sgpr55
                                        ; implicit-def: $sgpr56_sgpr57
	s_and_saveexec_b64 s[58:59], vcc
	s_cbranch_execz .LBB94_1652
; %bb.1427:                             ;   in Loop: Header=BB94_17 Depth=1
	v_readlane_b32 vcc_lo, v44, 1
	s_waitcnt vmcnt(0) lgkmcnt(0)
	v_add_u32_e32 v64, vcc_lo, v55
	v_mul_lo_u32 v14, v64, v9
	v_add_co_u32_e32 v14, vcc, v2, v14
	v_addc_co_u32_e32 v15, vcc, 0, v3, vcc
	v_cmp_gt_i16_sdwa s[62:63], v7, v18 src0_sel:BYTE_0 src1_sel:DWORD
	s_mov_b64 vcc, 0
                                        ; implicit-def: $sgpr54_sgpr55
                                        ; implicit-def: $sgpr56_sgpr57
                                        ; implicit-def: $vgpr66
	s_and_saveexec_b64 s[64:65], s[62:63]
	s_xor_b64 s[62:63], exec, s[64:65]
	s_cbranch_execnz .LBB94_1546
; %bb.1428:                             ;   in Loop: Header=BB94_17 Depth=1
	s_andn2_saveexec_b64 s[62:63], s[62:63]
	s_cbranch_execnz .LBB94_1605
.LBB94_1429:                            ;   in Loop: Header=BB94_17 Depth=1
	s_or_b64 exec, exec, s[62:63]
	s_mov_b64 s[64:65], 0
	s_and_saveexec_b64 s[62:63], vcc
	s_cbranch_execnz .LBB94_1646
	s_branch .LBB94_1651
.LBB94_1430:                            ;   in Loop: Header=BB94_17 Depth=1
	s_movk_i32 vcc_lo, 0x80
	v_cmp_eq_u16_e32 vcc, vcc_lo, v14
	s_mov_b64 s[44:45], -1
                                        ; implicit-def: $sgpr50
	s_and_saveexec_b64 s[48:49], vcc
; %bb.1431:                             ;   in Loop: Header=BB94_17 Depth=1
	s_mov_b32 s50, 0x7f800001
	s_xor_b64 s[44:45], exec, -1
; %bb.1432:                             ;   in Loop: Header=BB94_17 Depth=1
	s_or_b64 exec, exec, s[48:49]
	s_and_b64 s[44:45], s[44:45], exec
	s_or_saveexec_b64 s[46:47], s[46:47]
	v_mov_b32_e32 v64, s50
	s_xor_b64 exec, exec, s[46:47]
	s_cbranch_execz .LBB94_381
.LBB94_1433:                            ;   in Loop: Header=BB94_17 Depth=1
	v_cmp_ne_u16_e32 vcc, 0, v14
	s_andn2_b64 s[44:45], s[44:45], exec
	s_and_b64 vcc, vcc, exec
	v_mov_b32_e32 v64, 0
	s_or_b64 s[44:45], s[44:45], vcc
	s_or_b64 exec, exec, s[46:47]
	s_and_saveexec_b64 s[46:47], s[44:45]
	s_cbranch_execnz .LBB94_382
	s_branch .LBB94_383
.LBB94_1434:                            ;   in Loop: Header=BB94_17 Depth=1
	s_movk_i32 vcc_lo, 0x80
	v_cmp_eq_u16_e32 vcc, vcc_lo, v14
	s_mov_b64 s[44:45], -1
                                        ; implicit-def: $sgpr50
	s_and_saveexec_b64 s[48:49], vcc
; %bb.1435:                             ;   in Loop: Header=BB94_17 Depth=1
	s_mov_b32 s50, 0x7f800001
	s_xor_b64 s[44:45], exec, -1
; %bb.1436:                             ;   in Loop: Header=BB94_17 Depth=1
	s_or_b64 exec, exec, s[48:49]
	s_and_b64 s[44:45], s[44:45], exec
	s_or_saveexec_b64 s[46:47], s[46:47]
	v_mov_b32_e32 v66, s50
	s_xor_b64 exec, exec, s[46:47]
	s_cbranch_execz .LBB94_481
.LBB94_1437:                            ;   in Loop: Header=BB94_17 Depth=1
	v_cmp_ne_u16_e32 vcc, 0, v14
	s_andn2_b64 s[44:45], s[44:45], exec
	s_and_b64 vcc, vcc, exec
	v_mov_b32_e32 v66, 0
	s_or_b64 s[44:45], s[44:45], vcc
	s_or_b64 exec, exec, s[46:47]
	s_and_saveexec_b64 s[46:47], s[44:45]
	s_cbranch_execnz .LBB94_482
	s_branch .LBB94_483
.LBB94_1438:                            ;   in Loop: Header=BB94_17 Depth=1
	s_movk_i32 vcc_lo, 0x80
	v_cmp_eq_u16_e32 vcc, vcc_lo, v14
	s_mov_b64 s[48:49], -1
                                        ; implicit-def: $sgpr54
	s_and_saveexec_b64 s[52:53], vcc
; %bb.1439:                             ;   in Loop: Header=BB94_17 Depth=1
	s_mov_b32 s54, 0x7f800001
	s_xor_b64 s[48:49], exec, -1
; %bb.1440:                             ;   in Loop: Header=BB94_17 Depth=1
	s_or_b64 exec, exec, s[52:53]
	s_and_b64 s[48:49], s[48:49], exec
	s_or_saveexec_b64 s[50:51], s[50:51]
	v_mov_b32_e32 v64, s54
	s_xor_b64 exec, exec, s[50:51]
	s_cbranch_execz .LBB94_581
.LBB94_1441:                            ;   in Loop: Header=BB94_17 Depth=1
	v_cmp_ne_u16_e32 vcc, 0, v14
	s_andn2_b64 s[48:49], s[48:49], exec
	s_and_b64 vcc, vcc, exec
	v_mov_b32_e32 v64, 0
	s_or_b64 s[48:49], s[48:49], vcc
	s_or_b64 exec, exec, s[50:51]
	s_and_saveexec_b64 s[50:51], s[48:49]
	s_cbranch_execnz .LBB94_582
	s_branch .LBB94_583
.LBB94_1442:                            ;   in Loop: Header=BB94_17 Depth=1
	s_movk_i32 vcc_lo, 0x80
	v_cmp_eq_u16_e32 vcc, vcc_lo, v14
	s_mov_b64 s[48:49], -1
                                        ; implicit-def: $sgpr54
	s_and_saveexec_b64 s[52:53], vcc
; %bb.1443:                             ;   in Loop: Header=BB94_17 Depth=1
	s_mov_b32 s54, 0x7f800001
	s_xor_b64 s[48:49], exec, -1
; %bb.1444:                             ;   in Loop: Header=BB94_17 Depth=1
	s_or_b64 exec, exec, s[52:53]
	s_and_b64 s[48:49], s[48:49], exec
	s_or_saveexec_b64 s[50:51], s[50:51]
	v_mov_b32_e32 v66, s54
	s_xor_b64 exec, exec, s[50:51]
	s_cbranch_execz .LBB94_681
.LBB94_1445:                            ;   in Loop: Header=BB94_17 Depth=1
	v_cmp_ne_u16_e32 vcc, 0, v14
	s_andn2_b64 s[48:49], s[48:49], exec
	s_and_b64 vcc, vcc, exec
	v_mov_b32_e32 v66, 0
	s_or_b64 s[48:49], s[48:49], vcc
	s_or_b64 exec, exec, s[50:51]
	s_and_saveexec_b64 s[50:51], s[48:49]
	s_cbranch_execnz .LBB94_682
	s_branch .LBB94_683
.LBB94_1446:                            ;   in Loop: Header=BB94_17 Depth=1
	v_cmp_gt_i16_sdwa vcc, v8, v19 src0_sel:BYTE_0 src1_sel:DWORD
                                        ; implicit-def: $sgpr64_sgpr65
                                        ; implicit-def: $sgpr66_sgpr67
                                        ; implicit-def: $vgpr64
	s_and_saveexec_b64 s[60:61], vcc
	s_xor_b64 s[60:61], exec, s[60:61]
	s_cbranch_execz .LBB94_1478
; %bb.1447:                             ;   in Loop: Header=BB94_17 Depth=1
	v_cmp_gt_i16_sdwa vcc, v8, v20 src0_sel:BYTE_0 src1_sel:DWORD
                                        ; implicit-def: $sgpr64_sgpr65
                                        ; implicit-def: $sgpr68_sgpr69
                                        ; implicit-def: $vgpr64
	s_and_saveexec_b64 s[66:67], vcc
	s_xor_b64 s[66:67], exec, s[66:67]
	s_cbranch_execz .LBB94_1463
; %bb.1448:                             ;   in Loop: Header=BB94_17 Depth=1
	v_cmp_gt_i16_sdwa s[62:63], v8, v21 src0_sel:BYTE_0 src1_sel:DWORD
	s_mov_b64 s[70:71], 0
                                        ; implicit-def: $vcc
                                        ; implicit-def: $sgpr68_sgpr69
                                        ; implicit-def: $vgpr64
	s_and_saveexec_b64 s[64:65], s[62:63]
	s_xor_b64 s[62:63], exec, s[64:65]
	s_cbranch_execz .LBB94_1458
; %bb.1449:                             ;   in Loop: Header=BB94_17 Depth=1
	v_cmp_gt_i16_sdwa vcc, v8, v22 src0_sel:BYTE_0 src1_sel:DWORD
                                        ; implicit-def: $sgpr68_sgpr69
                                        ; implicit-def: $sgpr64_sgpr65
                                        ; implicit-def: $vgpr64
	s_and_saveexec_b64 s[72:73], vcc
	s_xor_b64 vcc, exec, s[72:73]
	s_cbranch_execz .LBB94_1453
; %bb.1450:                             ;   in Loop: Header=BB94_17 Depth=1
	v_cmp_eq_u16_sdwa s[72:73], v8, v23 src0_sel:BYTE_0 src1_sel:DWORD
	s_mov_b64 s[64:65], 0
                                        ; implicit-def: $vgpr64
	s_and_saveexec_b64 s[68:69], s[72:73]
	s_cbranch_execz .LBB94_1452
; %bb.1451:                             ;   in Loop: Header=BB94_17 Depth=1
	flat_load_dword v14, v[14:15]
	s_mov_b64 s[70:71], exec
	s_waitcnt vmcnt(0) lgkmcnt(0)
	v_lshlrev_b32_e32 v64, 16, v14
.LBB94_1452:                            ;   in Loop: Header=BB94_17 Depth=1
	s_or_b64 exec, exec, s[68:69]
	s_mov_b64 s[68:69], -1
	s_and_b64 s[70:71], s[70:71], exec
                                        ; implicit-def: $vgpr14_vgpr15
.LBB94_1453:                            ;   in Loop: Header=BB94_17 Depth=1
	s_andn2_saveexec_b64 s[72:73], vcc
	s_cbranch_execz .LBB94_1457
; %bb.1454:                             ;   in Loop: Header=BB94_17 Depth=1
	v_cmp_eq_u16_sdwa s[76:77], v8, v24 src0_sel:BYTE_0 src1_sel:DWORD
	s_mov_b64 vcc, s[70:71]
                                        ; implicit-def: $vgpr64
	s_and_saveexec_b64 s[74:75], s[76:77]
	s_cbranch_execz .LBB94_1456
; %bb.1455:                             ;   in Loop: Header=BB94_17 Depth=1
	flat_load_ubyte v14, v[14:15]
	s_movk_i32 vcc_lo, 0xff
	s_waitcnt vmcnt(0) lgkmcnt(0)
	v_lshlrev_b32_e32 v15, 23, v14
	v_cmp_ne_u32_e32 vcc, vcc_lo, v14
	v_cndmask_b32_e32 v15, v25, v15, vcc
	v_cmp_ne_u32_e32 vcc, 0, v14
	v_cndmask_b32_e32 v64, v26, v15, vcc
	s_or_b64 vcc, s[70:71], exec
.LBB94_1456:                            ;   in Loop: Header=BB94_17 Depth=1
	s_or_b64 exec, exec, s[74:75]
	s_andn2_b64 s[70:71], s[70:71], exec
	s_and_b64 vcc, vcc, exec
	s_or_b64 s[68:69], s[68:69], exec
	s_andn2_b64 s[64:65], s[64:65], exec
	s_or_b64 s[70:71], s[70:71], vcc
.LBB94_1457:                            ;   in Loop: Header=BB94_17 Depth=1
	s_or_b64 exec, exec, s[72:73]
	s_and_b64 s[68:69], s[68:69], exec
	s_and_b64 vcc, s[64:65], exec
	s_and_b64 s[70:71], s[70:71], exec
                                        ; implicit-def: $vgpr14_vgpr15
.LBB94_1458:                            ;   in Loop: Header=BB94_17 Depth=1
	s_andn2_saveexec_b64 s[62:63], s[62:63]
	s_cbranch_execz .LBB94_1462
; %bb.1459:                             ;   in Loop: Header=BB94_17 Depth=1
	v_cmp_eq_u16_sdwa s[74:75], v8, v27 src0_sel:BYTE_0 src1_sel:DWORD
	s_mov_b64 s[72:73], s[70:71]
                                        ; implicit-def: $vgpr64
	s_and_saveexec_b64 s[64:65], s[74:75]
	s_cbranch_execz .LBB94_1461
; %bb.1460:                             ;   in Loop: Header=BB94_17 Depth=1
	flat_load_dwordx2 v[14:15], v[14:15]
	s_or_b64 s[72:73], s[70:71], exec
	s_waitcnt vmcnt(0) lgkmcnt(0)
	v_ffbh_u32_e32 v64, v15
	v_min_u32_e32 v64, 32, v64
	v_lshlrev_b64 v[14:15], v64, v[14:15]
	v_min_u32_e32 v14, 1, v14
	v_or_b32_e32 v14, v15, v14
	v_cvt_f32_u32_e32 v14, v14
	v_sub_u32_e32 v15, 32, v64
	v_ldexp_f32 v64, v14, v15
.LBB94_1461:                            ;   in Loop: Header=BB94_17 Depth=1
	s_or_b64 exec, exec, s[64:65]
	s_andn2_b64 s[64:65], s[70:71], exec
	s_and_b64 s[70:71], s[72:73], exec
	s_or_b64 s[68:69], s[68:69], exec
	s_andn2_b64 vcc, vcc, exec
	s_or_b64 s[70:71], s[64:65], s[70:71]
.LBB94_1462:                            ;   in Loop: Header=BB94_17 Depth=1
	s_or_b64 exec, exec, s[62:63]
	s_and_b64 s[68:69], s[68:69], exec
	s_and_b64 s[64:65], vcc, exec
	s_and_b64 s[62:63], s[70:71], exec
                                        ; implicit-def: $vgpr14_vgpr15
.LBB94_1463:                            ;   in Loop: Header=BB94_17 Depth=1
	s_andn2_saveexec_b64 s[66:67], s[66:67]
	s_cbranch_execz .LBB94_1477
; %bb.1464:                             ;   in Loop: Header=BB94_17 Depth=1
	v_cmp_gt_i16_sdwa vcc, v8, v28 src0_sel:BYTE_0 src1_sel:DWORD
                                        ; implicit-def: $vgpr64
	s_and_saveexec_b64 s[70:71], vcc
	s_xor_b64 vcc, exec, s[70:71]
	s_cbranch_execz .LBB94_1470
; %bb.1465:                             ;   in Loop: Header=BB94_17 Depth=1
	v_cmp_gt_i16_sdwa s[70:71], v8, v29 src0_sel:BYTE_0 src1_sel:DWORD
                                        ; implicit-def: $vgpr64
	s_and_saveexec_b64 s[72:73], s[70:71]
	s_xor_b64 s[70:71], exec, s[72:73]
	s_cbranch_execz .LBB94_1467
; %bb.1466:                             ;   in Loop: Header=BB94_17 Depth=1
	flat_load_dword v14, v[14:15]
	s_waitcnt vmcnt(0) lgkmcnt(0)
	v_cvt_f32_u32_e32 v64, v14
                                        ; implicit-def: $vgpr14_vgpr15
.LBB94_1467:                            ;   in Loop: Header=BB94_17 Depth=1
	s_andn2_saveexec_b64 s[70:71], s[70:71]
	s_cbranch_execz .LBB94_1469
; %bb.1468:                             ;   in Loop: Header=BB94_17 Depth=1
	flat_load_ushort v14, v[14:15]
	s_waitcnt vmcnt(0) lgkmcnt(0)
	v_cvt_f32_u32_e32 v64, v14
.LBB94_1469:                            ;   in Loop: Header=BB94_17 Depth=1
	s_or_b64 exec, exec, s[70:71]
                                        ; implicit-def: $vgpr14_vgpr15
.LBB94_1470:                            ;   in Loop: Header=BB94_17 Depth=1
	s_andn2_saveexec_b64 s[70:71], vcc
	s_cbranch_execz .LBB94_1476
; %bb.1471:                             ;   in Loop: Header=BB94_17 Depth=1
	flat_load_ubyte v14, v[14:15]
	s_movk_i32 vcc_lo, 0x7f
	s_mov_b64 s[72:73], 0
                                        ; implicit-def: $sgpr78
	s_waitcnt vmcnt(0) lgkmcnt(0)
	v_cmp_lt_i16_e32 vcc, vcc_lo, v14
	s_and_saveexec_b64 s[74:75], vcc
	s_xor_b64 s[74:75], exec, s[74:75]
	s_cbranch_execnz .LBB94_2346
; %bb.1472:                             ;   in Loop: Header=BB94_17 Depth=1
	s_or_saveexec_b64 s[74:75], s[74:75]
	v_mov_b32_e32 v64, s78
	s_xor_b64 exec, exec, s[74:75]
	s_cbranch_execnz .LBB94_2349
.LBB94_1473:                            ;   in Loop: Header=BB94_17 Depth=1
	s_or_b64 exec, exec, s[74:75]
	s_and_saveexec_b64 s[74:75], s[72:73]
	s_cbranch_execz .LBB94_1475
.LBB94_1474:                            ;   in Loop: Header=BB94_17 Depth=1
	v_lshlrev_b32_e32 v15, 24, v14
	v_and_b32_e32 v14, 0xffff, v14
	v_and_b32_e32 v64, 7, v14
	v_ffbh_u32_e32 v67, v64
	v_min_u32_e32 v67, 32, v67
	v_subrev_u32_e32 v68, 28, v67
	v_bfe_u32 v66, v14, 3, 4
	v_lshlrev_b32_e32 v14, v68, v14
	v_sub_u32_e32 v67, 29, v67
	v_and_b32_e32 v14, 7, v14
	v_cmp_eq_u32_e32 vcc, 0, v66
	v_cndmask_b32_e32 v66, v66, v67, vcc
	v_cndmask_b32_e32 v14, v64, v14, vcc
	v_lshlrev_b32_e32 v14, 20, v14
	v_and_b32_e32 v15, 0x80000000, v15
	v_lshl_add_u32 v64, v66, 23, v30
	v_or3_b32 v64, v15, v64, v14
.LBB94_1475:                            ;   in Loop: Header=BB94_17 Depth=1
	s_or_b64 exec, exec, s[74:75]
.LBB94_1476:                            ;   in Loop: Header=BB94_17 Depth=1
	s_or_b64 exec, exec, s[70:71]
	s_andn2_b64 s[68:69], s[68:69], exec
	s_andn2_b64 s[64:65], s[64:65], exec
	s_or_b64 s[62:63], s[62:63], exec
.LBB94_1477:                            ;   in Loop: Header=BB94_17 Depth=1
	s_or_b64 exec, exec, s[66:67]
	s_and_b64 s[66:67], s[68:69], exec
	s_and_b64 s[64:65], s[64:65], exec
	;; [unrolled: 1-line block ×3, first 2 shown]
                                        ; implicit-def: $vgpr14_vgpr15
.LBB94_1478:                            ;   in Loop: Header=BB94_17 Depth=1
	s_andn2_saveexec_b64 s[60:61], s[60:61]
	s_cbranch_execz .LBB94_1504
; %bb.1479:                             ;   in Loop: Header=BB94_17 Depth=1
	v_cmp_gt_i16_sdwa vcc, v8, v31 src0_sel:BYTE_0 src1_sel:DWORD
	s_mov_b64 s[70:71], s[62:63]
                                        ; implicit-def: $vgpr64
	s_and_saveexec_b64 s[68:69], vcc
	s_xor_b64 s[68:69], exec, s[68:69]
	s_cbranch_execz .LBB94_1493
; %bb.1480:                             ;   in Loop: Header=BB94_17 Depth=1
	v_cmp_gt_i16_sdwa vcc, v8, v32 src0_sel:BYTE_0 src1_sel:DWORD
                                        ; implicit-def: $vgpr64
	s_and_saveexec_b64 s[70:71], vcc
	s_xor_b64 s[70:71], exec, s[70:71]
	s_cbranch_execz .LBB94_1490
; %bb.1481:                             ;   in Loop: Header=BB94_17 Depth=1
	v_cmp_gt_i16_sdwa vcc, v8, v33 src0_sel:BYTE_0 src1_sel:DWORD
                                        ; implicit-def: $vgpr64
	s_and_saveexec_b64 s[72:73], vcc
	s_xor_b64 s[72:73], exec, s[72:73]
	s_cbranch_execz .LBB94_1487
; %bb.1482:                             ;   in Loop: Header=BB94_17 Depth=1
	flat_load_ubyte v14, v[14:15]
	s_movk_i32 vcc_lo, 0x7f
	s_mov_b64 s[74:75], 0
                                        ; implicit-def: $sgpr80
	s_waitcnt vmcnt(0) lgkmcnt(0)
	v_cmp_lt_i16_e32 vcc, vcc_lo, v14
	s_and_saveexec_b64 s[76:77], vcc
	s_xor_b64 s[76:77], exec, s[76:77]
	s_cbranch_execnz .LBB94_2565
; %bb.1483:                             ;   in Loop: Header=BB94_17 Depth=1
	s_or_saveexec_b64 s[76:77], s[76:77]
	v_mov_b32_e32 v64, s80
	s_xor_b64 exec, exec, s[76:77]
	s_cbranch_execnz .LBB94_2568
.LBB94_1484:                            ;   in Loop: Header=BB94_17 Depth=1
	s_or_b64 exec, exec, s[76:77]
	s_and_saveexec_b64 s[76:77], s[74:75]
	s_cbranch_execz .LBB94_1486
.LBB94_1485:                            ;   in Loop: Header=BB94_17 Depth=1
	v_lshlrev_b32_e32 v15, 24, v14
	v_and_b32_e32 v14, 0xffff, v14
	v_and_b32_e32 v64, 3, v14
	v_ffbh_u32_e32 v67, v64
	v_min_u32_e32 v67, 32, v67
	v_subrev_u32_e32 v68, 29, v67
	v_bfe_u32 v66, v14, 2, 5
	v_lshlrev_b32_e32 v14, v68, v14
	v_sub_u32_e32 v67, 30, v67
	v_and_b32_e32 v14, 3, v14
	v_cmp_eq_u32_e32 vcc, 0, v66
	v_cndmask_b32_e32 v66, v66, v67, vcc
	v_cndmask_b32_e32 v14, v64, v14, vcc
	v_lshlrev_b32_e32 v14, 21, v14
	v_and_b32_e32 v15, 0x80000000, v15
	v_lshl_add_u32 v64, v66, 23, v34
	v_or3_b32 v64, v15, v64, v14
.LBB94_1486:                            ;   in Loop: Header=BB94_17 Depth=1
	s_or_b64 exec, exec, s[76:77]
                                        ; implicit-def: $vgpr14_vgpr15
.LBB94_1487:                            ;   in Loop: Header=BB94_17 Depth=1
	s_andn2_saveexec_b64 s[72:73], s[72:73]
	s_cbranch_execz .LBB94_1489
; %bb.1488:                             ;   in Loop: Header=BB94_17 Depth=1
	flat_load_ubyte v14, v[14:15]
	s_mov_b32 vcc_lo, 0x7f800000
	s_waitcnt vmcnt(0) lgkmcnt(0)
	v_lshlrev_b32_e32 v14, 24, v14
	v_and_b32_e32 v15, 0x7f000000, v14
	v_ffbh_u32_e32 v64, v15
	v_min_u32_e32 v64, 32, v64
	v_sub_u32_e64 v64, v64, 4 clamp
	v_lshlrev_b32_e32 v67, v64, v15
	v_lshlrev_b32_e32 v64, 23, v64
	v_lshrrev_b32_e32 v67, 4, v67
	v_add_u32_e32 v66, 0x1000000, v15
	v_sub_u32_e32 v64, v67, v64
	v_ashrrev_i32_e32 v66, 8, v66
	v_add_u32_e32 v64, 0x3c000000, v64
	v_and_or_b32 v64, v66, vcc_lo, v64
	v_cmp_ne_u32_e32 vcc, 0, v15
	v_cndmask_b32_e32 v15, 0, v64, vcc
	s_brev_b32 vcc_lo, 1
	v_and_or_b32 v64, v14, vcc_lo, v15
.LBB94_1489:                            ;   in Loop: Header=BB94_17 Depth=1
	s_or_b64 exec, exec, s[72:73]
                                        ; implicit-def: $vgpr14_vgpr15
.LBB94_1490:                            ;   in Loop: Header=BB94_17 Depth=1
	s_andn2_saveexec_b64 s[70:71], s[70:71]
	s_cbranch_execz .LBB94_1492
; %bb.1491:                             ;   in Loop: Header=BB94_17 Depth=1
	flat_load_ubyte v14, v[14:15]
	s_movk_i32 vcc_lo, 0x7f00
	s_waitcnt vmcnt(0) lgkmcnt(0)
	v_lshlrev_b16_e32 v15, 8, v14
	v_lshlrev_b32_e32 v14, 25, v14
	v_lshrrev_b32_e32 v64, 4, v14
	v_and_or_b32 v66, v15, vcc_lo, 0.5
	v_or_b32_e32 v64, 0x70000000, v64
	s_brev_b32 vcc_lo, 16
	v_add_f32_e32 v66, -0.5, v66
	v_mul_f32_e32 v64, 0x7800000, v64
	v_cmp_gt_u32_e32 vcc, vcc_lo, v14
	v_cndmask_b32_e32 v14, v64, v66, vcc
	v_bfe_i32 v15, v15, 0, 16
	s_brev_b32 vcc_lo, 1
	v_and_or_b32 v64, v15, vcc_lo, v14
.LBB94_1492:                            ;   in Loop: Header=BB94_17 Depth=1
	s_or_b64 exec, exec, s[70:71]
	s_or_b64 s[70:71], s[62:63], exec
                                        ; implicit-def: $vgpr14_vgpr15
.LBB94_1493:                            ;   in Loop: Header=BB94_17 Depth=1
	s_or_saveexec_b64 s[68:69], s[68:69]
                                        ; implicit-def: $vcc
                                        ; implicit-def: $sgpr76_sgpr77
	s_xor_b64 exec, exec, s[68:69]
	s_cbranch_execz .LBB94_1503
; %bb.1494:                             ;   in Loop: Header=BB94_17 Depth=1
	v_cmp_gt_i16_sdwa vcc, v8, v35 src0_sel:BYTE_0 src1_sel:DWORD
	s_mov_b64 s[74:75], s[70:71]
                                        ; implicit-def: $sgpr76_sgpr77
                                        ; implicit-def: $sgpr72_sgpr73
                                        ; implicit-def: $vgpr64
	s_and_saveexec_b64 s[78:79], vcc
	s_xor_b64 vcc, exec, s[78:79]
	s_cbranch_execz .LBB94_1498
; %bb.1495:                             ;   in Loop: Header=BB94_17 Depth=1
	v_cmp_eq_u16_sdwa s[76:77], v8, v36 src0_sel:BYTE_0 src1_sel:DWORD
	s_mov_b64 s[74:75], s[70:71]
                                        ; implicit-def: $vgpr64
	s_and_saveexec_b64 s[72:73], s[76:77]
	s_cbranch_execz .LBB94_1497
; %bb.1496:                             ;   in Loop: Header=BB94_17 Depth=1
	flat_load_ushort v14, v[14:15]
	s_or_b64 s[74:75], s[70:71], exec
	s_waitcnt vmcnt(0) lgkmcnt(0)
	v_lshlrev_b32_e32 v64, 16, v14
.LBB94_1497:                            ;   in Loop: Header=BB94_17 Depth=1
	s_or_b64 exec, exec, s[72:73]
	s_andn2_b64 s[78:79], s[70:71], exec
	s_and_b64 s[74:75], s[74:75], exec
	s_mov_b64 s[72:73], 0
	s_mov_b64 s[76:77], -1
	s_or_b64 s[74:75], s[78:79], s[74:75]
                                        ; implicit-def: $vgpr14_vgpr15
.LBB94_1498:                            ;   in Loop: Header=BB94_17 Depth=1
	s_andn2_saveexec_b64 s[78:79], vcc
	s_cbranch_execz .LBB94_1502
; %bb.1499:                             ;   in Loop: Header=BB94_17 Depth=1
	v_cmp_eq_u16_sdwa s[82:83], v8, v37 src0_sel:BYTE_0 src1_sel:DWORD
	s_mov_b64 vcc, s[74:75]
                                        ; implicit-def: $vgpr64
	s_and_saveexec_b64 s[80:81], s[82:83]
	s_cbranch_execz .LBB94_1501
; %bb.1500:                             ;   in Loop: Header=BB94_17 Depth=1
	flat_load_ubyte v14, v[14:15]
	s_waitcnt vmcnt(0) lgkmcnt(0)
	v_cmp_ne_u16_e32 vcc, 0, v14
	v_cndmask_b32_e64 v64, 0, 1.0, vcc
	s_or_b64 vcc, s[74:75], exec
.LBB94_1501:                            ;   in Loop: Header=BB94_17 Depth=1
	s_or_b64 exec, exec, s[80:81]
	s_andn2_b64 s[74:75], s[74:75], exec
	s_and_b64 vcc, vcc, exec
	s_or_b64 s[76:77], s[76:77], exec
	s_andn2_b64 s[72:73], s[72:73], exec
	s_or_b64 s[74:75], s[74:75], vcc
.LBB94_1502:                            ;   in Loop: Header=BB94_17 Depth=1
	s_or_b64 exec, exec, s[78:79]
	s_and_b64 vcc, s[72:73], exec
	s_andn2_b64 s[70:71], s[70:71], exec
	s_and_b64 s[72:73], s[74:75], exec
	s_and_b64 s[76:77], s[76:77], exec
	s_or_b64 s[70:71], s[70:71], s[72:73]
.LBB94_1503:                            ;   in Loop: Header=BB94_17 Depth=1
	s_or_b64 exec, exec, s[68:69]
	s_andn2_b64 s[64:65], s[64:65], exec
	s_and_b64 vcc, vcc, exec
	s_andn2_b64 s[66:67], s[66:67], exec
	s_and_b64 s[68:69], s[76:77], exec
	s_or_b64 s[64:65], s[64:65], vcc
	s_andn2_b64 vcc, s[62:63], exec
	s_and_b64 s[62:63], s[70:71], exec
	s_or_b64 s[66:67], s[66:67], s[68:69]
	s_or_b64 s[62:63], vcc, s[62:63]
.LBB94_1504:                            ;   in Loop: Header=BB94_17 Depth=1
	s_or_b64 exec, exec, s[60:61]
	s_and_b64 s[60:61], s[66:67], exec
	s_and_b64 vcc, s[64:65], exec
	s_and_b64 s[62:63], s[62:63], exec
                                        ; implicit-def: $vgpr14_vgpr15
	s_andn2_saveexec_b64 s[58:59], s[58:59]
	s_cbranch_execz .LBB94_1421
.LBB94_1505:                            ;   in Loop: Header=BB94_17 Depth=1
	v_cmp_gt_i16_sdwa s[64:65], v8, v38 src0_sel:BYTE_0 src1_sel:DWORD
                                        ; implicit-def: $vgpr64
	s_and_saveexec_b64 s[66:67], s[64:65]
	s_xor_b64 s[64:65], exec, s[66:67]
	s_cbranch_execz .LBB94_1527
; %bb.1506:                             ;   in Loop: Header=BB94_17 Depth=1
	v_cmp_gt_i16_sdwa s[66:67], v8, v39 src0_sel:BYTE_0 src1_sel:DWORD
                                        ; implicit-def: $vgpr64
	s_and_saveexec_b64 s[68:69], s[66:67]
	s_xor_b64 s[66:67], exec, s[68:69]
	s_cbranch_execz .LBB94_1516
; %bb.1507:                             ;   in Loop: Header=BB94_17 Depth=1
	;; [unrolled: 6-line block ×4, first 2 shown]
	flat_load_dwordx2 v[14:15], v[14:15]
	s_waitcnt vmcnt(0) lgkmcnt(0)
	v_cvt_f32_f64_e32 v64, v[14:15]
                                        ; implicit-def: $vgpr14_vgpr15
.LBB94_1510:                            ;   in Loop: Header=BB94_17 Depth=1
	s_andn2_saveexec_b64 s[70:71], s[70:71]
	s_cbranch_execz .LBB94_1512
; %bb.1511:                             ;   in Loop: Header=BB94_17 Depth=1
	flat_load_dword v64, v[14:15]
.LBB94_1512:                            ;   in Loop: Header=BB94_17 Depth=1
	s_or_b64 exec, exec, s[70:71]
                                        ; implicit-def: $vgpr14_vgpr15
.LBB94_1513:                            ;   in Loop: Header=BB94_17 Depth=1
	s_andn2_saveexec_b64 s[68:69], s[68:69]
	s_cbranch_execz .LBB94_1515
; %bb.1514:                             ;   in Loop: Header=BB94_17 Depth=1
	flat_load_dword v14, v[14:15]
	s_waitcnt vmcnt(0) lgkmcnt(0)
	v_cvt_f32_f16_e32 v64, v14
.LBB94_1515:                            ;   in Loop: Header=BB94_17 Depth=1
	s_or_b64 exec, exec, s[68:69]
                                        ; implicit-def: $vgpr14_vgpr15
.LBB94_1516:                            ;   in Loop: Header=BB94_17 Depth=1
	s_andn2_saveexec_b64 s[66:67], s[66:67]
	s_cbranch_execz .LBB94_1526
; %bb.1517:                             ;   in Loop: Header=BB94_17 Depth=1
	v_cmp_gt_i16_sdwa s[68:69], v8, v50 src0_sel:BYTE_0 src1_sel:DWORD
                                        ; implicit-def: $vgpr64
	s_and_saveexec_b64 s[70:71], s[68:69]
	s_xor_b64 s[68:69], exec, s[70:71]
	s_cbranch_execz .LBB94_1523
; %bb.1518:                             ;   in Loop: Header=BB94_17 Depth=1
	v_cmp_gt_i16_sdwa s[70:71], v8, v51 src0_sel:BYTE_0 src1_sel:DWORD
                                        ; implicit-def: $vgpr64
	s_and_saveexec_b64 s[72:73], s[70:71]
	s_xor_b64 s[70:71], exec, s[72:73]
	s_cbranch_execz .LBB94_1520
; %bb.1519:                             ;   in Loop: Header=BB94_17 Depth=1
	flat_load_dwordx2 v[14:15], v[14:15]
	s_waitcnt vmcnt(0) lgkmcnt(0)
	v_cvt_f32_f64_e32 v64, v[14:15]
                                        ; implicit-def: $vgpr14_vgpr15
.LBB94_1520:                            ;   in Loop: Header=BB94_17 Depth=1
	s_andn2_saveexec_b64 s[70:71], s[70:71]
	s_cbranch_execz .LBB94_1522
; %bb.1521:                             ;   in Loop: Header=BB94_17 Depth=1
	s_waitcnt vmcnt(0) lgkmcnt(0)
	flat_load_dword v64, v[14:15]
.LBB94_1522:                            ;   in Loop: Header=BB94_17 Depth=1
	s_or_b64 exec, exec, s[70:71]
                                        ; implicit-def: $vgpr14_vgpr15
.LBB94_1523:                            ;   in Loop: Header=BB94_17 Depth=1
	s_andn2_saveexec_b64 s[68:69], s[68:69]
	s_cbranch_execz .LBB94_1525
; %bb.1524:                             ;   in Loop: Header=BB94_17 Depth=1
	flat_load_ushort v14, v[14:15]
	s_waitcnt vmcnt(0) lgkmcnt(0)
	v_cvt_f32_f16_e32 v64, v14
.LBB94_1525:                            ;   in Loop: Header=BB94_17 Depth=1
	s_or_b64 exec, exec, s[68:69]
.LBB94_1526:                            ;   in Loop: Header=BB94_17 Depth=1
	s_or_b64 exec, exec, s[66:67]
                                        ; implicit-def: $vgpr14_vgpr15
.LBB94_1527:                            ;   in Loop: Header=BB94_17 Depth=1
	s_andn2_saveexec_b64 s[64:65], s[64:65]
	s_cbranch_execz .LBB94_1545
; %bb.1528:                             ;   in Loop: Header=BB94_17 Depth=1
	v_cmp_gt_i16_sdwa s[66:67], v8, v52 src0_sel:BYTE_0 src1_sel:DWORD
                                        ; implicit-def: $vgpr64
	s_and_saveexec_b64 s[68:69], s[66:67]
	s_xor_b64 s[66:67], exec, s[68:69]
	s_cbranch_execz .LBB94_1538
; %bb.1529:                             ;   in Loop: Header=BB94_17 Depth=1
	v_cmp_gt_i16_sdwa s[68:69], v8, v53 src0_sel:BYTE_0 src1_sel:DWORD
                                        ; implicit-def: $vgpr64
	s_and_saveexec_b64 s[70:71], s[68:69]
	s_xor_b64 s[68:69], exec, s[70:71]
	;; [unrolled: 6-line block ×3, first 2 shown]
	s_cbranch_execz .LBB94_1532
; %bb.1531:                             ;   in Loop: Header=BB94_17 Depth=1
	flat_load_dwordx2 v[14:15], v[14:15]
	s_waitcnt vmcnt(0) lgkmcnt(0)
	v_xor_b32_e32 v66, v14, v15
	v_ffbh_i32_e32 v64, v15
	v_ashrrev_i32_e32 v66, 31, v66
	v_add_u32_e32 v64, -1, v64
	v_add_u32_e32 v66, 32, v66
	v_min_u32_e32 v64, v64, v66
	v_lshlrev_b64 v[14:15], v64, v[14:15]
	v_min_u32_e32 v14, 1, v14
	v_or_b32_e32 v14, v15, v14
	v_cvt_f32_i32_e32 v14, v14
	v_sub_u32_e32 v15, 32, v64
	v_ldexp_f32 v64, v14, v15
                                        ; implicit-def: $vgpr14_vgpr15
.LBB94_1532:                            ;   in Loop: Header=BB94_17 Depth=1
	s_andn2_saveexec_b64 s[70:71], s[70:71]
	s_cbranch_execz .LBB94_1534
; %bb.1533:                             ;   in Loop: Header=BB94_17 Depth=1
	flat_load_dword v14, v[14:15]
	s_waitcnt vmcnt(0) lgkmcnt(0)
	v_cvt_f32_i32_e32 v64, v14
.LBB94_1534:                            ;   in Loop: Header=BB94_17 Depth=1
	s_or_b64 exec, exec, s[70:71]
                                        ; implicit-def: $vgpr14_vgpr15
.LBB94_1535:                            ;   in Loop: Header=BB94_17 Depth=1
	s_andn2_saveexec_b64 s[68:69], s[68:69]
	s_cbranch_execz .LBB94_1537
; %bb.1536:                             ;   in Loop: Header=BB94_17 Depth=1
	flat_load_sshort v14, v[14:15]
	s_waitcnt vmcnt(0) lgkmcnt(0)
	v_cvt_f32_i32_e32 v64, v14
.LBB94_1537:                            ;   in Loop: Header=BB94_17 Depth=1
	s_or_b64 exec, exec, s[68:69]
                                        ; implicit-def: $vgpr14_vgpr15
.LBB94_1538:                            ;   in Loop: Header=BB94_17 Depth=1
	s_andn2_saveexec_b64 s[66:67], s[66:67]
	s_cbranch_execz .LBB94_1544
; %bb.1539:                             ;   in Loop: Header=BB94_17 Depth=1
	v_cmp_gt_i16_sdwa s[68:69], v8, v16 src0_sel:BYTE_0 src1_sel:DWORD
                                        ; implicit-def: $vgpr64
	s_and_saveexec_b64 s[70:71], s[68:69]
	s_xor_b64 s[68:69], exec, s[70:71]
	s_cbranch_execz .LBB94_1541
; %bb.1540:                             ;   in Loop: Header=BB94_17 Depth=1
	flat_load_sbyte v14, v[14:15]
	s_waitcnt vmcnt(0) lgkmcnt(0)
	v_cvt_f32_i32_e32 v64, v14
                                        ; implicit-def: $vgpr14_vgpr15
.LBB94_1541:                            ;   in Loop: Header=BB94_17 Depth=1
	s_andn2_saveexec_b64 s[68:69], s[68:69]
	s_cbranch_execz .LBB94_1543
; %bb.1542:                             ;   in Loop: Header=BB94_17 Depth=1
	flat_load_ubyte v14, v[14:15]
	s_waitcnt vmcnt(0) lgkmcnt(0)
	v_cvt_f32_ubyte0_e32 v64, v14
.LBB94_1543:                            ;   in Loop: Header=BB94_17 Depth=1
	s_or_b64 exec, exec, s[68:69]
.LBB94_1544:                            ;   in Loop: Header=BB94_17 Depth=1
	s_or_b64 exec, exec, s[66:67]
.LBB94_1545:                            ;   in Loop: Header=BB94_17 Depth=1
	s_or_b64 exec, exec, s[64:65]
	s_andn2_b64 s[60:61], s[60:61], exec
	s_andn2_b64 vcc, vcc, exec
	s_or_b64 s[62:63], s[62:63], exec
	s_or_b64 exec, exec, s[58:59]
	s_mov_b64 s[58:59], 0
	s_and_saveexec_b64 s[64:65], s[62:63]
	s_cbranch_execnz .LBB94_1422
	s_branch .LBB94_1423
.LBB94_1546:                            ;   in Loop: Header=BB94_17 Depth=1
	v_cmp_gt_i16_sdwa vcc, v7, v19 src0_sel:BYTE_0 src1_sel:DWORD
	s_mov_b64 s[64:65], 0
                                        ; implicit-def: $sgpr66_sgpr67
                                        ; implicit-def: $sgpr56_sgpr57
                                        ; implicit-def: $vgpr66
	s_and_saveexec_b64 s[54:55], vcc
	s_xor_b64 s[54:55], exec, s[54:55]
	s_cbranch_execz .LBB94_1578
; %bb.1547:                             ;   in Loop: Header=BB94_17 Depth=1
	v_cmp_gt_i16_sdwa vcc, v7, v20 src0_sel:BYTE_0 src1_sel:DWORD
                                        ; implicit-def: $sgpr66_sgpr67
                                        ; implicit-def: $sgpr68_sgpr69
                                        ; implicit-def: $vgpr66
	s_and_saveexec_b64 s[56:57], vcc
	s_xor_b64 s[56:57], exec, s[56:57]
	s_cbranch_execz .LBB94_1563
; %bb.1548:                             ;   in Loop: Header=BB94_17 Depth=1
	v_cmp_gt_i16_sdwa s[64:65], v7, v21 src0_sel:BYTE_0 src1_sel:DWORD
	s_mov_b64 s[70:71], 0
                                        ; implicit-def: $vcc
                                        ; implicit-def: $sgpr66_sgpr67
                                        ; implicit-def: $vgpr66
	s_and_saveexec_b64 s[68:69], s[64:65]
	s_xor_b64 s[64:65], exec, s[68:69]
	s_cbranch_execz .LBB94_1558
; %bb.1549:                             ;   in Loop: Header=BB94_17 Depth=1
	v_cmp_gt_i16_sdwa vcc, v7, v22 src0_sel:BYTE_0 src1_sel:DWORD
	s_mov_b64 s[68:69], 0
                                        ; implicit-def: $sgpr66_sgpr67
                                        ; implicit-def: $sgpr70_sgpr71
                                        ; implicit-def: $vgpr66
	s_and_saveexec_b64 s[72:73], vcc
	s_xor_b64 vcc, exec, s[72:73]
	s_cbranch_execz .LBB94_1553
; %bb.1550:                             ;   in Loop: Header=BB94_17 Depth=1
	v_cmp_eq_u16_sdwa s[72:73], v7, v23 src0_sel:BYTE_0 src1_sel:DWORD
	s_mov_b64 s[66:67], 0
                                        ; implicit-def: $vgpr66
	s_and_saveexec_b64 s[70:71], s[72:73]
	s_cbranch_execz .LBB94_1552
; %bb.1551:                             ;   in Loop: Header=BB94_17 Depth=1
	flat_load_dword v14, v[14:15]
	s_mov_b64 s[68:69], exec
	s_waitcnt vmcnt(0) lgkmcnt(0)
	v_lshlrev_b32_e32 v66, 16, v14
.LBB94_1552:                            ;   in Loop: Header=BB94_17 Depth=1
	s_or_b64 exec, exec, s[70:71]
	s_mov_b64 s[70:71], -1
	s_and_b64 s[68:69], s[68:69], exec
                                        ; implicit-def: $vgpr14_vgpr15
.LBB94_1553:                            ;   in Loop: Header=BB94_17 Depth=1
	s_andn2_saveexec_b64 s[72:73], vcc
	s_cbranch_execz .LBB94_1557
; %bb.1554:                             ;   in Loop: Header=BB94_17 Depth=1
	v_cmp_eq_u16_sdwa s[76:77], v7, v24 src0_sel:BYTE_0 src1_sel:DWORD
	s_mov_b64 vcc, s[68:69]
                                        ; implicit-def: $vgpr66
	s_and_saveexec_b64 s[74:75], s[76:77]
	s_cbranch_execz .LBB94_1556
; %bb.1555:                             ;   in Loop: Header=BB94_17 Depth=1
	flat_load_ubyte v14, v[14:15]
	s_movk_i32 vcc_lo, 0xff
	s_waitcnt vmcnt(0) lgkmcnt(0)
	v_lshlrev_b32_e32 v15, 23, v14
	v_cmp_ne_u32_e32 vcc, vcc_lo, v14
	v_cndmask_b32_e32 v15, v25, v15, vcc
	v_cmp_ne_u32_e32 vcc, 0, v14
	v_cndmask_b32_e32 v66, v26, v15, vcc
	s_or_b64 vcc, s[68:69], exec
.LBB94_1556:                            ;   in Loop: Header=BB94_17 Depth=1
	s_or_b64 exec, exec, s[74:75]
	s_andn2_b64 s[68:69], s[68:69], exec
	s_and_b64 vcc, vcc, exec
	s_andn2_b64 s[66:67], s[66:67], exec
	s_or_b64 s[70:71], s[70:71], exec
	s_or_b64 s[68:69], s[68:69], vcc
.LBB94_1557:                            ;   in Loop: Header=BB94_17 Depth=1
	s_or_b64 exec, exec, s[72:73]
	s_and_b64 s[66:67], s[66:67], exec
	s_and_b64 vcc, s[70:71], exec
	s_and_b64 s[70:71], s[68:69], exec
                                        ; implicit-def: $vgpr14_vgpr15
.LBB94_1558:                            ;   in Loop: Header=BB94_17 Depth=1
	s_andn2_saveexec_b64 s[64:65], s[64:65]
	s_cbranch_execz .LBB94_1562
; %bb.1559:                             ;   in Loop: Header=BB94_17 Depth=1
	v_cmp_eq_u16_sdwa s[74:75], v7, v27 src0_sel:BYTE_0 src1_sel:DWORD
	s_mov_b64 s[72:73], s[70:71]
                                        ; implicit-def: $vgpr66
	s_and_saveexec_b64 s[68:69], s[74:75]
	s_cbranch_execz .LBB94_1561
; %bb.1560:                             ;   in Loop: Header=BB94_17 Depth=1
	flat_load_dwordx2 v[14:15], v[14:15]
	s_or_b64 s[72:73], s[70:71], exec
	s_waitcnt vmcnt(0) lgkmcnt(0)
	v_ffbh_u32_e32 v65, v15
	v_min_u32_e32 v65, 32, v65
	v_lshlrev_b64 v[14:15], v65, v[14:15]
	v_min_u32_e32 v14, 1, v14
	v_or_b32_e32 v14, v15, v14
	v_cvt_f32_u32_e32 v14, v14
	v_sub_u32_e32 v15, 32, v65
	v_ldexp_f32 v66, v14, v15
.LBB94_1561:                            ;   in Loop: Header=BB94_17 Depth=1
	s_or_b64 exec, exec, s[68:69]
	s_andn2_b64 s[68:69], s[70:71], exec
	s_and_b64 s[70:71], s[72:73], exec
	s_andn2_b64 s[66:67], s[66:67], exec
	s_or_b64 vcc, vcc, exec
	s_or_b64 s[70:71], s[68:69], s[70:71]
.LBB94_1562:                            ;   in Loop: Header=BB94_17 Depth=1
	s_or_b64 exec, exec, s[64:65]
	s_and_b64 s[68:69], s[66:67], exec
	s_and_b64 s[66:67], vcc, exec
	s_and_b64 s[64:65], s[70:71], exec
                                        ; implicit-def: $vgpr14_vgpr15
.LBB94_1563:                            ;   in Loop: Header=BB94_17 Depth=1
	s_andn2_saveexec_b64 s[56:57], s[56:57]
	s_cbranch_execz .LBB94_1577
; %bb.1564:                             ;   in Loop: Header=BB94_17 Depth=1
	v_cmp_gt_i16_sdwa vcc, v7, v28 src0_sel:BYTE_0 src1_sel:DWORD
                                        ; implicit-def: $vgpr66
	s_and_saveexec_b64 s[70:71], vcc
	s_xor_b64 vcc, exec, s[70:71]
	s_cbranch_execz .LBB94_1570
; %bb.1565:                             ;   in Loop: Header=BB94_17 Depth=1
	v_cmp_gt_i16_sdwa s[70:71], v7, v29 src0_sel:BYTE_0 src1_sel:DWORD
                                        ; implicit-def: $vgpr66
	s_and_saveexec_b64 s[72:73], s[70:71]
	s_xor_b64 s[70:71], exec, s[72:73]
	s_cbranch_execz .LBB94_1567
; %bb.1566:                             ;   in Loop: Header=BB94_17 Depth=1
	flat_load_dword v14, v[14:15]
	s_waitcnt vmcnt(0) lgkmcnt(0)
	v_cvt_f32_u32_e32 v66, v14
                                        ; implicit-def: $vgpr14_vgpr15
.LBB94_1567:                            ;   in Loop: Header=BB94_17 Depth=1
	s_andn2_saveexec_b64 s[70:71], s[70:71]
	s_cbranch_execz .LBB94_1569
; %bb.1568:                             ;   in Loop: Header=BB94_17 Depth=1
	flat_load_ushort v14, v[14:15]
	s_waitcnt vmcnt(0) lgkmcnt(0)
	v_cvt_f32_u32_e32 v66, v14
.LBB94_1569:                            ;   in Loop: Header=BB94_17 Depth=1
	s_or_b64 exec, exec, s[70:71]
                                        ; implicit-def: $vgpr14_vgpr15
.LBB94_1570:                            ;   in Loop: Header=BB94_17 Depth=1
	s_andn2_saveexec_b64 s[70:71], vcc
	s_cbranch_execz .LBB94_1576
; %bb.1571:                             ;   in Loop: Header=BB94_17 Depth=1
	flat_load_ubyte v14, v[14:15]
	s_movk_i32 vcc_lo, 0x7f
	s_mov_b64 s[72:73], 0
                                        ; implicit-def: $sgpr78
	s_waitcnt vmcnt(0) lgkmcnt(0)
	v_cmp_lt_i16_e32 vcc, vcc_lo, v14
	s_and_saveexec_b64 s[74:75], vcc
	s_xor_b64 s[74:75], exec, s[74:75]
	s_cbranch_execnz .LBB94_2350
; %bb.1572:                             ;   in Loop: Header=BB94_17 Depth=1
	s_or_saveexec_b64 s[74:75], s[74:75]
	v_mov_b32_e32 v66, s78
	s_xor_b64 exec, exec, s[74:75]
	s_cbranch_execnz .LBB94_2353
.LBB94_1573:                            ;   in Loop: Header=BB94_17 Depth=1
	s_or_b64 exec, exec, s[74:75]
	s_and_saveexec_b64 s[74:75], s[72:73]
	s_cbranch_execz .LBB94_1575
.LBB94_1574:                            ;   in Loop: Header=BB94_17 Depth=1
	v_lshlrev_b32_e32 v15, 24, v14
	v_and_b32_e32 v14, 0xffff, v14
	v_and_b32_e32 v65, 7, v14
	v_ffbh_u32_e32 v67, v65
	v_min_u32_e32 v67, 32, v67
	v_subrev_u32_e32 v68, 28, v67
	v_bfe_u32 v66, v14, 3, 4
	v_lshlrev_b32_e32 v14, v68, v14
	v_sub_u32_e32 v67, 29, v67
	v_and_b32_e32 v14, 7, v14
	v_cmp_eq_u32_e32 vcc, 0, v66
	v_cndmask_b32_e32 v66, v66, v67, vcc
	v_cndmask_b32_e32 v14, v65, v14, vcc
	v_lshlrev_b32_e32 v14, 20, v14
	v_and_b32_e32 v15, 0x80000000, v15
	v_lshl_add_u32 v65, v66, 23, v30
	v_or3_b32 v66, v15, v65, v14
.LBB94_1575:                            ;   in Loop: Header=BB94_17 Depth=1
	s_or_b64 exec, exec, s[74:75]
.LBB94_1576:                            ;   in Loop: Header=BB94_17 Depth=1
	s_or_b64 exec, exec, s[70:71]
	s_andn2_b64 s[68:69], s[68:69], exec
	s_andn2_b64 s[66:67], s[66:67], exec
	s_or_b64 s[64:65], s[64:65], exec
.LBB94_1577:                            ;   in Loop: Header=BB94_17 Depth=1
	s_or_b64 exec, exec, s[56:57]
	s_and_b64 s[56:57], s[68:69], exec
	s_and_b64 s[66:67], s[66:67], exec
	s_and_b64 s[64:65], s[64:65], exec
                                        ; implicit-def: $vgpr14_vgpr15
.LBB94_1578:                            ;   in Loop: Header=BB94_17 Depth=1
	s_andn2_saveexec_b64 s[54:55], s[54:55]
	s_cbranch_execz .LBB94_1604
; %bb.1579:                             ;   in Loop: Header=BB94_17 Depth=1
	v_cmp_gt_i16_sdwa vcc, v7, v31 src0_sel:BYTE_0 src1_sel:DWORD
	s_mov_b64 s[70:71], s[64:65]
                                        ; implicit-def: $vgpr66
	s_and_saveexec_b64 s[68:69], vcc
	s_xor_b64 s[68:69], exec, s[68:69]
	s_cbranch_execz .LBB94_1593
; %bb.1580:                             ;   in Loop: Header=BB94_17 Depth=1
	v_cmp_gt_i16_sdwa vcc, v7, v32 src0_sel:BYTE_0 src1_sel:DWORD
                                        ; implicit-def: $vgpr66
	s_and_saveexec_b64 s[70:71], vcc
	s_xor_b64 s[70:71], exec, s[70:71]
	s_cbranch_execz .LBB94_1590
; %bb.1581:                             ;   in Loop: Header=BB94_17 Depth=1
	v_cmp_gt_i16_sdwa vcc, v7, v33 src0_sel:BYTE_0 src1_sel:DWORD
                                        ; implicit-def: $vgpr66
	s_and_saveexec_b64 s[72:73], vcc
	s_xor_b64 s[72:73], exec, s[72:73]
	s_cbranch_execz .LBB94_1587
; %bb.1582:                             ;   in Loop: Header=BB94_17 Depth=1
	flat_load_ubyte v14, v[14:15]
	s_movk_i32 vcc_lo, 0x7f
	s_mov_b64 s[74:75], 0
                                        ; implicit-def: $sgpr80
	s_waitcnt vmcnt(0) lgkmcnt(0)
	v_cmp_lt_i16_e32 vcc, vcc_lo, v14
	s_and_saveexec_b64 s[76:77], vcc
	s_xor_b64 s[76:77], exec, s[76:77]
	s_cbranch_execnz .LBB94_2569
; %bb.1583:                             ;   in Loop: Header=BB94_17 Depth=1
	s_or_saveexec_b64 s[76:77], s[76:77]
	v_mov_b32_e32 v66, s80
	s_xor_b64 exec, exec, s[76:77]
	s_cbranch_execnz .LBB94_2572
.LBB94_1584:                            ;   in Loop: Header=BB94_17 Depth=1
	s_or_b64 exec, exec, s[76:77]
	s_and_saveexec_b64 s[76:77], s[74:75]
	s_cbranch_execz .LBB94_1586
.LBB94_1585:                            ;   in Loop: Header=BB94_17 Depth=1
	v_lshlrev_b32_e32 v15, 24, v14
	v_and_b32_e32 v14, 0xffff, v14
	v_and_b32_e32 v65, 3, v14
	v_ffbh_u32_e32 v67, v65
	v_min_u32_e32 v67, 32, v67
	v_subrev_u32_e32 v68, 29, v67
	v_bfe_u32 v66, v14, 2, 5
	v_lshlrev_b32_e32 v14, v68, v14
	v_sub_u32_e32 v67, 30, v67
	v_and_b32_e32 v14, 3, v14
	v_cmp_eq_u32_e32 vcc, 0, v66
	v_cndmask_b32_e32 v66, v66, v67, vcc
	v_cndmask_b32_e32 v14, v65, v14, vcc
	v_lshlrev_b32_e32 v14, 21, v14
	v_and_b32_e32 v15, 0x80000000, v15
	v_lshl_add_u32 v65, v66, 23, v34
	v_or3_b32 v66, v15, v65, v14
.LBB94_1586:                            ;   in Loop: Header=BB94_17 Depth=1
	s_or_b64 exec, exec, s[76:77]
                                        ; implicit-def: $vgpr14_vgpr15
.LBB94_1587:                            ;   in Loop: Header=BB94_17 Depth=1
	s_andn2_saveexec_b64 s[72:73], s[72:73]
	s_cbranch_execz .LBB94_1589
; %bb.1588:                             ;   in Loop: Header=BB94_17 Depth=1
	flat_load_ubyte v14, v[14:15]
	s_mov_b32 vcc_lo, 0x7f800000
	s_waitcnt vmcnt(0) lgkmcnt(0)
	v_lshlrev_b32_e32 v14, 24, v14
	v_and_b32_e32 v15, 0x7f000000, v14
	v_ffbh_u32_e32 v65, v15
	v_min_u32_e32 v65, 32, v65
	v_sub_u32_e64 v65, v65, 4 clamp
	v_lshlrev_b32_e32 v67, v65, v15
	v_lshlrev_b32_e32 v65, 23, v65
	v_lshrrev_b32_e32 v67, 4, v67
	v_add_u32_e32 v66, 0x1000000, v15
	v_sub_u32_e32 v65, v67, v65
	v_ashrrev_i32_e32 v66, 8, v66
	v_add_u32_e32 v65, 0x3c000000, v65
	v_and_or_b32 v65, v66, vcc_lo, v65
	v_cmp_ne_u32_e32 vcc, 0, v15
	v_cndmask_b32_e32 v15, 0, v65, vcc
	s_brev_b32 vcc_lo, 1
	v_and_or_b32 v66, v14, vcc_lo, v15
.LBB94_1589:                            ;   in Loop: Header=BB94_17 Depth=1
	s_or_b64 exec, exec, s[72:73]
                                        ; implicit-def: $vgpr14_vgpr15
.LBB94_1590:                            ;   in Loop: Header=BB94_17 Depth=1
	s_andn2_saveexec_b64 s[70:71], s[70:71]
	s_cbranch_execz .LBB94_1592
; %bb.1591:                             ;   in Loop: Header=BB94_17 Depth=1
	flat_load_ubyte v14, v[14:15]
	s_movk_i32 vcc_lo, 0x7f00
	s_waitcnt vmcnt(0) lgkmcnt(0)
	v_lshlrev_b16_e32 v15, 8, v14
	v_lshlrev_b32_e32 v14, 25, v14
	v_lshrrev_b32_e32 v65, 4, v14
	v_and_or_b32 v66, v15, vcc_lo, 0.5
	v_or_b32_e32 v65, 0x70000000, v65
	s_brev_b32 vcc_lo, 16
	v_add_f32_e32 v66, -0.5, v66
	v_mul_f32_e32 v65, 0x7800000, v65
	v_cmp_gt_u32_e32 vcc, vcc_lo, v14
	v_cndmask_b32_e32 v14, v65, v66, vcc
	v_bfe_i32 v15, v15, 0, 16
	s_brev_b32 vcc_lo, 1
	v_and_or_b32 v66, v15, vcc_lo, v14
.LBB94_1592:                            ;   in Loop: Header=BB94_17 Depth=1
	s_or_b64 exec, exec, s[70:71]
	s_or_b64 s[70:71], s[64:65], exec
                                        ; implicit-def: $vgpr14_vgpr15
.LBB94_1593:                            ;   in Loop: Header=BB94_17 Depth=1
	s_or_saveexec_b64 s[68:69], s[68:69]
                                        ; implicit-def: $vcc
                                        ; implicit-def: $sgpr76_sgpr77
	s_xor_b64 exec, exec, s[68:69]
	s_cbranch_execz .LBB94_1603
; %bb.1594:                             ;   in Loop: Header=BB94_17 Depth=1
	v_cmp_gt_i16_sdwa vcc, v7, v35 src0_sel:BYTE_0 src1_sel:DWORD
	s_mov_b64 s[74:75], s[70:71]
                                        ; implicit-def: $sgpr76_sgpr77
                                        ; implicit-def: $sgpr72_sgpr73
                                        ; implicit-def: $vgpr66
	s_and_saveexec_b64 s[78:79], vcc
	s_xor_b64 vcc, exec, s[78:79]
	s_cbranch_execz .LBB94_1598
; %bb.1595:                             ;   in Loop: Header=BB94_17 Depth=1
	v_cmp_eq_u16_sdwa s[76:77], v7, v36 src0_sel:BYTE_0 src1_sel:DWORD
	s_mov_b64 s[74:75], s[70:71]
                                        ; implicit-def: $vgpr66
	s_and_saveexec_b64 s[72:73], s[76:77]
	s_cbranch_execz .LBB94_1597
; %bb.1596:                             ;   in Loop: Header=BB94_17 Depth=1
	flat_load_ushort v14, v[14:15]
	s_or_b64 s[74:75], s[70:71], exec
	s_waitcnt vmcnt(0) lgkmcnt(0)
	v_lshlrev_b32_e32 v66, 16, v14
.LBB94_1597:                            ;   in Loop: Header=BB94_17 Depth=1
	s_or_b64 exec, exec, s[72:73]
	s_andn2_b64 s[78:79], s[70:71], exec
	s_and_b64 s[74:75], s[74:75], exec
	s_mov_b64 s[72:73], -1
	s_mov_b64 s[76:77], 0
	s_or_b64 s[74:75], s[78:79], s[74:75]
                                        ; implicit-def: $vgpr14_vgpr15
.LBB94_1598:                            ;   in Loop: Header=BB94_17 Depth=1
	s_andn2_saveexec_b64 s[78:79], vcc
	s_cbranch_execz .LBB94_1602
; %bb.1599:                             ;   in Loop: Header=BB94_17 Depth=1
	v_cmp_eq_u16_sdwa s[82:83], v7, v37 src0_sel:BYTE_0 src1_sel:DWORD
	s_mov_b64 vcc, s[74:75]
                                        ; implicit-def: $vgpr66
	s_and_saveexec_b64 s[80:81], s[82:83]
	s_cbranch_execz .LBB94_1601
; %bb.1600:                             ;   in Loop: Header=BB94_17 Depth=1
	flat_load_ubyte v14, v[14:15]
	s_waitcnt vmcnt(0) lgkmcnt(0)
	v_cmp_ne_u16_e32 vcc, 0, v14
	v_cndmask_b32_e64 v66, 0, 1.0, vcc
	s_or_b64 vcc, s[74:75], exec
.LBB94_1601:                            ;   in Loop: Header=BB94_17 Depth=1
	s_or_b64 exec, exec, s[80:81]
	s_andn2_b64 s[74:75], s[74:75], exec
	s_and_b64 vcc, vcc, exec
	s_andn2_b64 s[76:77], s[76:77], exec
	s_or_b64 s[72:73], s[72:73], exec
	s_or_b64 s[74:75], s[74:75], vcc
.LBB94_1602:                            ;   in Loop: Header=BB94_17 Depth=1
	s_or_b64 exec, exec, s[78:79]
	s_and_b64 vcc, s[72:73], exec
	s_andn2_b64 s[70:71], s[70:71], exec
	s_and_b64 s[72:73], s[74:75], exec
	s_and_b64 s[76:77], s[76:77], exec
	s_or_b64 s[70:71], s[70:71], s[72:73]
.LBB94_1603:                            ;   in Loop: Header=BB94_17 Depth=1
	s_or_b64 exec, exec, s[68:69]
	s_andn2_b64 s[66:67], s[66:67], exec
	s_and_b64 vcc, vcc, exec
	s_andn2_b64 s[56:57], s[56:57], exec
	s_and_b64 s[68:69], s[76:77], exec
	s_or_b64 s[66:67], s[66:67], vcc
	s_andn2_b64 vcc, s[64:65], exec
	s_and_b64 s[64:65], s[70:71], exec
	s_or_b64 s[56:57], s[56:57], s[68:69]
	s_or_b64 s[64:65], vcc, s[64:65]
.LBB94_1604:                            ;   in Loop: Header=BB94_17 Depth=1
	s_or_b64 exec, exec, s[54:55]
	s_and_b64 s[56:57], s[56:57], exec
	s_and_b64 s[54:55], s[66:67], exec
	s_and_b64 vcc, s[64:65], exec
                                        ; implicit-def: $vgpr14_vgpr15
	s_andn2_saveexec_b64 s[62:63], s[62:63]
	s_cbranch_execz .LBB94_1429
.LBB94_1605:                            ;   in Loop: Header=BB94_17 Depth=1
	v_cmp_gt_i16_sdwa s[64:65], v7, v38 src0_sel:BYTE_0 src1_sel:DWORD
                                        ; implicit-def: $vgpr66
	s_and_saveexec_b64 s[66:67], s[64:65]
	s_xor_b64 s[64:65], exec, s[66:67]
	s_cbranch_execz .LBB94_1627
; %bb.1606:                             ;   in Loop: Header=BB94_17 Depth=1
	v_cmp_gt_i16_sdwa s[66:67], v7, v39 src0_sel:BYTE_0 src1_sel:DWORD
                                        ; implicit-def: $vgpr66
	s_and_saveexec_b64 s[68:69], s[66:67]
	s_xor_b64 s[66:67], exec, s[68:69]
	s_cbranch_execz .LBB94_1616
; %bb.1607:                             ;   in Loop: Header=BB94_17 Depth=1
	;; [unrolled: 6-line block ×4, first 2 shown]
	flat_load_dwordx2 v[14:15], v[14:15]
	s_waitcnt vmcnt(0) lgkmcnt(0)
	v_cvt_f32_f64_e32 v66, v[14:15]
                                        ; implicit-def: $vgpr14_vgpr15
.LBB94_1610:                            ;   in Loop: Header=BB94_17 Depth=1
	s_andn2_saveexec_b64 s[70:71], s[70:71]
	s_cbranch_execz .LBB94_1612
; %bb.1611:                             ;   in Loop: Header=BB94_17 Depth=1
	flat_load_dword v66, v[14:15]
.LBB94_1612:                            ;   in Loop: Header=BB94_17 Depth=1
	s_or_b64 exec, exec, s[70:71]
                                        ; implicit-def: $vgpr14_vgpr15
.LBB94_1613:                            ;   in Loop: Header=BB94_17 Depth=1
	s_andn2_saveexec_b64 s[68:69], s[68:69]
	s_cbranch_execz .LBB94_1615
; %bb.1614:                             ;   in Loop: Header=BB94_17 Depth=1
	flat_load_dword v14, v[14:15]
	s_waitcnt vmcnt(0) lgkmcnt(0)
	v_cvt_f32_f16_e32 v66, v14
.LBB94_1615:                            ;   in Loop: Header=BB94_17 Depth=1
	s_or_b64 exec, exec, s[68:69]
                                        ; implicit-def: $vgpr14_vgpr15
.LBB94_1616:                            ;   in Loop: Header=BB94_17 Depth=1
	s_andn2_saveexec_b64 s[66:67], s[66:67]
	s_cbranch_execz .LBB94_1626
; %bb.1617:                             ;   in Loop: Header=BB94_17 Depth=1
	v_cmp_gt_i16_sdwa s[68:69], v7, v50 src0_sel:BYTE_0 src1_sel:DWORD
                                        ; implicit-def: $vgpr66
	s_and_saveexec_b64 s[70:71], s[68:69]
	s_xor_b64 s[68:69], exec, s[70:71]
	s_cbranch_execz .LBB94_1623
; %bb.1618:                             ;   in Loop: Header=BB94_17 Depth=1
	v_cmp_gt_i16_sdwa s[70:71], v7, v51 src0_sel:BYTE_0 src1_sel:DWORD
                                        ; implicit-def: $vgpr66
	s_and_saveexec_b64 s[72:73], s[70:71]
	s_xor_b64 s[70:71], exec, s[72:73]
	s_cbranch_execz .LBB94_1620
; %bb.1619:                             ;   in Loop: Header=BB94_17 Depth=1
	flat_load_dwordx2 v[14:15], v[14:15]
	s_waitcnt vmcnt(0) lgkmcnt(0)
	v_cvt_f32_f64_e32 v66, v[14:15]
                                        ; implicit-def: $vgpr14_vgpr15
.LBB94_1620:                            ;   in Loop: Header=BB94_17 Depth=1
	s_andn2_saveexec_b64 s[70:71], s[70:71]
	s_cbranch_execz .LBB94_1622
; %bb.1621:                             ;   in Loop: Header=BB94_17 Depth=1
	s_waitcnt vmcnt(0) lgkmcnt(0)
	flat_load_dword v66, v[14:15]
.LBB94_1622:                            ;   in Loop: Header=BB94_17 Depth=1
	s_or_b64 exec, exec, s[70:71]
                                        ; implicit-def: $vgpr14_vgpr15
.LBB94_1623:                            ;   in Loop: Header=BB94_17 Depth=1
	s_andn2_saveexec_b64 s[68:69], s[68:69]
	s_cbranch_execz .LBB94_1625
; %bb.1624:                             ;   in Loop: Header=BB94_17 Depth=1
	flat_load_ushort v14, v[14:15]
	s_waitcnt vmcnt(0) lgkmcnt(0)
	v_cvt_f32_f16_e32 v66, v14
.LBB94_1625:                            ;   in Loop: Header=BB94_17 Depth=1
	s_or_b64 exec, exec, s[68:69]
.LBB94_1626:                            ;   in Loop: Header=BB94_17 Depth=1
	s_or_b64 exec, exec, s[66:67]
                                        ; implicit-def: $vgpr14_vgpr15
.LBB94_1627:                            ;   in Loop: Header=BB94_17 Depth=1
	s_andn2_saveexec_b64 s[64:65], s[64:65]
	s_cbranch_execz .LBB94_1645
; %bb.1628:                             ;   in Loop: Header=BB94_17 Depth=1
	v_cmp_gt_i16_sdwa s[66:67], v7, v52 src0_sel:BYTE_0 src1_sel:DWORD
                                        ; implicit-def: $vgpr66
	s_and_saveexec_b64 s[68:69], s[66:67]
	s_xor_b64 s[66:67], exec, s[68:69]
	s_cbranch_execz .LBB94_1638
; %bb.1629:                             ;   in Loop: Header=BB94_17 Depth=1
	v_cmp_gt_i16_sdwa s[68:69], v7, v53 src0_sel:BYTE_0 src1_sel:DWORD
                                        ; implicit-def: $vgpr66
	s_and_saveexec_b64 s[70:71], s[68:69]
	s_xor_b64 s[68:69], exec, s[70:71]
	;; [unrolled: 6-line block ×3, first 2 shown]
	s_cbranch_execz .LBB94_1632
; %bb.1631:                             ;   in Loop: Header=BB94_17 Depth=1
	flat_load_dwordx2 v[14:15], v[14:15]
	s_waitcnt vmcnt(0) lgkmcnt(0)
	v_xor_b32_e32 v66, v14, v15
	v_ffbh_i32_e32 v65, v15
	v_ashrrev_i32_e32 v66, 31, v66
	v_add_u32_e32 v65, -1, v65
	v_add_u32_e32 v66, 32, v66
	v_min_u32_e32 v65, v65, v66
	v_lshlrev_b64 v[14:15], v65, v[14:15]
	v_min_u32_e32 v14, 1, v14
	v_or_b32_e32 v14, v15, v14
	v_cvt_f32_i32_e32 v14, v14
	v_sub_u32_e32 v15, 32, v65
	v_ldexp_f32 v66, v14, v15
                                        ; implicit-def: $vgpr14_vgpr15
.LBB94_1632:                            ;   in Loop: Header=BB94_17 Depth=1
	s_andn2_saveexec_b64 s[70:71], s[70:71]
	s_cbranch_execz .LBB94_1634
; %bb.1633:                             ;   in Loop: Header=BB94_17 Depth=1
	flat_load_dword v14, v[14:15]
	s_waitcnt vmcnt(0) lgkmcnt(0)
	v_cvt_f32_i32_e32 v66, v14
.LBB94_1634:                            ;   in Loop: Header=BB94_17 Depth=1
	s_or_b64 exec, exec, s[70:71]
                                        ; implicit-def: $vgpr14_vgpr15
.LBB94_1635:                            ;   in Loop: Header=BB94_17 Depth=1
	s_andn2_saveexec_b64 s[68:69], s[68:69]
	s_cbranch_execz .LBB94_1637
; %bb.1636:                             ;   in Loop: Header=BB94_17 Depth=1
	flat_load_sshort v14, v[14:15]
	s_waitcnt vmcnt(0) lgkmcnt(0)
	v_cvt_f32_i32_e32 v66, v14
.LBB94_1637:                            ;   in Loop: Header=BB94_17 Depth=1
	s_or_b64 exec, exec, s[68:69]
                                        ; implicit-def: $vgpr14_vgpr15
.LBB94_1638:                            ;   in Loop: Header=BB94_17 Depth=1
	s_andn2_saveexec_b64 s[66:67], s[66:67]
	s_cbranch_execz .LBB94_1644
; %bb.1639:                             ;   in Loop: Header=BB94_17 Depth=1
	v_cmp_gt_i16_sdwa s[68:69], v7, v16 src0_sel:BYTE_0 src1_sel:DWORD
                                        ; implicit-def: $vgpr66
	s_and_saveexec_b64 s[70:71], s[68:69]
	s_xor_b64 s[68:69], exec, s[70:71]
	s_cbranch_execz .LBB94_1641
; %bb.1640:                             ;   in Loop: Header=BB94_17 Depth=1
	flat_load_sbyte v14, v[14:15]
	s_waitcnt vmcnt(0) lgkmcnt(0)
	v_cvt_f32_i32_e32 v66, v14
                                        ; implicit-def: $vgpr14_vgpr15
.LBB94_1641:                            ;   in Loop: Header=BB94_17 Depth=1
	s_andn2_saveexec_b64 s[68:69], s[68:69]
	s_cbranch_execz .LBB94_1643
; %bb.1642:                             ;   in Loop: Header=BB94_17 Depth=1
	flat_load_ubyte v14, v[14:15]
	s_waitcnt vmcnt(0) lgkmcnt(0)
	v_cvt_f32_ubyte0_e32 v66, v14
.LBB94_1643:                            ;   in Loop: Header=BB94_17 Depth=1
	s_or_b64 exec, exec, s[68:69]
.LBB94_1644:                            ;   in Loop: Header=BB94_17 Depth=1
	s_or_b64 exec, exec, s[66:67]
.LBB94_1645:                            ;   in Loop: Header=BB94_17 Depth=1
	s_or_b64 exec, exec, s[64:65]
	s_andn2_b64 s[56:57], s[56:57], exec
	s_andn2_b64 s[54:55], s[54:55], exec
	s_or_b64 vcc, vcc, exec
	s_or_b64 exec, exec, s[62:63]
	s_mov_b64 s[64:65], 0
	s_and_saveexec_b64 s[62:63], vcc
	s_cbranch_execz .LBB94_1651
.LBB94_1646:                            ;   in Loop: Header=BB94_17 Depth=1
	v_mul_lo_u32 v14, v64, v10
	v_readlane_b32 s64, v44, 0
	v_add_co_u32_e32 v14, vcc, v4, v14
	v_add_u32_e32 v65, s64, v17
	v_addc_co_u32_e32 v15, vcc, 0, v5, vcc
	v_cmp_gt_i16_sdwa s[64:65], v8, v18 src0_sel:BYTE_0 src1_sel:DWORD
	s_mov_b64 s[68:69], 0
	s_waitcnt vmcnt(0) lgkmcnt(0)
	buffer_store_dword v66, v65, s[0:3], 0 offen offset:60
                                        ; implicit-def: $vcc
                                        ; implicit-def: $sgpr66_sgpr67
                                        ; implicit-def: $vgpr64
	s_and_saveexec_b64 s[70:71], s[64:65]
	s_xor_b64 s[64:65], exec, s[70:71]
	s_cbranch_execnz .LBB94_1673
; %bb.1647:                             ;   in Loop: Header=BB94_17 Depth=1
	s_andn2_saveexec_b64 s[64:65], s[64:65]
	s_cbranch_execnz .LBB94_1732
.LBB94_1648:                            ;   in Loop: Header=BB94_17 Depth=1
	s_or_b64 exec, exec, s[64:65]
	s_mov_b64 s[64:65], 0
	s_and_saveexec_b64 s[70:71], s[68:69]
	s_cbranch_execz .LBB94_1650
.LBB94_1649:                            ;   in Loop: Header=BB94_17 Depth=1
	s_mov_b64 s[64:65], exec
	v_add_u32_e32 v55, 0x200, v55
	s_andn2_b64 s[66:67], s[66:67], exec
	s_andn2_b64 vcc, vcc, exec
	s_waitcnt vmcnt(0) lgkmcnt(0)
	buffer_store_dword v64, v65, s[0:3], 0 offen offset:56
.LBB94_1650:                            ;   in Loop: Header=BB94_17 Depth=1
	s_or_b64 exec, exec, s[70:71]
	s_andn2_b64 s[56:57], s[56:57], exec
	s_and_b64 s[66:67], s[66:67], exec
	s_andn2_b64 s[54:55], s[54:55], exec
	s_and_b64 vcc, vcc, exec
	s_or_b64 s[56:57], s[56:57], s[66:67]
	s_or_b64 s[54:55], s[54:55], vcc
	s_and_b64 s[64:65], s[64:65], exec
.LBB94_1651:                            ;   in Loop: Header=BB94_17 Depth=1
	s_or_b64 exec, exec, s[62:63]
	s_and_b64 s[56:57], s[56:57], exec
	s_and_b64 s[54:55], s[54:55], exec
	s_orn2_b64 s[62:63], s[64:65], exec
.LBB94_1652:                            ;   in Loop: Header=BB94_17 Depth=1
	s_or_b64 exec, exec, s[58:59]
	s_and_saveexec_b64 s[58:59], s[62:63]
	s_cbranch_execz .LBB94_9
; %bb.1653:                             ;   in Loop: Header=BB94_17 Depth=1
	v_cmp_lt_i32_e32 vcc, v55, v6
	s_mov_b64 s[66:67], -1
	s_mov_b64 s[68:69], -1
                                        ; implicit-def: $sgpr60_sgpr61
                                        ; implicit-def: $sgpr62_sgpr63
                                        ; kill: killed $sgpr62_sgpr63
	s_and_saveexec_b64 s[64:65], vcc
	s_cbranch_execz .LBB94_1879
; %bb.1654:                             ;   in Loop: Header=BB94_17 Depth=1
	v_readlane_b32 vcc_lo, v44, 1
	s_waitcnt vmcnt(0) lgkmcnt(0)
	v_add_u32_e32 v64, vcc_lo, v55
	v_mul_lo_u32 v14, v64, v9
	v_add_co_u32_e32 v14, vcc, v2, v14
	v_addc_co_u32_e32 v15, vcc, 0, v3, vcc
	v_cmp_gt_i16_sdwa s[68:69], v7, v18 src0_sel:BYTE_0 src1_sel:DWORD
	s_mov_b64 vcc, 0
                                        ; implicit-def: $sgpr60_sgpr61
                                        ; implicit-def: $sgpr62_sgpr63
                                        ; implicit-def: $vgpr66
	s_and_saveexec_b64 s[70:71], s[68:69]
	s_xor_b64 s[68:69], exec, s[70:71]
	s_cbranch_execnz .LBB94_1773
; %bb.1655:                             ;   in Loop: Header=BB94_17 Depth=1
	s_andn2_saveexec_b64 s[68:69], s[68:69]
	s_cbranch_execnz .LBB94_1832
.LBB94_1656:                            ;   in Loop: Header=BB94_17 Depth=1
	s_or_b64 exec, exec, s[68:69]
	s_mov_b64 s[70:71], 0
	s_and_saveexec_b64 s[68:69], vcc
	s_cbranch_execnz .LBB94_1873
	s_branch .LBB94_1878
.LBB94_1657:                            ;   in Loop: Header=BB94_17 Depth=1
	s_movk_i32 vcc_lo, 0x80
	v_cmp_eq_u16_e32 vcc, vcc_lo, v14
	s_mov_b64 s[50:51], -1
                                        ; implicit-def: $sgpr56
	s_and_saveexec_b64 s[54:55], vcc
; %bb.1658:                             ;   in Loop: Header=BB94_17 Depth=1
	s_mov_b32 s56, 0x7f800001
	s_xor_b64 s[50:51], exec, -1
; %bb.1659:                             ;   in Loop: Header=BB94_17 Depth=1
	s_or_b64 exec, exec, s[54:55]
	s_and_b64 s[50:51], s[50:51], exec
	s_or_saveexec_b64 s[52:53], s[52:53]
	v_mov_b32_e32 v64, s56
	s_xor_b64 exec, exec, s[52:53]
	s_cbranch_execz .LBB94_592
.LBB94_1660:                            ;   in Loop: Header=BB94_17 Depth=1
	v_cmp_ne_u16_e32 vcc, 0, v14
	s_andn2_b64 s[50:51], s[50:51], exec
	s_and_b64 vcc, vcc, exec
	v_mov_b32_e32 v64, 0
	s_or_b64 s[50:51], s[50:51], vcc
	s_or_b64 exec, exec, s[52:53]
	s_and_saveexec_b64 s[52:53], s[50:51]
	s_cbranch_execnz .LBB94_593
	s_branch .LBB94_594
.LBB94_1661:                            ;   in Loop: Header=BB94_17 Depth=1
	s_movk_i32 vcc_lo, 0x80
	v_cmp_eq_u16_e32 vcc, vcc_lo, v14
	s_mov_b64 s[50:51], -1
                                        ; implicit-def: $sgpr56
	s_and_saveexec_b64 s[54:55], vcc
; %bb.1662:                             ;   in Loop: Header=BB94_17 Depth=1
	s_mov_b32 s56, 0x7f800001
	s_xor_b64 s[50:51], exec, -1
; %bb.1663:                             ;   in Loop: Header=BB94_17 Depth=1
	s_or_b64 exec, exec, s[54:55]
	s_and_b64 s[50:51], s[50:51], exec
	s_or_saveexec_b64 s[52:53], s[52:53]
	v_mov_b32_e32 v66, s56
	s_xor_b64 exec, exec, s[52:53]
	s_cbranch_execz .LBB94_692
.LBB94_1664:                            ;   in Loop: Header=BB94_17 Depth=1
	v_cmp_ne_u16_e32 vcc, 0, v14
	s_andn2_b64 s[50:51], s[50:51], exec
	s_and_b64 vcc, vcc, exec
	v_mov_b32_e32 v66, 0
	s_or_b64 s[50:51], s[50:51], vcc
	s_or_b64 exec, exec, s[52:53]
	s_and_saveexec_b64 s[52:53], s[50:51]
	s_cbranch_execnz .LBB94_693
	s_branch .LBB94_694
.LBB94_1665:                            ;   in Loop: Header=BB94_17 Depth=1
	s_movk_i32 vcc_lo, 0x80
	v_cmp_eq_u16_e32 vcc, vcc_lo, v14
	s_mov_b64 s[54:55], -1
                                        ; implicit-def: $sgpr60
	s_and_saveexec_b64 s[58:59], vcc
; %bb.1666:                             ;   in Loop: Header=BB94_17 Depth=1
	s_mov_b32 s60, 0x7f800001
	s_xor_b64 s[54:55], exec, -1
; %bb.1667:                             ;   in Loop: Header=BB94_17 Depth=1
	s_or_b64 exec, exec, s[58:59]
	s_and_b64 s[54:55], s[54:55], exec
	s_or_saveexec_b64 s[56:57], s[56:57]
	v_mov_b32_e32 v64, s60
	s_xor_b64 exec, exec, s[56:57]
	s_cbranch_execz .LBB94_796
.LBB94_1668:                            ;   in Loop: Header=BB94_17 Depth=1
	v_cmp_ne_u16_e32 vcc, 0, v14
	s_andn2_b64 s[54:55], s[54:55], exec
	s_and_b64 vcc, vcc, exec
	v_mov_b32_e32 v64, 0
	s_or_b64 s[54:55], s[54:55], vcc
	s_or_b64 exec, exec, s[56:57]
	s_and_saveexec_b64 s[56:57], s[54:55]
	s_cbranch_execnz .LBB94_797
	s_branch .LBB94_798
.LBB94_1669:                            ;   in Loop: Header=BB94_17 Depth=1
	s_movk_i32 vcc_lo, 0x80
	v_cmp_eq_u16_e32 vcc, vcc_lo, v14
	s_mov_b64 s[54:55], -1
                                        ; implicit-def: $sgpr60
	s_and_saveexec_b64 s[58:59], vcc
; %bb.1670:                             ;   in Loop: Header=BB94_17 Depth=1
	s_mov_b32 s60, 0x7f800001
	s_xor_b64 s[54:55], exec, -1
; %bb.1671:                             ;   in Loop: Header=BB94_17 Depth=1
	s_or_b64 exec, exec, s[58:59]
	s_and_b64 s[54:55], s[54:55], exec
	s_or_saveexec_b64 s[56:57], s[56:57]
	v_mov_b32_e32 v66, s60
	s_xor_b64 exec, exec, s[56:57]
	s_cbranch_execz .LBB94_896
.LBB94_1672:                            ;   in Loop: Header=BB94_17 Depth=1
	v_cmp_ne_u16_e32 vcc, 0, v14
	s_andn2_b64 s[54:55], s[54:55], exec
	s_and_b64 vcc, vcc, exec
	v_mov_b32_e32 v66, 0
	s_or_b64 s[54:55], s[54:55], vcc
	s_or_b64 exec, exec, s[56:57]
	s_and_saveexec_b64 s[56:57], s[54:55]
	s_cbranch_execnz .LBB94_897
	s_branch .LBB94_898
.LBB94_1673:                            ;   in Loop: Header=BB94_17 Depth=1
	v_cmp_gt_i16_sdwa vcc, v8, v19 src0_sel:BYTE_0 src1_sel:DWORD
                                        ; implicit-def: $sgpr70_sgpr71
                                        ; implicit-def: $sgpr72_sgpr73
                                        ; implicit-def: $vgpr64
	s_and_saveexec_b64 s[66:67], vcc
	s_xor_b64 s[66:67], exec, s[66:67]
	s_cbranch_execz .LBB94_1705
; %bb.1674:                             ;   in Loop: Header=BB94_17 Depth=1
	v_cmp_gt_i16_sdwa vcc, v8, v20 src0_sel:BYTE_0 src1_sel:DWORD
                                        ; implicit-def: $sgpr70_sgpr71
                                        ; implicit-def: $sgpr74_sgpr75
                                        ; implicit-def: $vgpr64
	s_and_saveexec_b64 s[72:73], vcc
	s_xor_b64 s[72:73], exec, s[72:73]
	s_cbranch_execz .LBB94_1690
; %bb.1675:                             ;   in Loop: Header=BB94_17 Depth=1
	v_cmp_gt_i16_sdwa s[68:69], v8, v21 src0_sel:BYTE_0 src1_sel:DWORD
	s_mov_b64 s[76:77], 0
                                        ; implicit-def: $vcc
                                        ; implicit-def: $sgpr74_sgpr75
                                        ; implicit-def: $vgpr64
	s_and_saveexec_b64 s[70:71], s[68:69]
	s_xor_b64 s[68:69], exec, s[70:71]
	s_cbranch_execz .LBB94_1685
; %bb.1676:                             ;   in Loop: Header=BB94_17 Depth=1
	v_cmp_gt_i16_sdwa vcc, v8, v22 src0_sel:BYTE_0 src1_sel:DWORD
                                        ; implicit-def: $sgpr74_sgpr75
                                        ; implicit-def: $sgpr70_sgpr71
                                        ; implicit-def: $vgpr64
	s_and_saveexec_b64 s[78:79], vcc
	s_xor_b64 vcc, exec, s[78:79]
	s_cbranch_execz .LBB94_1680
; %bb.1677:                             ;   in Loop: Header=BB94_17 Depth=1
	v_cmp_eq_u16_sdwa s[78:79], v8, v23 src0_sel:BYTE_0 src1_sel:DWORD
	s_mov_b64 s[70:71], 0
                                        ; implicit-def: $vgpr64
	s_and_saveexec_b64 s[74:75], s[78:79]
	s_cbranch_execz .LBB94_1679
; %bb.1678:                             ;   in Loop: Header=BB94_17 Depth=1
	flat_load_dword v14, v[14:15]
	s_mov_b64 s[76:77], exec
	s_waitcnt vmcnt(0) lgkmcnt(0)
	v_lshlrev_b32_e32 v64, 16, v14
.LBB94_1679:                            ;   in Loop: Header=BB94_17 Depth=1
	s_or_b64 exec, exec, s[74:75]
	s_mov_b64 s[74:75], -1
	s_and_b64 s[76:77], s[76:77], exec
                                        ; implicit-def: $vgpr14_vgpr15
.LBB94_1680:                            ;   in Loop: Header=BB94_17 Depth=1
	s_andn2_saveexec_b64 s[78:79], vcc
	s_cbranch_execz .LBB94_1684
; %bb.1681:                             ;   in Loop: Header=BB94_17 Depth=1
	v_cmp_eq_u16_sdwa s[82:83], v8, v24 src0_sel:BYTE_0 src1_sel:DWORD
	s_mov_b64 vcc, s[76:77]
                                        ; implicit-def: $vgpr64
	s_and_saveexec_b64 s[80:81], s[82:83]
	s_cbranch_execz .LBB94_1683
; %bb.1682:                             ;   in Loop: Header=BB94_17 Depth=1
	flat_load_ubyte v14, v[14:15]
	s_movk_i32 vcc_lo, 0xff
	s_waitcnt vmcnt(0) lgkmcnt(0)
	v_lshlrev_b32_e32 v15, 23, v14
	v_cmp_ne_u32_e32 vcc, vcc_lo, v14
	v_cndmask_b32_e32 v15, v25, v15, vcc
	v_cmp_ne_u32_e32 vcc, 0, v14
	v_cndmask_b32_e32 v64, v26, v15, vcc
	s_or_b64 vcc, s[76:77], exec
.LBB94_1683:                            ;   in Loop: Header=BB94_17 Depth=1
	s_or_b64 exec, exec, s[80:81]
	s_andn2_b64 s[76:77], s[76:77], exec
	s_and_b64 vcc, vcc, exec
	s_or_b64 s[74:75], s[74:75], exec
	s_andn2_b64 s[70:71], s[70:71], exec
	s_or_b64 s[76:77], s[76:77], vcc
.LBB94_1684:                            ;   in Loop: Header=BB94_17 Depth=1
	s_or_b64 exec, exec, s[78:79]
	s_and_b64 s[74:75], s[74:75], exec
	s_and_b64 vcc, s[70:71], exec
	s_and_b64 s[76:77], s[76:77], exec
                                        ; implicit-def: $vgpr14_vgpr15
.LBB94_1685:                            ;   in Loop: Header=BB94_17 Depth=1
	s_andn2_saveexec_b64 s[68:69], s[68:69]
	s_cbranch_execz .LBB94_1689
; %bb.1686:                             ;   in Loop: Header=BB94_17 Depth=1
	v_cmp_eq_u16_sdwa s[80:81], v8, v27 src0_sel:BYTE_0 src1_sel:DWORD
	s_mov_b64 s[78:79], s[76:77]
                                        ; implicit-def: $vgpr64
	s_and_saveexec_b64 s[70:71], s[80:81]
	s_cbranch_execz .LBB94_1688
; %bb.1687:                             ;   in Loop: Header=BB94_17 Depth=1
	flat_load_dwordx2 v[14:15], v[14:15]
	s_or_b64 s[78:79], s[76:77], exec
	s_waitcnt vmcnt(0) lgkmcnt(0)
	v_ffbh_u32_e32 v64, v15
	v_min_u32_e32 v64, 32, v64
	v_lshlrev_b64 v[14:15], v64, v[14:15]
	v_min_u32_e32 v14, 1, v14
	v_or_b32_e32 v14, v15, v14
	v_cvt_f32_u32_e32 v14, v14
	v_sub_u32_e32 v15, 32, v64
	v_ldexp_f32 v64, v14, v15
.LBB94_1688:                            ;   in Loop: Header=BB94_17 Depth=1
	s_or_b64 exec, exec, s[70:71]
	s_andn2_b64 s[70:71], s[76:77], exec
	s_and_b64 s[76:77], s[78:79], exec
	s_or_b64 s[74:75], s[74:75], exec
	s_andn2_b64 vcc, vcc, exec
	s_or_b64 s[76:77], s[70:71], s[76:77]
.LBB94_1689:                            ;   in Loop: Header=BB94_17 Depth=1
	s_or_b64 exec, exec, s[68:69]
	s_and_b64 s[74:75], s[74:75], exec
	s_and_b64 s[70:71], vcc, exec
	s_and_b64 s[68:69], s[76:77], exec
                                        ; implicit-def: $vgpr14_vgpr15
.LBB94_1690:                            ;   in Loop: Header=BB94_17 Depth=1
	s_andn2_saveexec_b64 s[72:73], s[72:73]
	s_cbranch_execz .LBB94_1704
; %bb.1691:                             ;   in Loop: Header=BB94_17 Depth=1
	v_cmp_gt_i16_sdwa vcc, v8, v28 src0_sel:BYTE_0 src1_sel:DWORD
                                        ; implicit-def: $vgpr64
	s_and_saveexec_b64 s[76:77], vcc
	s_xor_b64 vcc, exec, s[76:77]
	s_cbranch_execz .LBB94_1697
; %bb.1692:                             ;   in Loop: Header=BB94_17 Depth=1
	v_cmp_gt_i16_sdwa s[76:77], v8, v29 src0_sel:BYTE_0 src1_sel:DWORD
                                        ; implicit-def: $vgpr64
	s_and_saveexec_b64 s[78:79], s[76:77]
	s_xor_b64 s[76:77], exec, s[78:79]
	s_cbranch_execz .LBB94_1694
; %bb.1693:                             ;   in Loop: Header=BB94_17 Depth=1
	flat_load_dword v14, v[14:15]
	s_waitcnt vmcnt(0) lgkmcnt(0)
	v_cvt_f32_u32_e32 v64, v14
                                        ; implicit-def: $vgpr14_vgpr15
.LBB94_1694:                            ;   in Loop: Header=BB94_17 Depth=1
	s_andn2_saveexec_b64 s[76:77], s[76:77]
	s_cbranch_execz .LBB94_1696
; %bb.1695:                             ;   in Loop: Header=BB94_17 Depth=1
	flat_load_ushort v14, v[14:15]
	s_waitcnt vmcnt(0) lgkmcnt(0)
	v_cvt_f32_u32_e32 v64, v14
.LBB94_1696:                            ;   in Loop: Header=BB94_17 Depth=1
	s_or_b64 exec, exec, s[76:77]
                                        ; implicit-def: $vgpr14_vgpr15
.LBB94_1697:                            ;   in Loop: Header=BB94_17 Depth=1
	s_andn2_saveexec_b64 s[76:77], vcc
	s_cbranch_execz .LBB94_1703
; %bb.1698:                             ;   in Loop: Header=BB94_17 Depth=1
	flat_load_ubyte v14, v[14:15]
	s_movk_i32 vcc_lo, 0x7f
	s_mov_b64 s[78:79], 0
                                        ; implicit-def: $sgpr84
	s_waitcnt vmcnt(0) lgkmcnt(0)
	v_cmp_lt_i16_e32 vcc, vcc_lo, v14
	s_and_saveexec_b64 s[80:81], vcc
	s_xor_b64 s[80:81], exec, s[80:81]
	s_cbranch_execnz .LBB94_2573
; %bb.1699:                             ;   in Loop: Header=BB94_17 Depth=1
	s_or_saveexec_b64 s[80:81], s[80:81]
	v_mov_b32_e32 v64, s84
	s_xor_b64 exec, exec, s[80:81]
	s_cbranch_execnz .LBB94_2576
.LBB94_1700:                            ;   in Loop: Header=BB94_17 Depth=1
	s_or_b64 exec, exec, s[80:81]
	s_and_saveexec_b64 s[80:81], s[78:79]
	s_cbranch_execz .LBB94_1702
.LBB94_1701:                            ;   in Loop: Header=BB94_17 Depth=1
	v_lshlrev_b32_e32 v15, 24, v14
	v_and_b32_e32 v14, 0xffff, v14
	v_and_b32_e32 v64, 7, v14
	v_ffbh_u32_e32 v67, v64
	v_min_u32_e32 v67, 32, v67
	v_subrev_u32_e32 v68, 28, v67
	v_bfe_u32 v66, v14, 3, 4
	v_lshlrev_b32_e32 v14, v68, v14
	v_sub_u32_e32 v67, 29, v67
	v_and_b32_e32 v14, 7, v14
	v_cmp_eq_u32_e32 vcc, 0, v66
	v_cndmask_b32_e32 v66, v66, v67, vcc
	v_cndmask_b32_e32 v14, v64, v14, vcc
	v_lshlrev_b32_e32 v14, 20, v14
	v_and_b32_e32 v15, 0x80000000, v15
	v_lshl_add_u32 v64, v66, 23, v30
	v_or3_b32 v64, v15, v64, v14
.LBB94_1702:                            ;   in Loop: Header=BB94_17 Depth=1
	s_or_b64 exec, exec, s[80:81]
.LBB94_1703:                            ;   in Loop: Header=BB94_17 Depth=1
	s_or_b64 exec, exec, s[76:77]
	s_andn2_b64 s[74:75], s[74:75], exec
	s_andn2_b64 s[70:71], s[70:71], exec
	s_or_b64 s[68:69], s[68:69], exec
.LBB94_1704:                            ;   in Loop: Header=BB94_17 Depth=1
	s_or_b64 exec, exec, s[72:73]
	s_and_b64 s[72:73], s[74:75], exec
	s_and_b64 s[70:71], s[70:71], exec
	;; [unrolled: 1-line block ×3, first 2 shown]
                                        ; implicit-def: $vgpr14_vgpr15
.LBB94_1705:                            ;   in Loop: Header=BB94_17 Depth=1
	s_andn2_saveexec_b64 s[66:67], s[66:67]
	s_cbranch_execz .LBB94_1731
; %bb.1706:                             ;   in Loop: Header=BB94_17 Depth=1
	v_cmp_gt_i16_sdwa vcc, v8, v31 src0_sel:BYTE_0 src1_sel:DWORD
	s_mov_b64 s[76:77], s[68:69]
                                        ; implicit-def: $vgpr64
	s_and_saveexec_b64 s[74:75], vcc
	s_xor_b64 s[74:75], exec, s[74:75]
	s_cbranch_execz .LBB94_1720
; %bb.1707:                             ;   in Loop: Header=BB94_17 Depth=1
	v_cmp_gt_i16_sdwa vcc, v8, v32 src0_sel:BYTE_0 src1_sel:DWORD
                                        ; implicit-def: $vgpr64
	s_and_saveexec_b64 s[76:77], vcc
	s_xor_b64 s[76:77], exec, s[76:77]
	s_cbranch_execz .LBB94_1717
; %bb.1708:                             ;   in Loop: Header=BB94_17 Depth=1
	v_cmp_gt_i16_sdwa vcc, v8, v33 src0_sel:BYTE_0 src1_sel:DWORD
                                        ; implicit-def: $vgpr64
	s_and_saveexec_b64 s[78:79], vcc
	s_xor_b64 s[78:79], exec, s[78:79]
	s_cbranch_execz .LBB94_1714
; %bb.1709:                             ;   in Loop: Header=BB94_17 Depth=1
	flat_load_ubyte v14, v[14:15]
	s_movk_i32 vcc_lo, 0x7f
	s_mov_b64 s[80:81], 0
                                        ; implicit-def: $sgpr86
	s_waitcnt vmcnt(0) lgkmcnt(0)
	v_cmp_lt_i16_e32 vcc, vcc_lo, v14
	s_and_saveexec_b64 s[82:83], vcc
	s_xor_b64 s[82:83], exec, s[82:83]
	s_cbranch_execnz .LBB94_2892
; %bb.1710:                             ;   in Loop: Header=BB94_17 Depth=1
	s_or_saveexec_b64 s[82:83], s[82:83]
	v_mov_b32_e32 v64, s86
	s_xor_b64 exec, exec, s[82:83]
	s_cbranch_execnz .LBB94_2895
.LBB94_1711:                            ;   in Loop: Header=BB94_17 Depth=1
	s_or_b64 exec, exec, s[82:83]
	s_and_saveexec_b64 s[82:83], s[80:81]
	s_cbranch_execz .LBB94_1713
.LBB94_1712:                            ;   in Loop: Header=BB94_17 Depth=1
	v_lshlrev_b32_e32 v15, 24, v14
	v_and_b32_e32 v14, 0xffff, v14
	v_and_b32_e32 v64, 3, v14
	v_ffbh_u32_e32 v67, v64
	v_min_u32_e32 v67, 32, v67
	v_subrev_u32_e32 v68, 29, v67
	v_bfe_u32 v66, v14, 2, 5
	v_lshlrev_b32_e32 v14, v68, v14
	v_sub_u32_e32 v67, 30, v67
	v_and_b32_e32 v14, 3, v14
	v_cmp_eq_u32_e32 vcc, 0, v66
	v_cndmask_b32_e32 v66, v66, v67, vcc
	v_cndmask_b32_e32 v14, v64, v14, vcc
	v_lshlrev_b32_e32 v14, 21, v14
	v_and_b32_e32 v15, 0x80000000, v15
	v_lshl_add_u32 v64, v66, 23, v34
	v_or3_b32 v64, v15, v64, v14
.LBB94_1713:                            ;   in Loop: Header=BB94_17 Depth=1
	s_or_b64 exec, exec, s[82:83]
                                        ; implicit-def: $vgpr14_vgpr15
.LBB94_1714:                            ;   in Loop: Header=BB94_17 Depth=1
	s_andn2_saveexec_b64 s[78:79], s[78:79]
	s_cbranch_execz .LBB94_1716
; %bb.1715:                             ;   in Loop: Header=BB94_17 Depth=1
	flat_load_ubyte v14, v[14:15]
	s_mov_b32 vcc_lo, 0x7f800000
	s_waitcnt vmcnt(0) lgkmcnt(0)
	v_lshlrev_b32_e32 v14, 24, v14
	v_and_b32_e32 v15, 0x7f000000, v14
	v_ffbh_u32_e32 v64, v15
	v_min_u32_e32 v64, 32, v64
	v_sub_u32_e64 v64, v64, 4 clamp
	v_lshlrev_b32_e32 v67, v64, v15
	v_lshlrev_b32_e32 v64, 23, v64
	v_lshrrev_b32_e32 v67, 4, v67
	v_add_u32_e32 v66, 0x1000000, v15
	v_sub_u32_e32 v64, v67, v64
	v_ashrrev_i32_e32 v66, 8, v66
	v_add_u32_e32 v64, 0x3c000000, v64
	v_and_or_b32 v64, v66, vcc_lo, v64
	v_cmp_ne_u32_e32 vcc, 0, v15
	v_cndmask_b32_e32 v15, 0, v64, vcc
	s_brev_b32 vcc_lo, 1
	v_and_or_b32 v64, v14, vcc_lo, v15
.LBB94_1716:                            ;   in Loop: Header=BB94_17 Depth=1
	s_or_b64 exec, exec, s[78:79]
                                        ; implicit-def: $vgpr14_vgpr15
.LBB94_1717:                            ;   in Loop: Header=BB94_17 Depth=1
	s_andn2_saveexec_b64 s[76:77], s[76:77]
	s_cbranch_execz .LBB94_1719
; %bb.1718:                             ;   in Loop: Header=BB94_17 Depth=1
	flat_load_ubyte v14, v[14:15]
	s_movk_i32 vcc_lo, 0x7f00
	s_waitcnt vmcnt(0) lgkmcnt(0)
	v_lshlrev_b16_e32 v15, 8, v14
	v_lshlrev_b32_e32 v14, 25, v14
	v_lshrrev_b32_e32 v64, 4, v14
	v_and_or_b32 v66, v15, vcc_lo, 0.5
	v_or_b32_e32 v64, 0x70000000, v64
	s_brev_b32 vcc_lo, 16
	v_add_f32_e32 v66, -0.5, v66
	v_mul_f32_e32 v64, 0x7800000, v64
	v_cmp_gt_u32_e32 vcc, vcc_lo, v14
	v_cndmask_b32_e32 v14, v64, v66, vcc
	v_bfe_i32 v15, v15, 0, 16
	s_brev_b32 vcc_lo, 1
	v_and_or_b32 v64, v15, vcc_lo, v14
.LBB94_1719:                            ;   in Loop: Header=BB94_17 Depth=1
	s_or_b64 exec, exec, s[76:77]
	s_or_b64 s[76:77], s[68:69], exec
                                        ; implicit-def: $vgpr14_vgpr15
.LBB94_1720:                            ;   in Loop: Header=BB94_17 Depth=1
	s_or_saveexec_b64 s[74:75], s[74:75]
                                        ; implicit-def: $vcc
                                        ; implicit-def: $sgpr82_sgpr83
	s_xor_b64 exec, exec, s[74:75]
	s_cbranch_execz .LBB94_1730
; %bb.1721:                             ;   in Loop: Header=BB94_17 Depth=1
	v_cmp_gt_i16_sdwa vcc, v8, v35 src0_sel:BYTE_0 src1_sel:DWORD
	s_mov_b64 s[80:81], s[76:77]
                                        ; implicit-def: $sgpr82_sgpr83
                                        ; implicit-def: $sgpr78_sgpr79
                                        ; implicit-def: $vgpr64
	s_and_saveexec_b64 s[84:85], vcc
	s_xor_b64 vcc, exec, s[84:85]
	s_cbranch_execz .LBB94_1725
; %bb.1722:                             ;   in Loop: Header=BB94_17 Depth=1
	v_cmp_eq_u16_sdwa s[82:83], v8, v36 src0_sel:BYTE_0 src1_sel:DWORD
	s_mov_b64 s[80:81], s[76:77]
                                        ; implicit-def: $vgpr64
	s_and_saveexec_b64 s[78:79], s[82:83]
	s_cbranch_execz .LBB94_1724
; %bb.1723:                             ;   in Loop: Header=BB94_17 Depth=1
	flat_load_ushort v14, v[14:15]
	s_or_b64 s[80:81], s[76:77], exec
	s_waitcnt vmcnt(0) lgkmcnt(0)
	v_lshlrev_b32_e32 v64, 16, v14
.LBB94_1724:                            ;   in Loop: Header=BB94_17 Depth=1
	s_or_b64 exec, exec, s[78:79]
	s_andn2_b64 s[84:85], s[76:77], exec
	s_and_b64 s[80:81], s[80:81], exec
	s_mov_b64 s[78:79], 0
	s_mov_b64 s[82:83], -1
	s_or_b64 s[80:81], s[84:85], s[80:81]
                                        ; implicit-def: $vgpr14_vgpr15
.LBB94_1725:                            ;   in Loop: Header=BB94_17 Depth=1
	s_andn2_saveexec_b64 s[84:85], vcc
	s_cbranch_execz .LBB94_1729
; %bb.1726:                             ;   in Loop: Header=BB94_17 Depth=1
	v_cmp_eq_u16_sdwa s[88:89], v8, v37 src0_sel:BYTE_0 src1_sel:DWORD
	s_mov_b64 vcc, s[80:81]
                                        ; implicit-def: $vgpr64
	s_and_saveexec_b64 s[86:87], s[88:89]
	s_cbranch_execz .LBB94_1728
; %bb.1727:                             ;   in Loop: Header=BB94_17 Depth=1
	flat_load_ubyte v14, v[14:15]
	s_waitcnt vmcnt(0) lgkmcnt(0)
	v_cmp_ne_u16_e32 vcc, 0, v14
	v_cndmask_b32_e64 v64, 0, 1.0, vcc
	s_or_b64 vcc, s[80:81], exec
.LBB94_1728:                            ;   in Loop: Header=BB94_17 Depth=1
	s_or_b64 exec, exec, s[86:87]
	s_andn2_b64 s[80:81], s[80:81], exec
	s_and_b64 vcc, vcc, exec
	s_or_b64 s[82:83], s[82:83], exec
	s_andn2_b64 s[78:79], s[78:79], exec
	s_or_b64 s[80:81], s[80:81], vcc
.LBB94_1729:                            ;   in Loop: Header=BB94_17 Depth=1
	s_or_b64 exec, exec, s[84:85]
	s_and_b64 vcc, s[78:79], exec
	s_andn2_b64 s[76:77], s[76:77], exec
	s_and_b64 s[78:79], s[80:81], exec
	s_and_b64 s[82:83], s[82:83], exec
	s_or_b64 s[76:77], s[76:77], s[78:79]
.LBB94_1730:                            ;   in Loop: Header=BB94_17 Depth=1
	s_or_b64 exec, exec, s[74:75]
	s_andn2_b64 s[70:71], s[70:71], exec
	s_and_b64 vcc, vcc, exec
	s_andn2_b64 s[72:73], s[72:73], exec
	s_and_b64 s[74:75], s[82:83], exec
	s_or_b64 s[70:71], s[70:71], vcc
	s_andn2_b64 vcc, s[68:69], exec
	s_and_b64 s[68:69], s[76:77], exec
	s_or_b64 s[72:73], s[72:73], s[74:75]
	s_or_b64 s[68:69], vcc, s[68:69]
.LBB94_1731:                            ;   in Loop: Header=BB94_17 Depth=1
	s_or_b64 exec, exec, s[66:67]
	s_and_b64 s[66:67], s[72:73], exec
	s_and_b64 vcc, s[70:71], exec
	s_and_b64 s[68:69], s[68:69], exec
                                        ; implicit-def: $vgpr14_vgpr15
	s_andn2_saveexec_b64 s[64:65], s[64:65]
	s_cbranch_execz .LBB94_1648
.LBB94_1732:                            ;   in Loop: Header=BB94_17 Depth=1
	v_cmp_gt_i16_sdwa s[70:71], v8, v38 src0_sel:BYTE_0 src1_sel:DWORD
                                        ; implicit-def: $vgpr64
	s_and_saveexec_b64 s[72:73], s[70:71]
	s_xor_b64 s[70:71], exec, s[72:73]
	s_cbranch_execz .LBB94_1754
; %bb.1733:                             ;   in Loop: Header=BB94_17 Depth=1
	v_cmp_gt_i16_sdwa s[72:73], v8, v39 src0_sel:BYTE_0 src1_sel:DWORD
                                        ; implicit-def: $vgpr64
	s_and_saveexec_b64 s[74:75], s[72:73]
	s_xor_b64 s[72:73], exec, s[74:75]
	s_cbranch_execz .LBB94_1743
; %bb.1734:                             ;   in Loop: Header=BB94_17 Depth=1
	;; [unrolled: 6-line block ×4, first 2 shown]
	flat_load_dwordx2 v[14:15], v[14:15]
	s_waitcnt vmcnt(0) lgkmcnt(0)
	v_cvt_f32_f64_e32 v64, v[14:15]
                                        ; implicit-def: $vgpr14_vgpr15
.LBB94_1737:                            ;   in Loop: Header=BB94_17 Depth=1
	s_andn2_saveexec_b64 s[76:77], s[76:77]
	s_cbranch_execz .LBB94_1739
; %bb.1738:                             ;   in Loop: Header=BB94_17 Depth=1
	flat_load_dword v64, v[14:15]
.LBB94_1739:                            ;   in Loop: Header=BB94_17 Depth=1
	s_or_b64 exec, exec, s[76:77]
                                        ; implicit-def: $vgpr14_vgpr15
.LBB94_1740:                            ;   in Loop: Header=BB94_17 Depth=1
	s_andn2_saveexec_b64 s[74:75], s[74:75]
	s_cbranch_execz .LBB94_1742
; %bb.1741:                             ;   in Loop: Header=BB94_17 Depth=1
	flat_load_dword v14, v[14:15]
	s_waitcnt vmcnt(0) lgkmcnt(0)
	v_cvt_f32_f16_e32 v64, v14
.LBB94_1742:                            ;   in Loop: Header=BB94_17 Depth=1
	s_or_b64 exec, exec, s[74:75]
                                        ; implicit-def: $vgpr14_vgpr15
.LBB94_1743:                            ;   in Loop: Header=BB94_17 Depth=1
	s_andn2_saveexec_b64 s[72:73], s[72:73]
	s_cbranch_execz .LBB94_1753
; %bb.1744:                             ;   in Loop: Header=BB94_17 Depth=1
	v_cmp_gt_i16_sdwa s[74:75], v8, v50 src0_sel:BYTE_0 src1_sel:DWORD
                                        ; implicit-def: $vgpr64
	s_and_saveexec_b64 s[76:77], s[74:75]
	s_xor_b64 s[74:75], exec, s[76:77]
	s_cbranch_execz .LBB94_1750
; %bb.1745:                             ;   in Loop: Header=BB94_17 Depth=1
	v_cmp_gt_i16_sdwa s[76:77], v8, v51 src0_sel:BYTE_0 src1_sel:DWORD
                                        ; implicit-def: $vgpr64
	s_and_saveexec_b64 s[78:79], s[76:77]
	s_xor_b64 s[76:77], exec, s[78:79]
	s_cbranch_execz .LBB94_1747
; %bb.1746:                             ;   in Loop: Header=BB94_17 Depth=1
	flat_load_dwordx2 v[14:15], v[14:15]
	s_waitcnt vmcnt(0) lgkmcnt(0)
	v_cvt_f32_f64_e32 v64, v[14:15]
                                        ; implicit-def: $vgpr14_vgpr15
.LBB94_1747:                            ;   in Loop: Header=BB94_17 Depth=1
	s_andn2_saveexec_b64 s[76:77], s[76:77]
	s_cbranch_execz .LBB94_1749
; %bb.1748:                             ;   in Loop: Header=BB94_17 Depth=1
	s_waitcnt vmcnt(0) lgkmcnt(0)
	flat_load_dword v64, v[14:15]
.LBB94_1749:                            ;   in Loop: Header=BB94_17 Depth=1
	s_or_b64 exec, exec, s[76:77]
                                        ; implicit-def: $vgpr14_vgpr15
.LBB94_1750:                            ;   in Loop: Header=BB94_17 Depth=1
	s_andn2_saveexec_b64 s[74:75], s[74:75]
	s_cbranch_execz .LBB94_1752
; %bb.1751:                             ;   in Loop: Header=BB94_17 Depth=1
	flat_load_ushort v14, v[14:15]
	s_waitcnt vmcnt(0) lgkmcnt(0)
	v_cvt_f32_f16_e32 v64, v14
.LBB94_1752:                            ;   in Loop: Header=BB94_17 Depth=1
	s_or_b64 exec, exec, s[74:75]
.LBB94_1753:                            ;   in Loop: Header=BB94_17 Depth=1
	s_or_b64 exec, exec, s[72:73]
                                        ; implicit-def: $vgpr14_vgpr15
.LBB94_1754:                            ;   in Loop: Header=BB94_17 Depth=1
	s_andn2_saveexec_b64 s[70:71], s[70:71]
	s_cbranch_execz .LBB94_1772
; %bb.1755:                             ;   in Loop: Header=BB94_17 Depth=1
	v_cmp_gt_i16_sdwa s[72:73], v8, v52 src0_sel:BYTE_0 src1_sel:DWORD
                                        ; implicit-def: $vgpr64
	s_and_saveexec_b64 s[74:75], s[72:73]
	s_xor_b64 s[72:73], exec, s[74:75]
	s_cbranch_execz .LBB94_1765
; %bb.1756:                             ;   in Loop: Header=BB94_17 Depth=1
	v_cmp_gt_i16_sdwa s[74:75], v8, v53 src0_sel:BYTE_0 src1_sel:DWORD
                                        ; implicit-def: $vgpr64
	s_and_saveexec_b64 s[76:77], s[74:75]
	s_xor_b64 s[74:75], exec, s[76:77]
	;; [unrolled: 6-line block ×3, first 2 shown]
	s_cbranch_execz .LBB94_1759
; %bb.1758:                             ;   in Loop: Header=BB94_17 Depth=1
	flat_load_dwordx2 v[14:15], v[14:15]
	s_waitcnt vmcnt(0) lgkmcnt(0)
	v_xor_b32_e32 v66, v14, v15
	v_ffbh_i32_e32 v64, v15
	v_ashrrev_i32_e32 v66, 31, v66
	v_add_u32_e32 v64, -1, v64
	v_add_u32_e32 v66, 32, v66
	v_min_u32_e32 v64, v64, v66
	v_lshlrev_b64 v[14:15], v64, v[14:15]
	v_min_u32_e32 v14, 1, v14
	v_or_b32_e32 v14, v15, v14
	v_cvt_f32_i32_e32 v14, v14
	v_sub_u32_e32 v15, 32, v64
	v_ldexp_f32 v64, v14, v15
                                        ; implicit-def: $vgpr14_vgpr15
.LBB94_1759:                            ;   in Loop: Header=BB94_17 Depth=1
	s_andn2_saveexec_b64 s[76:77], s[76:77]
	s_cbranch_execz .LBB94_1761
; %bb.1760:                             ;   in Loop: Header=BB94_17 Depth=1
	flat_load_dword v14, v[14:15]
	s_waitcnt vmcnt(0) lgkmcnt(0)
	v_cvt_f32_i32_e32 v64, v14
.LBB94_1761:                            ;   in Loop: Header=BB94_17 Depth=1
	s_or_b64 exec, exec, s[76:77]
                                        ; implicit-def: $vgpr14_vgpr15
.LBB94_1762:                            ;   in Loop: Header=BB94_17 Depth=1
	s_andn2_saveexec_b64 s[74:75], s[74:75]
	s_cbranch_execz .LBB94_1764
; %bb.1763:                             ;   in Loop: Header=BB94_17 Depth=1
	flat_load_sshort v14, v[14:15]
	s_waitcnt vmcnt(0) lgkmcnt(0)
	v_cvt_f32_i32_e32 v64, v14
.LBB94_1764:                            ;   in Loop: Header=BB94_17 Depth=1
	s_or_b64 exec, exec, s[74:75]
                                        ; implicit-def: $vgpr14_vgpr15
.LBB94_1765:                            ;   in Loop: Header=BB94_17 Depth=1
	s_andn2_saveexec_b64 s[72:73], s[72:73]
	s_cbranch_execz .LBB94_1771
; %bb.1766:                             ;   in Loop: Header=BB94_17 Depth=1
	v_cmp_gt_i16_sdwa s[74:75], v8, v16 src0_sel:BYTE_0 src1_sel:DWORD
                                        ; implicit-def: $vgpr64
	s_and_saveexec_b64 s[76:77], s[74:75]
	s_xor_b64 s[74:75], exec, s[76:77]
	s_cbranch_execz .LBB94_1768
; %bb.1767:                             ;   in Loop: Header=BB94_17 Depth=1
	flat_load_sbyte v14, v[14:15]
	s_waitcnt vmcnt(0) lgkmcnt(0)
	v_cvt_f32_i32_e32 v64, v14
                                        ; implicit-def: $vgpr14_vgpr15
.LBB94_1768:                            ;   in Loop: Header=BB94_17 Depth=1
	s_andn2_saveexec_b64 s[74:75], s[74:75]
	s_cbranch_execz .LBB94_1770
; %bb.1769:                             ;   in Loop: Header=BB94_17 Depth=1
	flat_load_ubyte v14, v[14:15]
	s_waitcnt vmcnt(0) lgkmcnt(0)
	v_cvt_f32_ubyte0_e32 v64, v14
.LBB94_1770:                            ;   in Loop: Header=BB94_17 Depth=1
	s_or_b64 exec, exec, s[74:75]
.LBB94_1771:                            ;   in Loop: Header=BB94_17 Depth=1
	s_or_b64 exec, exec, s[72:73]
.LBB94_1772:                            ;   in Loop: Header=BB94_17 Depth=1
	s_or_b64 exec, exec, s[70:71]
	s_andn2_b64 s[66:67], s[66:67], exec
	s_andn2_b64 vcc, vcc, exec
	s_or_b64 s[68:69], s[68:69], exec
	s_or_b64 exec, exec, s[64:65]
	s_mov_b64 s[64:65], 0
	s_and_saveexec_b64 s[70:71], s[68:69]
	s_cbranch_execnz .LBB94_1649
	s_branch .LBB94_1650
.LBB94_1773:                            ;   in Loop: Header=BB94_17 Depth=1
	v_cmp_gt_i16_sdwa vcc, v7, v19 src0_sel:BYTE_0 src1_sel:DWORD
	s_mov_b64 s[70:71], 0
                                        ; implicit-def: $sgpr72_sgpr73
                                        ; implicit-def: $sgpr62_sgpr63
                                        ; implicit-def: $vgpr66
	s_and_saveexec_b64 s[60:61], vcc
	s_xor_b64 s[60:61], exec, s[60:61]
	s_cbranch_execz .LBB94_1805
; %bb.1774:                             ;   in Loop: Header=BB94_17 Depth=1
	v_cmp_gt_i16_sdwa vcc, v7, v20 src0_sel:BYTE_0 src1_sel:DWORD
                                        ; implicit-def: $sgpr72_sgpr73
                                        ; implicit-def: $sgpr74_sgpr75
                                        ; implicit-def: $vgpr66
	s_and_saveexec_b64 s[62:63], vcc
	s_xor_b64 s[62:63], exec, s[62:63]
	s_cbranch_execz .LBB94_1790
; %bb.1775:                             ;   in Loop: Header=BB94_17 Depth=1
	v_cmp_gt_i16_sdwa s[70:71], v7, v21 src0_sel:BYTE_0 src1_sel:DWORD
	s_mov_b64 s[76:77], 0
                                        ; implicit-def: $vcc
                                        ; implicit-def: $sgpr72_sgpr73
                                        ; implicit-def: $vgpr66
	s_and_saveexec_b64 s[74:75], s[70:71]
	s_xor_b64 s[70:71], exec, s[74:75]
	s_cbranch_execz .LBB94_1785
; %bb.1776:                             ;   in Loop: Header=BB94_17 Depth=1
	v_cmp_gt_i16_sdwa vcc, v7, v22 src0_sel:BYTE_0 src1_sel:DWORD
	s_mov_b64 s[74:75], 0
                                        ; implicit-def: $sgpr72_sgpr73
                                        ; implicit-def: $sgpr76_sgpr77
                                        ; implicit-def: $vgpr66
	s_and_saveexec_b64 s[78:79], vcc
	s_xor_b64 vcc, exec, s[78:79]
	s_cbranch_execz .LBB94_1780
; %bb.1777:                             ;   in Loop: Header=BB94_17 Depth=1
	v_cmp_eq_u16_sdwa s[78:79], v7, v23 src0_sel:BYTE_0 src1_sel:DWORD
	s_mov_b64 s[72:73], 0
                                        ; implicit-def: $vgpr66
	s_and_saveexec_b64 s[76:77], s[78:79]
	s_cbranch_execz .LBB94_1779
; %bb.1778:                             ;   in Loop: Header=BB94_17 Depth=1
	flat_load_dword v14, v[14:15]
	s_mov_b64 s[74:75], exec
	s_waitcnt vmcnt(0) lgkmcnt(0)
	v_lshlrev_b32_e32 v66, 16, v14
.LBB94_1779:                            ;   in Loop: Header=BB94_17 Depth=1
	s_or_b64 exec, exec, s[76:77]
	s_mov_b64 s[76:77], -1
	s_and_b64 s[74:75], s[74:75], exec
                                        ; implicit-def: $vgpr14_vgpr15
.LBB94_1780:                            ;   in Loop: Header=BB94_17 Depth=1
	s_andn2_saveexec_b64 s[78:79], vcc
	s_cbranch_execz .LBB94_1784
; %bb.1781:                             ;   in Loop: Header=BB94_17 Depth=1
	v_cmp_eq_u16_sdwa s[82:83], v7, v24 src0_sel:BYTE_0 src1_sel:DWORD
	s_mov_b64 vcc, s[74:75]
                                        ; implicit-def: $vgpr66
	s_and_saveexec_b64 s[80:81], s[82:83]
	s_cbranch_execz .LBB94_1783
; %bb.1782:                             ;   in Loop: Header=BB94_17 Depth=1
	flat_load_ubyte v14, v[14:15]
	s_movk_i32 vcc_lo, 0xff
	s_waitcnt vmcnt(0) lgkmcnt(0)
	v_lshlrev_b32_e32 v15, 23, v14
	v_cmp_ne_u32_e32 vcc, vcc_lo, v14
	v_cndmask_b32_e32 v15, v25, v15, vcc
	v_cmp_ne_u32_e32 vcc, 0, v14
	v_cndmask_b32_e32 v66, v26, v15, vcc
	s_or_b64 vcc, s[74:75], exec
.LBB94_1783:                            ;   in Loop: Header=BB94_17 Depth=1
	s_or_b64 exec, exec, s[80:81]
	s_andn2_b64 s[74:75], s[74:75], exec
	s_and_b64 vcc, vcc, exec
	s_andn2_b64 s[72:73], s[72:73], exec
	s_or_b64 s[76:77], s[76:77], exec
	s_or_b64 s[74:75], s[74:75], vcc
.LBB94_1784:                            ;   in Loop: Header=BB94_17 Depth=1
	s_or_b64 exec, exec, s[78:79]
	s_and_b64 s[72:73], s[72:73], exec
	s_and_b64 vcc, s[76:77], exec
	s_and_b64 s[76:77], s[74:75], exec
                                        ; implicit-def: $vgpr14_vgpr15
.LBB94_1785:                            ;   in Loop: Header=BB94_17 Depth=1
	s_andn2_saveexec_b64 s[70:71], s[70:71]
	s_cbranch_execz .LBB94_1789
; %bb.1786:                             ;   in Loop: Header=BB94_17 Depth=1
	v_cmp_eq_u16_sdwa s[80:81], v7, v27 src0_sel:BYTE_0 src1_sel:DWORD
	s_mov_b64 s[78:79], s[76:77]
                                        ; implicit-def: $vgpr66
	s_and_saveexec_b64 s[74:75], s[80:81]
	s_cbranch_execz .LBB94_1788
; %bb.1787:                             ;   in Loop: Header=BB94_17 Depth=1
	flat_load_dwordx2 v[14:15], v[14:15]
	s_or_b64 s[78:79], s[76:77], exec
	s_waitcnt vmcnt(0) lgkmcnt(0)
	v_ffbh_u32_e32 v65, v15
	v_min_u32_e32 v65, 32, v65
	v_lshlrev_b64 v[14:15], v65, v[14:15]
	v_min_u32_e32 v14, 1, v14
	v_or_b32_e32 v14, v15, v14
	v_cvt_f32_u32_e32 v14, v14
	v_sub_u32_e32 v15, 32, v65
	v_ldexp_f32 v66, v14, v15
.LBB94_1788:                            ;   in Loop: Header=BB94_17 Depth=1
	s_or_b64 exec, exec, s[74:75]
	s_andn2_b64 s[74:75], s[76:77], exec
	s_and_b64 s[76:77], s[78:79], exec
	s_andn2_b64 s[72:73], s[72:73], exec
	s_or_b64 vcc, vcc, exec
	s_or_b64 s[76:77], s[74:75], s[76:77]
.LBB94_1789:                            ;   in Loop: Header=BB94_17 Depth=1
	s_or_b64 exec, exec, s[70:71]
	s_and_b64 s[74:75], s[72:73], exec
	s_and_b64 s[72:73], vcc, exec
	s_and_b64 s[70:71], s[76:77], exec
                                        ; implicit-def: $vgpr14_vgpr15
.LBB94_1790:                            ;   in Loop: Header=BB94_17 Depth=1
	s_andn2_saveexec_b64 s[62:63], s[62:63]
	s_cbranch_execz .LBB94_1804
; %bb.1791:                             ;   in Loop: Header=BB94_17 Depth=1
	v_cmp_gt_i16_sdwa vcc, v7, v28 src0_sel:BYTE_0 src1_sel:DWORD
                                        ; implicit-def: $vgpr66
	s_and_saveexec_b64 s[76:77], vcc
	s_xor_b64 vcc, exec, s[76:77]
	s_cbranch_execz .LBB94_1797
; %bb.1792:                             ;   in Loop: Header=BB94_17 Depth=1
	v_cmp_gt_i16_sdwa s[76:77], v7, v29 src0_sel:BYTE_0 src1_sel:DWORD
                                        ; implicit-def: $vgpr66
	s_and_saveexec_b64 s[78:79], s[76:77]
	s_xor_b64 s[76:77], exec, s[78:79]
	s_cbranch_execz .LBB94_1794
; %bb.1793:                             ;   in Loop: Header=BB94_17 Depth=1
	flat_load_dword v14, v[14:15]
	s_waitcnt vmcnt(0) lgkmcnt(0)
	v_cvt_f32_u32_e32 v66, v14
                                        ; implicit-def: $vgpr14_vgpr15
.LBB94_1794:                            ;   in Loop: Header=BB94_17 Depth=1
	s_andn2_saveexec_b64 s[76:77], s[76:77]
	s_cbranch_execz .LBB94_1796
; %bb.1795:                             ;   in Loop: Header=BB94_17 Depth=1
	flat_load_ushort v14, v[14:15]
	s_waitcnt vmcnt(0) lgkmcnt(0)
	v_cvt_f32_u32_e32 v66, v14
.LBB94_1796:                            ;   in Loop: Header=BB94_17 Depth=1
	s_or_b64 exec, exec, s[76:77]
                                        ; implicit-def: $vgpr14_vgpr15
.LBB94_1797:                            ;   in Loop: Header=BB94_17 Depth=1
	s_andn2_saveexec_b64 s[76:77], vcc
	s_cbranch_execz .LBB94_1803
; %bb.1798:                             ;   in Loop: Header=BB94_17 Depth=1
	flat_load_ubyte v14, v[14:15]
	s_movk_i32 vcc_lo, 0x7f
	s_mov_b64 s[78:79], 0
                                        ; implicit-def: $sgpr84
	s_waitcnt vmcnt(0) lgkmcnt(0)
	v_cmp_lt_i16_e32 vcc, vcc_lo, v14
	s_and_saveexec_b64 s[80:81], vcc
	s_xor_b64 s[80:81], exec, s[80:81]
	s_cbranch_execnz .LBB94_2577
; %bb.1799:                             ;   in Loop: Header=BB94_17 Depth=1
	s_or_saveexec_b64 s[80:81], s[80:81]
	v_mov_b32_e32 v66, s84
	s_xor_b64 exec, exec, s[80:81]
	s_cbranch_execnz .LBB94_2580
.LBB94_1800:                            ;   in Loop: Header=BB94_17 Depth=1
	s_or_b64 exec, exec, s[80:81]
	s_and_saveexec_b64 s[80:81], s[78:79]
	s_cbranch_execz .LBB94_1802
.LBB94_1801:                            ;   in Loop: Header=BB94_17 Depth=1
	v_lshlrev_b32_e32 v15, 24, v14
	v_and_b32_e32 v14, 0xffff, v14
	v_and_b32_e32 v65, 7, v14
	v_ffbh_u32_e32 v67, v65
	v_min_u32_e32 v67, 32, v67
	v_subrev_u32_e32 v68, 28, v67
	v_bfe_u32 v66, v14, 3, 4
	v_lshlrev_b32_e32 v14, v68, v14
	v_sub_u32_e32 v67, 29, v67
	v_and_b32_e32 v14, 7, v14
	v_cmp_eq_u32_e32 vcc, 0, v66
	v_cndmask_b32_e32 v66, v66, v67, vcc
	v_cndmask_b32_e32 v14, v65, v14, vcc
	v_lshlrev_b32_e32 v14, 20, v14
	v_and_b32_e32 v15, 0x80000000, v15
	v_lshl_add_u32 v65, v66, 23, v30
	v_or3_b32 v66, v15, v65, v14
.LBB94_1802:                            ;   in Loop: Header=BB94_17 Depth=1
	s_or_b64 exec, exec, s[80:81]
.LBB94_1803:                            ;   in Loop: Header=BB94_17 Depth=1
	s_or_b64 exec, exec, s[76:77]
	s_andn2_b64 s[74:75], s[74:75], exec
	s_andn2_b64 s[72:73], s[72:73], exec
	s_or_b64 s[70:71], s[70:71], exec
.LBB94_1804:                            ;   in Loop: Header=BB94_17 Depth=1
	s_or_b64 exec, exec, s[62:63]
	s_and_b64 s[62:63], s[74:75], exec
	s_and_b64 s[72:73], s[72:73], exec
	;; [unrolled: 1-line block ×3, first 2 shown]
                                        ; implicit-def: $vgpr14_vgpr15
.LBB94_1805:                            ;   in Loop: Header=BB94_17 Depth=1
	s_andn2_saveexec_b64 s[60:61], s[60:61]
	s_cbranch_execz .LBB94_1831
; %bb.1806:                             ;   in Loop: Header=BB94_17 Depth=1
	v_cmp_gt_i16_sdwa vcc, v7, v31 src0_sel:BYTE_0 src1_sel:DWORD
	s_mov_b64 s[76:77], s[70:71]
                                        ; implicit-def: $vgpr66
	s_and_saveexec_b64 s[74:75], vcc
	s_xor_b64 s[74:75], exec, s[74:75]
	s_cbranch_execz .LBB94_1820
; %bb.1807:                             ;   in Loop: Header=BB94_17 Depth=1
	v_cmp_gt_i16_sdwa vcc, v7, v32 src0_sel:BYTE_0 src1_sel:DWORD
                                        ; implicit-def: $vgpr66
	s_and_saveexec_b64 s[76:77], vcc
	s_xor_b64 s[76:77], exec, s[76:77]
	s_cbranch_execz .LBB94_1817
; %bb.1808:                             ;   in Loop: Header=BB94_17 Depth=1
	v_cmp_gt_i16_sdwa vcc, v7, v33 src0_sel:BYTE_0 src1_sel:DWORD
                                        ; implicit-def: $vgpr66
	s_and_saveexec_b64 s[78:79], vcc
	s_xor_b64 s[78:79], exec, s[78:79]
	s_cbranch_execz .LBB94_1814
; %bb.1809:                             ;   in Loop: Header=BB94_17 Depth=1
	flat_load_ubyte v14, v[14:15]
	s_movk_i32 vcc_lo, 0x7f
	s_mov_b64 s[80:81], 0
                                        ; implicit-def: $sgpr86
	s_waitcnt vmcnt(0) lgkmcnt(0)
	v_cmp_lt_i16_e32 vcc, vcc_lo, v14
	s_and_saveexec_b64 s[82:83], vcc
	s_xor_b64 s[82:83], exec, s[82:83]
	s_cbranch_execnz .LBB94_2896
; %bb.1810:                             ;   in Loop: Header=BB94_17 Depth=1
	s_or_saveexec_b64 s[82:83], s[82:83]
	v_mov_b32_e32 v66, s86
	s_xor_b64 exec, exec, s[82:83]
	s_cbranch_execnz .LBB94_2899
.LBB94_1811:                            ;   in Loop: Header=BB94_17 Depth=1
	s_or_b64 exec, exec, s[82:83]
	s_and_saveexec_b64 s[82:83], s[80:81]
	s_cbranch_execz .LBB94_1813
.LBB94_1812:                            ;   in Loop: Header=BB94_17 Depth=1
	v_lshlrev_b32_e32 v15, 24, v14
	v_and_b32_e32 v14, 0xffff, v14
	v_and_b32_e32 v65, 3, v14
	v_ffbh_u32_e32 v67, v65
	v_min_u32_e32 v67, 32, v67
	v_subrev_u32_e32 v68, 29, v67
	v_bfe_u32 v66, v14, 2, 5
	v_lshlrev_b32_e32 v14, v68, v14
	v_sub_u32_e32 v67, 30, v67
	v_and_b32_e32 v14, 3, v14
	v_cmp_eq_u32_e32 vcc, 0, v66
	v_cndmask_b32_e32 v66, v66, v67, vcc
	v_cndmask_b32_e32 v14, v65, v14, vcc
	v_lshlrev_b32_e32 v14, 21, v14
	v_and_b32_e32 v15, 0x80000000, v15
	v_lshl_add_u32 v65, v66, 23, v34
	v_or3_b32 v66, v15, v65, v14
.LBB94_1813:                            ;   in Loop: Header=BB94_17 Depth=1
	s_or_b64 exec, exec, s[82:83]
                                        ; implicit-def: $vgpr14_vgpr15
.LBB94_1814:                            ;   in Loop: Header=BB94_17 Depth=1
	s_andn2_saveexec_b64 s[78:79], s[78:79]
	s_cbranch_execz .LBB94_1816
; %bb.1815:                             ;   in Loop: Header=BB94_17 Depth=1
	flat_load_ubyte v14, v[14:15]
	s_mov_b32 vcc_lo, 0x7f800000
	s_waitcnt vmcnt(0) lgkmcnt(0)
	v_lshlrev_b32_e32 v14, 24, v14
	v_and_b32_e32 v15, 0x7f000000, v14
	v_ffbh_u32_e32 v65, v15
	v_min_u32_e32 v65, 32, v65
	v_sub_u32_e64 v65, v65, 4 clamp
	v_lshlrev_b32_e32 v67, v65, v15
	v_lshlrev_b32_e32 v65, 23, v65
	v_lshrrev_b32_e32 v67, 4, v67
	v_add_u32_e32 v66, 0x1000000, v15
	v_sub_u32_e32 v65, v67, v65
	v_ashrrev_i32_e32 v66, 8, v66
	v_add_u32_e32 v65, 0x3c000000, v65
	v_and_or_b32 v65, v66, vcc_lo, v65
	v_cmp_ne_u32_e32 vcc, 0, v15
	v_cndmask_b32_e32 v15, 0, v65, vcc
	s_brev_b32 vcc_lo, 1
	v_and_or_b32 v66, v14, vcc_lo, v15
.LBB94_1816:                            ;   in Loop: Header=BB94_17 Depth=1
	s_or_b64 exec, exec, s[78:79]
                                        ; implicit-def: $vgpr14_vgpr15
.LBB94_1817:                            ;   in Loop: Header=BB94_17 Depth=1
	s_andn2_saveexec_b64 s[76:77], s[76:77]
	s_cbranch_execz .LBB94_1819
; %bb.1818:                             ;   in Loop: Header=BB94_17 Depth=1
	flat_load_ubyte v14, v[14:15]
	s_movk_i32 vcc_lo, 0x7f00
	s_waitcnt vmcnt(0) lgkmcnt(0)
	v_lshlrev_b16_e32 v15, 8, v14
	v_lshlrev_b32_e32 v14, 25, v14
	v_lshrrev_b32_e32 v65, 4, v14
	v_and_or_b32 v66, v15, vcc_lo, 0.5
	v_or_b32_e32 v65, 0x70000000, v65
	s_brev_b32 vcc_lo, 16
	v_add_f32_e32 v66, -0.5, v66
	v_mul_f32_e32 v65, 0x7800000, v65
	v_cmp_gt_u32_e32 vcc, vcc_lo, v14
	v_cndmask_b32_e32 v14, v65, v66, vcc
	v_bfe_i32 v15, v15, 0, 16
	s_brev_b32 vcc_lo, 1
	v_and_or_b32 v66, v15, vcc_lo, v14
.LBB94_1819:                            ;   in Loop: Header=BB94_17 Depth=1
	s_or_b64 exec, exec, s[76:77]
	s_or_b64 s[76:77], s[70:71], exec
                                        ; implicit-def: $vgpr14_vgpr15
.LBB94_1820:                            ;   in Loop: Header=BB94_17 Depth=1
	s_or_saveexec_b64 s[74:75], s[74:75]
                                        ; implicit-def: $vcc
                                        ; implicit-def: $sgpr82_sgpr83
	s_xor_b64 exec, exec, s[74:75]
	s_cbranch_execz .LBB94_1830
; %bb.1821:                             ;   in Loop: Header=BB94_17 Depth=1
	v_cmp_gt_i16_sdwa vcc, v7, v35 src0_sel:BYTE_0 src1_sel:DWORD
	s_mov_b64 s[80:81], s[76:77]
                                        ; implicit-def: $sgpr82_sgpr83
                                        ; implicit-def: $sgpr78_sgpr79
                                        ; implicit-def: $vgpr66
	s_and_saveexec_b64 s[84:85], vcc
	s_xor_b64 vcc, exec, s[84:85]
	s_cbranch_execz .LBB94_1825
; %bb.1822:                             ;   in Loop: Header=BB94_17 Depth=1
	v_cmp_eq_u16_sdwa s[82:83], v7, v36 src0_sel:BYTE_0 src1_sel:DWORD
	s_mov_b64 s[80:81], s[76:77]
                                        ; implicit-def: $vgpr66
	s_and_saveexec_b64 s[78:79], s[82:83]
	s_cbranch_execz .LBB94_1824
; %bb.1823:                             ;   in Loop: Header=BB94_17 Depth=1
	flat_load_ushort v14, v[14:15]
	s_or_b64 s[80:81], s[76:77], exec
	s_waitcnt vmcnt(0) lgkmcnt(0)
	v_lshlrev_b32_e32 v66, 16, v14
.LBB94_1824:                            ;   in Loop: Header=BB94_17 Depth=1
	s_or_b64 exec, exec, s[78:79]
	s_andn2_b64 s[84:85], s[76:77], exec
	s_and_b64 s[80:81], s[80:81], exec
	s_mov_b64 s[78:79], -1
	s_mov_b64 s[82:83], 0
	s_or_b64 s[80:81], s[84:85], s[80:81]
                                        ; implicit-def: $vgpr14_vgpr15
.LBB94_1825:                            ;   in Loop: Header=BB94_17 Depth=1
	s_andn2_saveexec_b64 s[84:85], vcc
	s_cbranch_execz .LBB94_1829
; %bb.1826:                             ;   in Loop: Header=BB94_17 Depth=1
	v_cmp_eq_u16_sdwa s[88:89], v7, v37 src0_sel:BYTE_0 src1_sel:DWORD
	s_mov_b64 vcc, s[80:81]
                                        ; implicit-def: $vgpr66
	s_and_saveexec_b64 s[86:87], s[88:89]
	s_cbranch_execz .LBB94_1828
; %bb.1827:                             ;   in Loop: Header=BB94_17 Depth=1
	flat_load_ubyte v14, v[14:15]
	s_waitcnt vmcnt(0) lgkmcnt(0)
	v_cmp_ne_u16_e32 vcc, 0, v14
	v_cndmask_b32_e64 v66, 0, 1.0, vcc
	s_or_b64 vcc, s[80:81], exec
.LBB94_1828:                            ;   in Loop: Header=BB94_17 Depth=1
	s_or_b64 exec, exec, s[86:87]
	s_andn2_b64 s[80:81], s[80:81], exec
	s_and_b64 vcc, vcc, exec
	s_andn2_b64 s[82:83], s[82:83], exec
	s_or_b64 s[78:79], s[78:79], exec
	s_or_b64 s[80:81], s[80:81], vcc
.LBB94_1829:                            ;   in Loop: Header=BB94_17 Depth=1
	s_or_b64 exec, exec, s[84:85]
	s_and_b64 vcc, s[78:79], exec
	s_andn2_b64 s[76:77], s[76:77], exec
	s_and_b64 s[78:79], s[80:81], exec
	s_and_b64 s[82:83], s[82:83], exec
	s_or_b64 s[76:77], s[76:77], s[78:79]
.LBB94_1830:                            ;   in Loop: Header=BB94_17 Depth=1
	s_or_b64 exec, exec, s[74:75]
	s_andn2_b64 s[72:73], s[72:73], exec
	s_and_b64 vcc, vcc, exec
	s_andn2_b64 s[62:63], s[62:63], exec
	s_and_b64 s[74:75], s[82:83], exec
	s_or_b64 s[72:73], s[72:73], vcc
	s_andn2_b64 vcc, s[70:71], exec
	s_and_b64 s[70:71], s[76:77], exec
	s_or_b64 s[62:63], s[62:63], s[74:75]
	s_or_b64 s[70:71], vcc, s[70:71]
.LBB94_1831:                            ;   in Loop: Header=BB94_17 Depth=1
	s_or_b64 exec, exec, s[60:61]
	s_and_b64 s[62:63], s[62:63], exec
	s_and_b64 s[60:61], s[72:73], exec
	s_and_b64 vcc, s[70:71], exec
                                        ; implicit-def: $vgpr14_vgpr15
	s_andn2_saveexec_b64 s[68:69], s[68:69]
	s_cbranch_execz .LBB94_1656
.LBB94_1832:                            ;   in Loop: Header=BB94_17 Depth=1
	v_cmp_gt_i16_sdwa s[70:71], v7, v38 src0_sel:BYTE_0 src1_sel:DWORD
                                        ; implicit-def: $vgpr66
	s_and_saveexec_b64 s[72:73], s[70:71]
	s_xor_b64 s[70:71], exec, s[72:73]
	s_cbranch_execz .LBB94_1854
; %bb.1833:                             ;   in Loop: Header=BB94_17 Depth=1
	v_cmp_gt_i16_sdwa s[72:73], v7, v39 src0_sel:BYTE_0 src1_sel:DWORD
                                        ; implicit-def: $vgpr66
	s_and_saveexec_b64 s[74:75], s[72:73]
	s_xor_b64 s[72:73], exec, s[74:75]
	s_cbranch_execz .LBB94_1843
; %bb.1834:                             ;   in Loop: Header=BB94_17 Depth=1
	;; [unrolled: 6-line block ×4, first 2 shown]
	flat_load_dwordx2 v[14:15], v[14:15]
	s_waitcnt vmcnt(0) lgkmcnt(0)
	v_cvt_f32_f64_e32 v66, v[14:15]
                                        ; implicit-def: $vgpr14_vgpr15
.LBB94_1837:                            ;   in Loop: Header=BB94_17 Depth=1
	s_andn2_saveexec_b64 s[76:77], s[76:77]
	s_cbranch_execz .LBB94_1839
; %bb.1838:                             ;   in Loop: Header=BB94_17 Depth=1
	flat_load_dword v66, v[14:15]
.LBB94_1839:                            ;   in Loop: Header=BB94_17 Depth=1
	s_or_b64 exec, exec, s[76:77]
                                        ; implicit-def: $vgpr14_vgpr15
.LBB94_1840:                            ;   in Loop: Header=BB94_17 Depth=1
	s_andn2_saveexec_b64 s[74:75], s[74:75]
	s_cbranch_execz .LBB94_1842
; %bb.1841:                             ;   in Loop: Header=BB94_17 Depth=1
	flat_load_dword v14, v[14:15]
	s_waitcnt vmcnt(0) lgkmcnt(0)
	v_cvt_f32_f16_e32 v66, v14
.LBB94_1842:                            ;   in Loop: Header=BB94_17 Depth=1
	s_or_b64 exec, exec, s[74:75]
                                        ; implicit-def: $vgpr14_vgpr15
.LBB94_1843:                            ;   in Loop: Header=BB94_17 Depth=1
	s_andn2_saveexec_b64 s[72:73], s[72:73]
	s_cbranch_execz .LBB94_1853
; %bb.1844:                             ;   in Loop: Header=BB94_17 Depth=1
	v_cmp_gt_i16_sdwa s[74:75], v7, v50 src0_sel:BYTE_0 src1_sel:DWORD
                                        ; implicit-def: $vgpr66
	s_and_saveexec_b64 s[76:77], s[74:75]
	s_xor_b64 s[74:75], exec, s[76:77]
	s_cbranch_execz .LBB94_1850
; %bb.1845:                             ;   in Loop: Header=BB94_17 Depth=1
	v_cmp_gt_i16_sdwa s[76:77], v7, v51 src0_sel:BYTE_0 src1_sel:DWORD
                                        ; implicit-def: $vgpr66
	s_and_saveexec_b64 s[78:79], s[76:77]
	s_xor_b64 s[76:77], exec, s[78:79]
	s_cbranch_execz .LBB94_1847
; %bb.1846:                             ;   in Loop: Header=BB94_17 Depth=1
	flat_load_dwordx2 v[14:15], v[14:15]
	s_waitcnt vmcnt(0) lgkmcnt(0)
	v_cvt_f32_f64_e32 v66, v[14:15]
                                        ; implicit-def: $vgpr14_vgpr15
.LBB94_1847:                            ;   in Loop: Header=BB94_17 Depth=1
	s_andn2_saveexec_b64 s[76:77], s[76:77]
	s_cbranch_execz .LBB94_1849
; %bb.1848:                             ;   in Loop: Header=BB94_17 Depth=1
	s_waitcnt vmcnt(0) lgkmcnt(0)
	flat_load_dword v66, v[14:15]
.LBB94_1849:                            ;   in Loop: Header=BB94_17 Depth=1
	s_or_b64 exec, exec, s[76:77]
                                        ; implicit-def: $vgpr14_vgpr15
.LBB94_1850:                            ;   in Loop: Header=BB94_17 Depth=1
	s_andn2_saveexec_b64 s[74:75], s[74:75]
	s_cbranch_execz .LBB94_1852
; %bb.1851:                             ;   in Loop: Header=BB94_17 Depth=1
	flat_load_ushort v14, v[14:15]
	s_waitcnt vmcnt(0) lgkmcnt(0)
	v_cvt_f32_f16_e32 v66, v14
.LBB94_1852:                            ;   in Loop: Header=BB94_17 Depth=1
	s_or_b64 exec, exec, s[74:75]
.LBB94_1853:                            ;   in Loop: Header=BB94_17 Depth=1
	s_or_b64 exec, exec, s[72:73]
                                        ; implicit-def: $vgpr14_vgpr15
.LBB94_1854:                            ;   in Loop: Header=BB94_17 Depth=1
	s_andn2_saveexec_b64 s[70:71], s[70:71]
	s_cbranch_execz .LBB94_1872
; %bb.1855:                             ;   in Loop: Header=BB94_17 Depth=1
	v_cmp_gt_i16_sdwa s[72:73], v7, v52 src0_sel:BYTE_0 src1_sel:DWORD
                                        ; implicit-def: $vgpr66
	s_and_saveexec_b64 s[74:75], s[72:73]
	s_xor_b64 s[72:73], exec, s[74:75]
	s_cbranch_execz .LBB94_1865
; %bb.1856:                             ;   in Loop: Header=BB94_17 Depth=1
	v_cmp_gt_i16_sdwa s[74:75], v7, v53 src0_sel:BYTE_0 src1_sel:DWORD
                                        ; implicit-def: $vgpr66
	s_and_saveexec_b64 s[76:77], s[74:75]
	s_xor_b64 s[74:75], exec, s[76:77]
	;; [unrolled: 6-line block ×3, first 2 shown]
	s_cbranch_execz .LBB94_1859
; %bb.1858:                             ;   in Loop: Header=BB94_17 Depth=1
	flat_load_dwordx2 v[14:15], v[14:15]
	s_waitcnt vmcnt(0) lgkmcnt(0)
	v_xor_b32_e32 v66, v14, v15
	v_ffbh_i32_e32 v65, v15
	v_ashrrev_i32_e32 v66, 31, v66
	v_add_u32_e32 v65, -1, v65
	v_add_u32_e32 v66, 32, v66
	v_min_u32_e32 v65, v65, v66
	v_lshlrev_b64 v[14:15], v65, v[14:15]
	v_min_u32_e32 v14, 1, v14
	v_or_b32_e32 v14, v15, v14
	v_cvt_f32_i32_e32 v14, v14
	v_sub_u32_e32 v15, 32, v65
	v_ldexp_f32 v66, v14, v15
                                        ; implicit-def: $vgpr14_vgpr15
.LBB94_1859:                            ;   in Loop: Header=BB94_17 Depth=1
	s_andn2_saveexec_b64 s[76:77], s[76:77]
	s_cbranch_execz .LBB94_1861
; %bb.1860:                             ;   in Loop: Header=BB94_17 Depth=1
	flat_load_dword v14, v[14:15]
	s_waitcnt vmcnt(0) lgkmcnt(0)
	v_cvt_f32_i32_e32 v66, v14
.LBB94_1861:                            ;   in Loop: Header=BB94_17 Depth=1
	s_or_b64 exec, exec, s[76:77]
                                        ; implicit-def: $vgpr14_vgpr15
.LBB94_1862:                            ;   in Loop: Header=BB94_17 Depth=1
	s_andn2_saveexec_b64 s[74:75], s[74:75]
	s_cbranch_execz .LBB94_1864
; %bb.1863:                             ;   in Loop: Header=BB94_17 Depth=1
	flat_load_sshort v14, v[14:15]
	s_waitcnt vmcnt(0) lgkmcnt(0)
	v_cvt_f32_i32_e32 v66, v14
.LBB94_1864:                            ;   in Loop: Header=BB94_17 Depth=1
	s_or_b64 exec, exec, s[74:75]
                                        ; implicit-def: $vgpr14_vgpr15
.LBB94_1865:                            ;   in Loop: Header=BB94_17 Depth=1
	s_andn2_saveexec_b64 s[72:73], s[72:73]
	s_cbranch_execz .LBB94_1871
; %bb.1866:                             ;   in Loop: Header=BB94_17 Depth=1
	v_cmp_gt_i16_sdwa s[74:75], v7, v16 src0_sel:BYTE_0 src1_sel:DWORD
                                        ; implicit-def: $vgpr66
	s_and_saveexec_b64 s[76:77], s[74:75]
	s_xor_b64 s[74:75], exec, s[76:77]
	s_cbranch_execz .LBB94_1868
; %bb.1867:                             ;   in Loop: Header=BB94_17 Depth=1
	flat_load_sbyte v14, v[14:15]
	s_waitcnt vmcnt(0) lgkmcnt(0)
	v_cvt_f32_i32_e32 v66, v14
                                        ; implicit-def: $vgpr14_vgpr15
.LBB94_1868:                            ;   in Loop: Header=BB94_17 Depth=1
	s_andn2_saveexec_b64 s[74:75], s[74:75]
	s_cbranch_execz .LBB94_1870
; %bb.1869:                             ;   in Loop: Header=BB94_17 Depth=1
	flat_load_ubyte v14, v[14:15]
	s_waitcnt vmcnt(0) lgkmcnt(0)
	v_cvt_f32_ubyte0_e32 v66, v14
.LBB94_1870:                            ;   in Loop: Header=BB94_17 Depth=1
	s_or_b64 exec, exec, s[74:75]
.LBB94_1871:                            ;   in Loop: Header=BB94_17 Depth=1
	s_or_b64 exec, exec, s[72:73]
.LBB94_1872:                            ;   in Loop: Header=BB94_17 Depth=1
	s_or_b64 exec, exec, s[70:71]
	s_andn2_b64 s[62:63], s[62:63], exec
	s_andn2_b64 s[60:61], s[60:61], exec
	s_or_b64 vcc, vcc, exec
	s_or_b64 exec, exec, s[68:69]
	s_mov_b64 s[70:71], 0
	s_and_saveexec_b64 s[68:69], vcc
	s_cbranch_execz .LBB94_1878
.LBB94_1873:                            ;   in Loop: Header=BB94_17 Depth=1
	v_mul_lo_u32 v14, v64, v10
	v_readlane_b32 s70, v44, 0
	v_add_co_u32_e32 v14, vcc, v4, v14
	v_add_u32_e32 v65, s70, v17
	v_addc_co_u32_e32 v15, vcc, 0, v5, vcc
	v_cmp_gt_i16_sdwa s[70:71], v8, v18 src0_sel:BYTE_0 src1_sel:DWORD
	s_mov_b64 s[74:75], 0
	s_waitcnt vmcnt(0) lgkmcnt(0)
	buffer_store_dword v66, v65, s[0:3], 0 offen offset:68
                                        ; implicit-def: $vcc
                                        ; implicit-def: $sgpr72_sgpr73
                                        ; implicit-def: $vgpr64
	s_and_saveexec_b64 s[76:77], s[70:71]
	s_xor_b64 s[70:71], exec, s[76:77]
	s_cbranch_execnz .LBB94_1900
; %bb.1874:                             ;   in Loop: Header=BB94_17 Depth=1
	s_andn2_saveexec_b64 s[70:71], s[70:71]
	s_cbranch_execnz .LBB94_1959
.LBB94_1875:                            ;   in Loop: Header=BB94_17 Depth=1
	s_or_b64 exec, exec, s[70:71]
	s_mov_b64 s[70:71], 0
	s_and_saveexec_b64 s[76:77], s[74:75]
	s_cbranch_execz .LBB94_1877
.LBB94_1876:                            ;   in Loop: Header=BB94_17 Depth=1
	s_mov_b64 s[70:71], exec
	v_add_u32_e32 v55, 0x200, v55
	s_andn2_b64 s[72:73], s[72:73], exec
	s_andn2_b64 vcc, vcc, exec
	s_waitcnt vmcnt(0) lgkmcnt(0)
	buffer_store_dword v64, v65, s[0:3], 0 offen offset:64
.LBB94_1877:                            ;   in Loop: Header=BB94_17 Depth=1
	s_or_b64 exec, exec, s[76:77]
	s_andn2_b64 s[62:63], s[62:63], exec
	s_and_b64 s[72:73], s[72:73], exec
	s_andn2_b64 s[60:61], s[60:61], exec
	s_and_b64 vcc, vcc, exec
	s_or_b64 s[62:63], s[62:63], s[72:73]
	s_or_b64 s[60:61], s[60:61], vcc
	s_and_b64 s[70:71], s[70:71], exec
.LBB94_1878:                            ;   in Loop: Header=BB94_17 Depth=1
	s_or_b64 exec, exec, s[68:69]
	s_and_b64 vcc, s[62:63], exec
	v_writelane_b32 v44, vcc_lo, 2
	v_writelane_b32 v44, vcc_hi, 3
	s_and_b64 s[60:61], s[60:61], exec
	s_orn2_b64 s[68:69], s[70:71], exec
.LBB94_1879:                            ;   in Loop: Header=BB94_17 Depth=1
	s_or_b64 exec, exec, s[64:65]
	s_and_saveexec_b64 s[64:65], s[68:69]
	s_cbranch_execz .LBB94_8
; %bb.1880:                             ;   in Loop: Header=BB94_17 Depth=1
	v_writelane_b32 v44, s60, 4
	v_cmp_lt_i32_e32 vcc, v55, v6
	s_mov_b64 s[72:73], -1
	v_writelane_b32 v44, s61, 5
                                        ; implicit-def: $sgpr62_sgpr63
                                        ; implicit-def: $sgpr60_sgpr61
                                        ; kill: killed $sgpr60_sgpr61
	s_and_saveexec_b64 s[70:71], vcc
	s_cbranch_execz .LBB94_2106
; %bb.1881:                             ;   in Loop: Header=BB94_17 Depth=1
	v_readlane_b32 vcc_lo, v44, 1
	s_waitcnt vmcnt(0) lgkmcnt(0)
	v_add_u32_e32 v64, vcc_lo, v55
	v_mul_lo_u32 v14, v64, v9
	v_add_co_u32_e32 v14, vcc, v2, v14
	v_addc_co_u32_e32 v15, vcc, 0, v3, vcc
	v_cmp_gt_i16_sdwa s[60:61], v7, v18 src0_sel:BYTE_0 src1_sel:DWORD
	s_mov_b64 vcc, 0
                                        ; implicit-def: $sgpr66_sgpr67
                                        ; implicit-def: $sgpr68_sgpr69
                                        ; implicit-def: $vgpr66
	s_and_saveexec_b64 s[74:75], s[60:61]
	s_xor_b64 s[74:75], exec, s[74:75]
	s_cbranch_execnz .LBB94_2000
; %bb.1882:                             ;   in Loop: Header=BB94_17 Depth=1
	s_andn2_saveexec_b64 s[74:75], s[74:75]
	s_cbranch_execnz .LBB94_2059
.LBB94_1883:                            ;   in Loop: Header=BB94_17 Depth=1
	s_or_b64 exec, exec, s[74:75]
	s_mov_b64 s[76:77], 0
	s_and_saveexec_b64 s[74:75], vcc
	s_cbranch_execnz .LBB94_2100
	s_branch .LBB94_2105
.LBB94_1884:                            ;   in Loop: Header=BB94_17 Depth=1
	s_movk_i32 vcc_lo, 0x80
	v_cmp_eq_u16_e32 vcc, vcc_lo, v14
	s_mov_b64 s[56:57], -1
                                        ; implicit-def: $sgpr62
	s_and_saveexec_b64 s[60:61], vcc
; %bb.1885:                             ;   in Loop: Header=BB94_17 Depth=1
	s_mov_b32 s62, 0x7f800001
	s_xor_b64 s[56:57], exec, -1
; %bb.1886:                             ;   in Loop: Header=BB94_17 Depth=1
	s_or_b64 exec, exec, s[60:61]
	s_and_b64 s[56:57], s[56:57], exec
	s_or_saveexec_b64 s[58:59], s[58:59]
	v_mov_b32_e32 v64, s62
	s_xor_b64 exec, exec, s[58:59]
	s_cbranch_execz .LBB94_807
.LBB94_1887:                            ;   in Loop: Header=BB94_17 Depth=1
	v_cmp_ne_u16_e32 vcc, 0, v14
	s_andn2_b64 s[56:57], s[56:57], exec
	s_and_b64 vcc, vcc, exec
	v_mov_b32_e32 v64, 0
	s_or_b64 s[56:57], s[56:57], vcc
	s_or_b64 exec, exec, s[58:59]
	s_and_saveexec_b64 s[58:59], s[56:57]
	s_cbranch_execnz .LBB94_808
	s_branch .LBB94_809
.LBB94_1888:                            ;   in Loop: Header=BB94_17 Depth=1
	s_movk_i32 vcc_lo, 0x80
	v_cmp_eq_u16_e32 vcc, vcc_lo, v14
	s_mov_b64 s[56:57], -1
                                        ; implicit-def: $sgpr62
	s_and_saveexec_b64 s[60:61], vcc
; %bb.1889:                             ;   in Loop: Header=BB94_17 Depth=1
	s_mov_b32 s62, 0x7f800001
	s_xor_b64 s[56:57], exec, -1
; %bb.1890:                             ;   in Loop: Header=BB94_17 Depth=1
	s_or_b64 exec, exec, s[60:61]
	s_and_b64 s[56:57], s[56:57], exec
	s_or_saveexec_b64 s[58:59], s[58:59]
	v_mov_b32_e32 v66, s62
	s_xor_b64 exec, exec, s[58:59]
	s_cbranch_execz .LBB94_907
.LBB94_1891:                            ;   in Loop: Header=BB94_17 Depth=1
	v_cmp_ne_u16_e32 vcc, 0, v14
	s_andn2_b64 s[56:57], s[56:57], exec
	s_and_b64 vcc, vcc, exec
	v_mov_b32_e32 v66, 0
	s_or_b64 s[56:57], s[56:57], vcc
	s_or_b64 exec, exec, s[58:59]
	s_and_saveexec_b64 s[58:59], s[56:57]
	s_cbranch_execnz .LBB94_908
	s_branch .LBB94_909
.LBB94_1892:                            ;   in Loop: Header=BB94_17 Depth=1
	s_movk_i32 vcc_lo, 0x80
	v_cmp_eq_u16_e32 vcc, vcc_lo, v14
	s_mov_b64 s[60:61], -1
                                        ; implicit-def: $sgpr66
	s_and_saveexec_b64 s[64:65], vcc
; %bb.1893:                             ;   in Loop: Header=BB94_17 Depth=1
	s_mov_b32 s66, 0x7f800001
	s_xor_b64 s[60:61], exec, -1
; %bb.1894:                             ;   in Loop: Header=BB94_17 Depth=1
	s_or_b64 exec, exec, s[64:65]
	s_and_b64 s[60:61], s[60:61], exec
	s_or_saveexec_b64 s[62:63], s[62:63]
	v_mov_b32_e32 v64, s66
	s_xor_b64 exec, exec, s[62:63]
	s_cbranch_execz .LBB94_1019
.LBB94_1895:                            ;   in Loop: Header=BB94_17 Depth=1
	v_cmp_ne_u16_e32 vcc, 0, v14
	s_andn2_b64 s[60:61], s[60:61], exec
	s_and_b64 vcc, vcc, exec
	v_mov_b32_e32 v64, 0
	s_or_b64 s[60:61], s[60:61], vcc
	s_or_b64 exec, exec, s[62:63]
	s_and_saveexec_b64 s[62:63], s[60:61]
	s_cbranch_execnz .LBB94_1020
	s_branch .LBB94_1021
.LBB94_1896:                            ;   in Loop: Header=BB94_17 Depth=1
	s_movk_i32 vcc_lo, 0x80
	v_cmp_eq_u16_e32 vcc, vcc_lo, v14
	s_mov_b64 s[60:61], -1
                                        ; implicit-def: $sgpr66
	s_and_saveexec_b64 s[64:65], vcc
; %bb.1897:                             ;   in Loop: Header=BB94_17 Depth=1
	s_mov_b32 s66, 0x7f800001
	s_xor_b64 s[60:61], exec, -1
; %bb.1898:                             ;   in Loop: Header=BB94_17 Depth=1
	s_or_b64 exec, exec, s[64:65]
	s_and_b64 s[60:61], s[60:61], exec
	s_or_saveexec_b64 s[62:63], s[62:63]
	v_mov_b32_e32 v66, s66
	s_xor_b64 exec, exec, s[62:63]
	s_cbranch_execz .LBB94_1119
.LBB94_1899:                            ;   in Loop: Header=BB94_17 Depth=1
	v_cmp_ne_u16_e32 vcc, 0, v14
	s_andn2_b64 s[60:61], s[60:61], exec
	s_and_b64 vcc, vcc, exec
	v_mov_b32_e32 v66, 0
	s_or_b64 s[60:61], s[60:61], vcc
	s_or_b64 exec, exec, s[62:63]
	s_and_saveexec_b64 s[62:63], s[60:61]
	s_cbranch_execnz .LBB94_1120
	s_branch .LBB94_1121
.LBB94_1900:                            ;   in Loop: Header=BB94_17 Depth=1
	v_cmp_gt_i16_sdwa vcc, v8, v19 src0_sel:BYTE_0 src1_sel:DWORD
                                        ; implicit-def: $sgpr76_sgpr77
                                        ; implicit-def: $sgpr78_sgpr79
                                        ; implicit-def: $vgpr64
	s_and_saveexec_b64 s[72:73], vcc
	s_xor_b64 s[72:73], exec, s[72:73]
	s_cbranch_execz .LBB94_1932
; %bb.1901:                             ;   in Loop: Header=BB94_17 Depth=1
	v_cmp_gt_i16_sdwa vcc, v8, v20 src0_sel:BYTE_0 src1_sel:DWORD
                                        ; implicit-def: $sgpr76_sgpr77
                                        ; implicit-def: $sgpr80_sgpr81
                                        ; implicit-def: $vgpr64
	s_and_saveexec_b64 s[78:79], vcc
	s_xor_b64 s[78:79], exec, s[78:79]
	s_cbranch_execz .LBB94_1917
; %bb.1902:                             ;   in Loop: Header=BB94_17 Depth=1
	v_cmp_gt_i16_sdwa s[74:75], v8, v21 src0_sel:BYTE_0 src1_sel:DWORD
	s_mov_b64 s[82:83], 0
                                        ; implicit-def: $vcc
                                        ; implicit-def: $sgpr80_sgpr81
                                        ; implicit-def: $vgpr64
	s_and_saveexec_b64 s[76:77], s[74:75]
	s_xor_b64 s[74:75], exec, s[76:77]
	s_cbranch_execz .LBB94_1912
; %bb.1903:                             ;   in Loop: Header=BB94_17 Depth=1
	v_cmp_gt_i16_sdwa vcc, v8, v22 src0_sel:BYTE_0 src1_sel:DWORD
                                        ; implicit-def: $sgpr80_sgpr81
                                        ; implicit-def: $sgpr76_sgpr77
                                        ; implicit-def: $vgpr64
	s_and_saveexec_b64 s[84:85], vcc
	s_xor_b64 vcc, exec, s[84:85]
	s_cbranch_execz .LBB94_1907
; %bb.1904:                             ;   in Loop: Header=BB94_17 Depth=1
	v_cmp_eq_u16_sdwa s[84:85], v8, v23 src0_sel:BYTE_0 src1_sel:DWORD
	s_mov_b64 s[76:77], 0
                                        ; implicit-def: $vgpr64
	s_and_saveexec_b64 s[80:81], s[84:85]
	s_cbranch_execz .LBB94_1906
; %bb.1905:                             ;   in Loop: Header=BB94_17 Depth=1
	flat_load_dword v14, v[14:15]
	s_mov_b64 s[82:83], exec
	s_waitcnt vmcnt(0) lgkmcnt(0)
	v_lshlrev_b32_e32 v64, 16, v14
.LBB94_1906:                            ;   in Loop: Header=BB94_17 Depth=1
	s_or_b64 exec, exec, s[80:81]
	s_mov_b64 s[80:81], -1
	s_and_b64 s[82:83], s[82:83], exec
                                        ; implicit-def: $vgpr14_vgpr15
.LBB94_1907:                            ;   in Loop: Header=BB94_17 Depth=1
	s_andn2_saveexec_b64 s[84:85], vcc
	s_cbranch_execz .LBB94_1911
; %bb.1908:                             ;   in Loop: Header=BB94_17 Depth=1
	v_cmp_eq_u16_sdwa s[88:89], v8, v24 src0_sel:BYTE_0 src1_sel:DWORD
	s_mov_b64 vcc, s[82:83]
                                        ; implicit-def: $vgpr64
	s_and_saveexec_b64 s[86:87], s[88:89]
	s_cbranch_execz .LBB94_1910
; %bb.1909:                             ;   in Loop: Header=BB94_17 Depth=1
	flat_load_ubyte v14, v[14:15]
	s_movk_i32 vcc_lo, 0xff
	s_waitcnt vmcnt(0) lgkmcnt(0)
	v_lshlrev_b32_e32 v15, 23, v14
	v_cmp_ne_u32_e32 vcc, vcc_lo, v14
	v_cndmask_b32_e32 v15, v25, v15, vcc
	v_cmp_ne_u32_e32 vcc, 0, v14
	v_cndmask_b32_e32 v64, v26, v15, vcc
	s_or_b64 vcc, s[82:83], exec
.LBB94_1910:                            ;   in Loop: Header=BB94_17 Depth=1
	s_or_b64 exec, exec, s[86:87]
	s_andn2_b64 s[82:83], s[82:83], exec
	s_and_b64 vcc, vcc, exec
	s_or_b64 s[80:81], s[80:81], exec
	s_andn2_b64 s[76:77], s[76:77], exec
	s_or_b64 s[82:83], s[82:83], vcc
.LBB94_1911:                            ;   in Loop: Header=BB94_17 Depth=1
	s_or_b64 exec, exec, s[84:85]
	s_and_b64 s[80:81], s[80:81], exec
	s_and_b64 vcc, s[76:77], exec
	s_and_b64 s[82:83], s[82:83], exec
                                        ; implicit-def: $vgpr14_vgpr15
.LBB94_1912:                            ;   in Loop: Header=BB94_17 Depth=1
	s_andn2_saveexec_b64 s[74:75], s[74:75]
	s_cbranch_execz .LBB94_1916
; %bb.1913:                             ;   in Loop: Header=BB94_17 Depth=1
	v_cmp_eq_u16_sdwa s[86:87], v8, v27 src0_sel:BYTE_0 src1_sel:DWORD
	s_mov_b64 s[84:85], s[82:83]
                                        ; implicit-def: $vgpr64
	s_and_saveexec_b64 s[76:77], s[86:87]
	s_cbranch_execz .LBB94_1915
; %bb.1914:                             ;   in Loop: Header=BB94_17 Depth=1
	flat_load_dwordx2 v[14:15], v[14:15]
	s_or_b64 s[84:85], s[82:83], exec
	s_waitcnt vmcnt(0) lgkmcnt(0)
	v_ffbh_u32_e32 v64, v15
	v_min_u32_e32 v64, 32, v64
	v_lshlrev_b64 v[14:15], v64, v[14:15]
	v_min_u32_e32 v14, 1, v14
	v_or_b32_e32 v14, v15, v14
	v_cvt_f32_u32_e32 v14, v14
	v_sub_u32_e32 v15, 32, v64
	v_ldexp_f32 v64, v14, v15
.LBB94_1915:                            ;   in Loop: Header=BB94_17 Depth=1
	s_or_b64 exec, exec, s[76:77]
	s_andn2_b64 s[76:77], s[82:83], exec
	s_and_b64 s[82:83], s[84:85], exec
	s_or_b64 s[80:81], s[80:81], exec
	s_andn2_b64 vcc, vcc, exec
	s_or_b64 s[82:83], s[76:77], s[82:83]
.LBB94_1916:                            ;   in Loop: Header=BB94_17 Depth=1
	s_or_b64 exec, exec, s[74:75]
	s_and_b64 s[80:81], s[80:81], exec
	s_and_b64 s[76:77], vcc, exec
	s_and_b64 s[74:75], s[82:83], exec
                                        ; implicit-def: $vgpr14_vgpr15
.LBB94_1917:                            ;   in Loop: Header=BB94_17 Depth=1
	s_andn2_saveexec_b64 s[78:79], s[78:79]
	s_cbranch_execz .LBB94_1931
; %bb.1918:                             ;   in Loop: Header=BB94_17 Depth=1
	v_cmp_gt_i16_sdwa vcc, v8, v28 src0_sel:BYTE_0 src1_sel:DWORD
                                        ; implicit-def: $vgpr64
	s_and_saveexec_b64 s[82:83], vcc
	s_xor_b64 vcc, exec, s[82:83]
	s_cbranch_execz .LBB94_1924
; %bb.1919:                             ;   in Loop: Header=BB94_17 Depth=1
	v_cmp_gt_i16_sdwa s[82:83], v8, v29 src0_sel:BYTE_0 src1_sel:DWORD
                                        ; implicit-def: $vgpr64
	s_and_saveexec_b64 s[84:85], s[82:83]
	s_xor_b64 s[82:83], exec, s[84:85]
	s_cbranch_execz .LBB94_1921
; %bb.1920:                             ;   in Loop: Header=BB94_17 Depth=1
	flat_load_dword v14, v[14:15]
	s_waitcnt vmcnt(0) lgkmcnt(0)
	v_cvt_f32_u32_e32 v64, v14
                                        ; implicit-def: $vgpr14_vgpr15
.LBB94_1921:                            ;   in Loop: Header=BB94_17 Depth=1
	s_andn2_saveexec_b64 s[82:83], s[82:83]
	s_cbranch_execz .LBB94_1923
; %bb.1922:                             ;   in Loop: Header=BB94_17 Depth=1
	flat_load_ushort v14, v[14:15]
	s_waitcnt vmcnt(0) lgkmcnt(0)
	v_cvt_f32_u32_e32 v64, v14
.LBB94_1923:                            ;   in Loop: Header=BB94_17 Depth=1
	s_or_b64 exec, exec, s[82:83]
                                        ; implicit-def: $vgpr14_vgpr15
.LBB94_1924:                            ;   in Loop: Header=BB94_17 Depth=1
	s_andn2_saveexec_b64 s[82:83], vcc
	s_cbranch_execz .LBB94_1930
; %bb.1925:                             ;   in Loop: Header=BB94_17 Depth=1
	flat_load_ubyte v14, v[14:15]
	s_movk_i32 vcc_lo, 0x7f
	s_mov_b64 s[84:85], 0
                                        ; implicit-def: $sgpr90
	s_waitcnt vmcnt(0) lgkmcnt(0)
	v_cmp_lt_i16_e32 vcc, vcc_lo, v14
	s_and_saveexec_b64 s[86:87], vcc
	s_xor_b64 s[86:87], exec, s[86:87]
	s_cbranch_execnz .LBB94_2900
; %bb.1926:                             ;   in Loop: Header=BB94_17 Depth=1
	s_or_saveexec_b64 s[86:87], s[86:87]
	v_mov_b32_e32 v64, s90
	s_xor_b64 exec, exec, s[86:87]
	s_cbranch_execnz .LBB94_2903
.LBB94_1927:                            ;   in Loop: Header=BB94_17 Depth=1
	s_or_b64 exec, exec, s[86:87]
	s_and_saveexec_b64 s[86:87], s[84:85]
	s_cbranch_execz .LBB94_1929
.LBB94_1928:                            ;   in Loop: Header=BB94_17 Depth=1
	v_lshlrev_b32_e32 v15, 24, v14
	v_and_b32_e32 v14, 0xffff, v14
	v_and_b32_e32 v64, 7, v14
	v_ffbh_u32_e32 v67, v64
	v_min_u32_e32 v67, 32, v67
	v_subrev_u32_e32 v68, 28, v67
	v_bfe_u32 v66, v14, 3, 4
	v_lshlrev_b32_e32 v14, v68, v14
	v_sub_u32_e32 v67, 29, v67
	v_and_b32_e32 v14, 7, v14
	v_cmp_eq_u32_e32 vcc, 0, v66
	v_cndmask_b32_e32 v66, v66, v67, vcc
	v_cndmask_b32_e32 v14, v64, v14, vcc
	v_lshlrev_b32_e32 v14, 20, v14
	v_and_b32_e32 v15, 0x80000000, v15
	v_lshl_add_u32 v64, v66, 23, v30
	v_or3_b32 v64, v15, v64, v14
.LBB94_1929:                            ;   in Loop: Header=BB94_17 Depth=1
	s_or_b64 exec, exec, s[86:87]
.LBB94_1930:                            ;   in Loop: Header=BB94_17 Depth=1
	s_or_b64 exec, exec, s[82:83]
	s_andn2_b64 s[80:81], s[80:81], exec
	s_andn2_b64 s[76:77], s[76:77], exec
	s_or_b64 s[74:75], s[74:75], exec
.LBB94_1931:                            ;   in Loop: Header=BB94_17 Depth=1
	s_or_b64 exec, exec, s[78:79]
	s_and_b64 s[78:79], s[80:81], exec
	s_and_b64 s[76:77], s[76:77], exec
	s_and_b64 s[74:75], s[74:75], exec
                                        ; implicit-def: $vgpr14_vgpr15
.LBB94_1932:                            ;   in Loop: Header=BB94_17 Depth=1
	s_andn2_saveexec_b64 s[72:73], s[72:73]
	s_cbranch_execz .LBB94_1958
; %bb.1933:                             ;   in Loop: Header=BB94_17 Depth=1
	v_cmp_gt_i16_sdwa vcc, v8, v31 src0_sel:BYTE_0 src1_sel:DWORD
	s_mov_b64 s[82:83], s[74:75]
                                        ; implicit-def: $vgpr64
	s_and_saveexec_b64 s[80:81], vcc
	s_xor_b64 s[80:81], exec, s[80:81]
	s_cbranch_execz .LBB94_1947
; %bb.1934:                             ;   in Loop: Header=BB94_17 Depth=1
	v_cmp_gt_i16_sdwa vcc, v8, v32 src0_sel:BYTE_0 src1_sel:DWORD
                                        ; implicit-def: $vgpr64
	s_and_saveexec_b64 s[82:83], vcc
	s_xor_b64 s[82:83], exec, s[82:83]
	s_cbranch_execz .LBB94_1944
; %bb.1935:                             ;   in Loop: Header=BB94_17 Depth=1
	v_cmp_gt_i16_sdwa vcc, v8, v33 src0_sel:BYTE_0 src1_sel:DWORD
                                        ; implicit-def: $vgpr64
	s_and_saveexec_b64 s[84:85], vcc
	s_xor_b64 s[84:85], exec, s[84:85]
	s_cbranch_execz .LBB94_1941
; %bb.1936:                             ;   in Loop: Header=BB94_17 Depth=1
	flat_load_ubyte v14, v[14:15]
	s_movk_i32 vcc_lo, 0x7f
	s_mov_b64 s[86:87], 0
                                        ; implicit-def: $sgpr92
	s_waitcnt vmcnt(0) lgkmcnt(0)
	v_cmp_lt_i16_e32 vcc, vcc_lo, v14
	s_and_saveexec_b64 s[88:89], vcc
	s_xor_b64 s[88:89], exec, s[88:89]
	s_cbranch_execnz .LBB94_3119
; %bb.1937:                             ;   in Loop: Header=BB94_17 Depth=1
	s_or_saveexec_b64 s[88:89], s[88:89]
	v_mov_b32_e32 v64, s92
	s_xor_b64 exec, exec, s[88:89]
	s_cbranch_execnz .LBB94_3122
.LBB94_1938:                            ;   in Loop: Header=BB94_17 Depth=1
	s_or_b64 exec, exec, s[88:89]
	s_and_saveexec_b64 s[88:89], s[86:87]
	s_cbranch_execz .LBB94_1940
.LBB94_1939:                            ;   in Loop: Header=BB94_17 Depth=1
	v_lshlrev_b32_e32 v15, 24, v14
	v_and_b32_e32 v14, 0xffff, v14
	v_and_b32_e32 v64, 3, v14
	v_ffbh_u32_e32 v67, v64
	v_min_u32_e32 v67, 32, v67
	v_subrev_u32_e32 v68, 29, v67
	v_bfe_u32 v66, v14, 2, 5
	v_lshlrev_b32_e32 v14, v68, v14
	v_sub_u32_e32 v67, 30, v67
	v_and_b32_e32 v14, 3, v14
	v_cmp_eq_u32_e32 vcc, 0, v66
	v_cndmask_b32_e32 v66, v66, v67, vcc
	v_cndmask_b32_e32 v14, v64, v14, vcc
	v_lshlrev_b32_e32 v14, 21, v14
	v_and_b32_e32 v15, 0x80000000, v15
	v_lshl_add_u32 v64, v66, 23, v34
	v_or3_b32 v64, v15, v64, v14
.LBB94_1940:                            ;   in Loop: Header=BB94_17 Depth=1
	s_or_b64 exec, exec, s[88:89]
                                        ; implicit-def: $vgpr14_vgpr15
.LBB94_1941:                            ;   in Loop: Header=BB94_17 Depth=1
	s_andn2_saveexec_b64 s[84:85], s[84:85]
	s_cbranch_execz .LBB94_1943
; %bb.1942:                             ;   in Loop: Header=BB94_17 Depth=1
	flat_load_ubyte v14, v[14:15]
	s_mov_b32 vcc_lo, 0x7f800000
	s_waitcnt vmcnt(0) lgkmcnt(0)
	v_lshlrev_b32_e32 v14, 24, v14
	v_and_b32_e32 v15, 0x7f000000, v14
	v_ffbh_u32_e32 v64, v15
	v_min_u32_e32 v64, 32, v64
	v_sub_u32_e64 v64, v64, 4 clamp
	v_lshlrev_b32_e32 v67, v64, v15
	v_lshlrev_b32_e32 v64, 23, v64
	v_lshrrev_b32_e32 v67, 4, v67
	v_add_u32_e32 v66, 0x1000000, v15
	v_sub_u32_e32 v64, v67, v64
	v_ashrrev_i32_e32 v66, 8, v66
	v_add_u32_e32 v64, 0x3c000000, v64
	v_and_or_b32 v64, v66, vcc_lo, v64
	v_cmp_ne_u32_e32 vcc, 0, v15
	v_cndmask_b32_e32 v15, 0, v64, vcc
	s_brev_b32 vcc_lo, 1
	v_and_or_b32 v64, v14, vcc_lo, v15
.LBB94_1943:                            ;   in Loop: Header=BB94_17 Depth=1
	s_or_b64 exec, exec, s[84:85]
                                        ; implicit-def: $vgpr14_vgpr15
.LBB94_1944:                            ;   in Loop: Header=BB94_17 Depth=1
	s_andn2_saveexec_b64 s[82:83], s[82:83]
	s_cbranch_execz .LBB94_1946
; %bb.1945:                             ;   in Loop: Header=BB94_17 Depth=1
	flat_load_ubyte v14, v[14:15]
	s_movk_i32 vcc_lo, 0x7f00
	s_waitcnt vmcnt(0) lgkmcnt(0)
	v_lshlrev_b16_e32 v15, 8, v14
	v_lshlrev_b32_e32 v14, 25, v14
	v_lshrrev_b32_e32 v64, 4, v14
	v_and_or_b32 v66, v15, vcc_lo, 0.5
	v_or_b32_e32 v64, 0x70000000, v64
	s_brev_b32 vcc_lo, 16
	v_add_f32_e32 v66, -0.5, v66
	v_mul_f32_e32 v64, 0x7800000, v64
	v_cmp_gt_u32_e32 vcc, vcc_lo, v14
	v_cndmask_b32_e32 v14, v64, v66, vcc
	v_bfe_i32 v15, v15, 0, 16
	s_brev_b32 vcc_lo, 1
	v_and_or_b32 v64, v15, vcc_lo, v14
.LBB94_1946:                            ;   in Loop: Header=BB94_17 Depth=1
	s_or_b64 exec, exec, s[82:83]
	s_or_b64 s[82:83], s[74:75], exec
                                        ; implicit-def: $vgpr14_vgpr15
.LBB94_1947:                            ;   in Loop: Header=BB94_17 Depth=1
	s_or_saveexec_b64 s[80:81], s[80:81]
                                        ; implicit-def: $vcc
                                        ; implicit-def: $sgpr88_sgpr89
	s_xor_b64 exec, exec, s[80:81]
	s_cbranch_execz .LBB94_1957
; %bb.1948:                             ;   in Loop: Header=BB94_17 Depth=1
	v_cmp_gt_i16_sdwa vcc, v8, v35 src0_sel:BYTE_0 src1_sel:DWORD
	s_mov_b64 s[86:87], s[82:83]
                                        ; implicit-def: $sgpr88_sgpr89
                                        ; implicit-def: $sgpr84_sgpr85
                                        ; implicit-def: $vgpr64
	s_and_saveexec_b64 s[90:91], vcc
	s_xor_b64 vcc, exec, s[90:91]
	s_cbranch_execz .LBB94_1952
; %bb.1949:                             ;   in Loop: Header=BB94_17 Depth=1
	v_cmp_eq_u16_sdwa s[88:89], v8, v36 src0_sel:BYTE_0 src1_sel:DWORD
	s_mov_b64 s[86:87], s[82:83]
                                        ; implicit-def: $vgpr64
	s_and_saveexec_b64 s[84:85], s[88:89]
	s_cbranch_execz .LBB94_1951
; %bb.1950:                             ;   in Loop: Header=BB94_17 Depth=1
	flat_load_ushort v14, v[14:15]
	s_or_b64 s[86:87], s[82:83], exec
	s_waitcnt vmcnt(0) lgkmcnt(0)
	v_lshlrev_b32_e32 v64, 16, v14
.LBB94_1951:                            ;   in Loop: Header=BB94_17 Depth=1
	s_or_b64 exec, exec, s[84:85]
	s_andn2_b64 s[90:91], s[82:83], exec
	s_and_b64 s[86:87], s[86:87], exec
	s_mov_b64 s[84:85], 0
	s_mov_b64 s[88:89], -1
	s_or_b64 s[86:87], s[90:91], s[86:87]
                                        ; implicit-def: $vgpr14_vgpr15
.LBB94_1952:                            ;   in Loop: Header=BB94_17 Depth=1
	s_andn2_saveexec_b64 s[90:91], vcc
	s_cbranch_execz .LBB94_1956
; %bb.1953:                             ;   in Loop: Header=BB94_17 Depth=1
	v_cmp_eq_u16_sdwa s[94:95], v8, v37 src0_sel:BYTE_0 src1_sel:DWORD
	s_mov_b64 vcc, s[86:87]
                                        ; implicit-def: $vgpr64
	s_and_saveexec_b64 s[92:93], s[94:95]
	s_cbranch_execz .LBB94_1955
; %bb.1954:                             ;   in Loop: Header=BB94_17 Depth=1
	flat_load_ubyte v14, v[14:15]
	s_waitcnt vmcnt(0) lgkmcnt(0)
	v_cmp_ne_u16_e32 vcc, 0, v14
	v_cndmask_b32_e64 v64, 0, 1.0, vcc
	s_or_b64 vcc, s[86:87], exec
.LBB94_1955:                            ;   in Loop: Header=BB94_17 Depth=1
	s_or_b64 exec, exec, s[92:93]
	s_andn2_b64 s[86:87], s[86:87], exec
	s_and_b64 vcc, vcc, exec
	s_or_b64 s[88:89], s[88:89], exec
	s_andn2_b64 s[84:85], s[84:85], exec
	s_or_b64 s[86:87], s[86:87], vcc
.LBB94_1956:                            ;   in Loop: Header=BB94_17 Depth=1
	s_or_b64 exec, exec, s[90:91]
	s_and_b64 vcc, s[84:85], exec
	s_andn2_b64 s[82:83], s[82:83], exec
	s_and_b64 s[84:85], s[86:87], exec
	s_and_b64 s[88:89], s[88:89], exec
	s_or_b64 s[82:83], s[82:83], s[84:85]
.LBB94_1957:                            ;   in Loop: Header=BB94_17 Depth=1
	s_or_b64 exec, exec, s[80:81]
	s_andn2_b64 s[76:77], s[76:77], exec
	s_and_b64 vcc, vcc, exec
	s_andn2_b64 s[78:79], s[78:79], exec
	s_and_b64 s[80:81], s[88:89], exec
	s_or_b64 s[76:77], s[76:77], vcc
	s_andn2_b64 vcc, s[74:75], exec
	s_and_b64 s[74:75], s[82:83], exec
	s_or_b64 s[78:79], s[78:79], s[80:81]
	s_or_b64 s[74:75], vcc, s[74:75]
.LBB94_1958:                            ;   in Loop: Header=BB94_17 Depth=1
	s_or_b64 exec, exec, s[72:73]
	s_and_b64 s[72:73], s[78:79], exec
	s_and_b64 vcc, s[76:77], exec
	s_and_b64 s[74:75], s[74:75], exec
                                        ; implicit-def: $vgpr14_vgpr15
	s_andn2_saveexec_b64 s[70:71], s[70:71]
	s_cbranch_execz .LBB94_1875
.LBB94_1959:                            ;   in Loop: Header=BB94_17 Depth=1
	v_cmp_gt_i16_sdwa s[76:77], v8, v38 src0_sel:BYTE_0 src1_sel:DWORD
                                        ; implicit-def: $vgpr64
	s_and_saveexec_b64 s[78:79], s[76:77]
	s_xor_b64 s[76:77], exec, s[78:79]
	s_cbranch_execz .LBB94_1981
; %bb.1960:                             ;   in Loop: Header=BB94_17 Depth=1
	v_cmp_gt_i16_sdwa s[78:79], v8, v39 src0_sel:BYTE_0 src1_sel:DWORD
                                        ; implicit-def: $vgpr64
	s_and_saveexec_b64 s[80:81], s[78:79]
	s_xor_b64 s[78:79], exec, s[80:81]
	s_cbranch_execz .LBB94_1970
; %bb.1961:                             ;   in Loop: Header=BB94_17 Depth=1
	;; [unrolled: 6-line block ×4, first 2 shown]
	flat_load_dwordx2 v[14:15], v[14:15]
	s_waitcnt vmcnt(0) lgkmcnt(0)
	v_cvt_f32_f64_e32 v64, v[14:15]
                                        ; implicit-def: $vgpr14_vgpr15
.LBB94_1964:                            ;   in Loop: Header=BB94_17 Depth=1
	s_andn2_saveexec_b64 s[82:83], s[82:83]
	s_cbranch_execz .LBB94_1966
; %bb.1965:                             ;   in Loop: Header=BB94_17 Depth=1
	flat_load_dword v64, v[14:15]
.LBB94_1966:                            ;   in Loop: Header=BB94_17 Depth=1
	s_or_b64 exec, exec, s[82:83]
                                        ; implicit-def: $vgpr14_vgpr15
.LBB94_1967:                            ;   in Loop: Header=BB94_17 Depth=1
	s_andn2_saveexec_b64 s[80:81], s[80:81]
	s_cbranch_execz .LBB94_1969
; %bb.1968:                             ;   in Loop: Header=BB94_17 Depth=1
	flat_load_dword v14, v[14:15]
	s_waitcnt vmcnt(0) lgkmcnt(0)
	v_cvt_f32_f16_e32 v64, v14
.LBB94_1969:                            ;   in Loop: Header=BB94_17 Depth=1
	s_or_b64 exec, exec, s[80:81]
                                        ; implicit-def: $vgpr14_vgpr15
.LBB94_1970:                            ;   in Loop: Header=BB94_17 Depth=1
	s_andn2_saveexec_b64 s[78:79], s[78:79]
	s_cbranch_execz .LBB94_1980
; %bb.1971:                             ;   in Loop: Header=BB94_17 Depth=1
	v_cmp_gt_i16_sdwa s[80:81], v8, v50 src0_sel:BYTE_0 src1_sel:DWORD
                                        ; implicit-def: $vgpr64
	s_and_saveexec_b64 s[82:83], s[80:81]
	s_xor_b64 s[80:81], exec, s[82:83]
	s_cbranch_execz .LBB94_1977
; %bb.1972:                             ;   in Loop: Header=BB94_17 Depth=1
	v_cmp_gt_i16_sdwa s[82:83], v8, v51 src0_sel:BYTE_0 src1_sel:DWORD
                                        ; implicit-def: $vgpr64
	s_and_saveexec_b64 s[84:85], s[82:83]
	s_xor_b64 s[82:83], exec, s[84:85]
	s_cbranch_execz .LBB94_1974
; %bb.1973:                             ;   in Loop: Header=BB94_17 Depth=1
	flat_load_dwordx2 v[14:15], v[14:15]
	s_waitcnt vmcnt(0) lgkmcnt(0)
	v_cvt_f32_f64_e32 v64, v[14:15]
                                        ; implicit-def: $vgpr14_vgpr15
.LBB94_1974:                            ;   in Loop: Header=BB94_17 Depth=1
	s_andn2_saveexec_b64 s[82:83], s[82:83]
	s_cbranch_execz .LBB94_1976
; %bb.1975:                             ;   in Loop: Header=BB94_17 Depth=1
	s_waitcnt vmcnt(0) lgkmcnt(0)
	flat_load_dword v64, v[14:15]
.LBB94_1976:                            ;   in Loop: Header=BB94_17 Depth=1
	s_or_b64 exec, exec, s[82:83]
                                        ; implicit-def: $vgpr14_vgpr15
.LBB94_1977:                            ;   in Loop: Header=BB94_17 Depth=1
	s_andn2_saveexec_b64 s[80:81], s[80:81]
	s_cbranch_execz .LBB94_1979
; %bb.1978:                             ;   in Loop: Header=BB94_17 Depth=1
	flat_load_ushort v14, v[14:15]
	s_waitcnt vmcnt(0) lgkmcnt(0)
	v_cvt_f32_f16_e32 v64, v14
.LBB94_1979:                            ;   in Loop: Header=BB94_17 Depth=1
	s_or_b64 exec, exec, s[80:81]
.LBB94_1980:                            ;   in Loop: Header=BB94_17 Depth=1
	s_or_b64 exec, exec, s[78:79]
                                        ; implicit-def: $vgpr14_vgpr15
.LBB94_1981:                            ;   in Loop: Header=BB94_17 Depth=1
	s_andn2_saveexec_b64 s[76:77], s[76:77]
	s_cbranch_execz .LBB94_1999
; %bb.1982:                             ;   in Loop: Header=BB94_17 Depth=1
	v_cmp_gt_i16_sdwa s[78:79], v8, v52 src0_sel:BYTE_0 src1_sel:DWORD
                                        ; implicit-def: $vgpr64
	s_and_saveexec_b64 s[80:81], s[78:79]
	s_xor_b64 s[78:79], exec, s[80:81]
	s_cbranch_execz .LBB94_1992
; %bb.1983:                             ;   in Loop: Header=BB94_17 Depth=1
	v_cmp_gt_i16_sdwa s[80:81], v8, v53 src0_sel:BYTE_0 src1_sel:DWORD
                                        ; implicit-def: $vgpr64
	s_and_saveexec_b64 s[82:83], s[80:81]
	s_xor_b64 s[80:81], exec, s[82:83]
	;; [unrolled: 6-line block ×3, first 2 shown]
	s_cbranch_execz .LBB94_1986
; %bb.1985:                             ;   in Loop: Header=BB94_17 Depth=1
	flat_load_dwordx2 v[14:15], v[14:15]
	s_waitcnt vmcnt(0) lgkmcnt(0)
	v_xor_b32_e32 v66, v14, v15
	v_ffbh_i32_e32 v64, v15
	v_ashrrev_i32_e32 v66, 31, v66
	v_add_u32_e32 v64, -1, v64
	v_add_u32_e32 v66, 32, v66
	v_min_u32_e32 v64, v64, v66
	v_lshlrev_b64 v[14:15], v64, v[14:15]
	v_min_u32_e32 v14, 1, v14
	v_or_b32_e32 v14, v15, v14
	v_cvt_f32_i32_e32 v14, v14
	v_sub_u32_e32 v15, 32, v64
	v_ldexp_f32 v64, v14, v15
                                        ; implicit-def: $vgpr14_vgpr15
.LBB94_1986:                            ;   in Loop: Header=BB94_17 Depth=1
	s_andn2_saveexec_b64 s[82:83], s[82:83]
	s_cbranch_execz .LBB94_1988
; %bb.1987:                             ;   in Loop: Header=BB94_17 Depth=1
	flat_load_dword v14, v[14:15]
	s_waitcnt vmcnt(0) lgkmcnt(0)
	v_cvt_f32_i32_e32 v64, v14
.LBB94_1988:                            ;   in Loop: Header=BB94_17 Depth=1
	s_or_b64 exec, exec, s[82:83]
                                        ; implicit-def: $vgpr14_vgpr15
.LBB94_1989:                            ;   in Loop: Header=BB94_17 Depth=1
	s_andn2_saveexec_b64 s[80:81], s[80:81]
	s_cbranch_execz .LBB94_1991
; %bb.1990:                             ;   in Loop: Header=BB94_17 Depth=1
	flat_load_sshort v14, v[14:15]
	s_waitcnt vmcnt(0) lgkmcnt(0)
	v_cvt_f32_i32_e32 v64, v14
.LBB94_1991:                            ;   in Loop: Header=BB94_17 Depth=1
	s_or_b64 exec, exec, s[80:81]
                                        ; implicit-def: $vgpr14_vgpr15
.LBB94_1992:                            ;   in Loop: Header=BB94_17 Depth=1
	s_andn2_saveexec_b64 s[78:79], s[78:79]
	s_cbranch_execz .LBB94_1998
; %bb.1993:                             ;   in Loop: Header=BB94_17 Depth=1
	v_cmp_gt_i16_sdwa s[80:81], v8, v16 src0_sel:BYTE_0 src1_sel:DWORD
                                        ; implicit-def: $vgpr64
	s_and_saveexec_b64 s[82:83], s[80:81]
	s_xor_b64 s[80:81], exec, s[82:83]
	s_cbranch_execz .LBB94_1995
; %bb.1994:                             ;   in Loop: Header=BB94_17 Depth=1
	flat_load_sbyte v14, v[14:15]
	s_waitcnt vmcnt(0) lgkmcnt(0)
	v_cvt_f32_i32_e32 v64, v14
                                        ; implicit-def: $vgpr14_vgpr15
.LBB94_1995:                            ;   in Loop: Header=BB94_17 Depth=1
	s_andn2_saveexec_b64 s[80:81], s[80:81]
	s_cbranch_execz .LBB94_1997
; %bb.1996:                             ;   in Loop: Header=BB94_17 Depth=1
	flat_load_ubyte v14, v[14:15]
	s_waitcnt vmcnt(0) lgkmcnt(0)
	v_cvt_f32_ubyte0_e32 v64, v14
.LBB94_1997:                            ;   in Loop: Header=BB94_17 Depth=1
	s_or_b64 exec, exec, s[80:81]
.LBB94_1998:                            ;   in Loop: Header=BB94_17 Depth=1
	s_or_b64 exec, exec, s[78:79]
.LBB94_1999:                            ;   in Loop: Header=BB94_17 Depth=1
	s_or_b64 exec, exec, s[76:77]
	s_andn2_b64 s[72:73], s[72:73], exec
	s_andn2_b64 vcc, vcc, exec
	s_or_b64 s[74:75], s[74:75], exec
	s_or_b64 exec, exec, s[70:71]
	s_mov_b64 s[70:71], 0
	s_and_saveexec_b64 s[76:77], s[74:75]
	s_cbranch_execnz .LBB94_1876
	s_branch .LBB94_1877
.LBB94_2000:                            ;   in Loop: Header=BB94_17 Depth=1
	v_cmp_gt_i16_sdwa vcc, v7, v19 src0_sel:BYTE_0 src1_sel:DWORD
	s_mov_b64 s[76:77], 0
                                        ; implicit-def: $sgpr78_sgpr79
                                        ; implicit-def: $sgpr68_sgpr69
                                        ; implicit-def: $vgpr66
	s_and_saveexec_b64 s[60:61], vcc
	s_xor_b64 s[66:67], exec, s[60:61]
	s_cbranch_execz .LBB94_2032
; %bb.2001:                             ;   in Loop: Header=BB94_17 Depth=1
	v_cmp_gt_i16_sdwa vcc, v7, v20 src0_sel:BYTE_0 src1_sel:DWORD
                                        ; implicit-def: $sgpr78_sgpr79
                                        ; implicit-def: $sgpr80_sgpr81
                                        ; implicit-def: $vgpr66
	s_and_saveexec_b64 s[60:61], vcc
	s_xor_b64 s[68:69], exec, s[60:61]
	s_cbranch_execz .LBB94_2017
; %bb.2002:                             ;   in Loop: Header=BB94_17 Depth=1
	v_cmp_gt_i16_sdwa s[60:61], v7, v21 src0_sel:BYTE_0 src1_sel:DWORD
	s_mov_b64 s[82:83], 0
                                        ; implicit-def: $vcc
                                        ; implicit-def: $sgpr78_sgpr79
                                        ; implicit-def: $vgpr66
	s_and_saveexec_b64 s[76:77], s[60:61]
	s_xor_b64 s[76:77], exec, s[76:77]
	s_cbranch_execz .LBB94_2012
; %bb.2003:                             ;   in Loop: Header=BB94_17 Depth=1
	v_cmp_gt_i16_sdwa vcc, v7, v22 src0_sel:BYTE_0 src1_sel:DWORD
	s_mov_b64 s[80:81], 0
                                        ; implicit-def: $sgpr78_sgpr79
                                        ; implicit-def: $sgpr82_sgpr83
                                        ; implicit-def: $vgpr66
	s_and_saveexec_b64 s[60:61], vcc
	s_xor_b64 vcc, exec, s[60:61]
	s_cbranch_execz .LBB94_2007
; %bb.2004:                             ;   in Loop: Header=BB94_17 Depth=1
	v_cmp_eq_u16_sdwa s[60:61], v7, v23 src0_sel:BYTE_0 src1_sel:DWORD
	s_mov_b64 s[78:79], 0
                                        ; implicit-def: $vgpr66
	s_and_saveexec_b64 s[82:83], s[60:61]
	s_cbranch_execz .LBB94_2006
; %bb.2005:                             ;   in Loop: Header=BB94_17 Depth=1
	flat_load_dword v14, v[14:15]
	s_mov_b64 s[80:81], exec
	s_waitcnt vmcnt(0) lgkmcnt(0)
	v_lshlrev_b32_e32 v66, 16, v14
.LBB94_2006:                            ;   in Loop: Header=BB94_17 Depth=1
	s_or_b64 exec, exec, s[82:83]
	s_mov_b64 s[82:83], -1
	s_and_b64 s[80:81], s[80:81], exec
                                        ; implicit-def: $vgpr14_vgpr15
.LBB94_2007:                            ;   in Loop: Header=BB94_17 Depth=1
	s_andn2_saveexec_b64 s[84:85], vcc
	s_cbranch_execz .LBB94_2011
; %bb.2008:                             ;   in Loop: Header=BB94_17 Depth=1
	v_cmp_eq_u16_sdwa s[60:61], v7, v24 src0_sel:BYTE_0 src1_sel:DWORD
	s_mov_b64 vcc, s[80:81]
                                        ; implicit-def: $vgpr66
	s_and_saveexec_b64 s[86:87], s[60:61]
	s_cbranch_execz .LBB94_2010
; %bb.2009:                             ;   in Loop: Header=BB94_17 Depth=1
	flat_load_ubyte v14, v[14:15]
	s_movk_i32 vcc_lo, 0xff
	s_waitcnt vmcnt(0) lgkmcnt(0)
	v_lshlrev_b32_e32 v15, 23, v14
	v_cmp_ne_u32_e32 vcc, vcc_lo, v14
	v_cndmask_b32_e32 v15, v25, v15, vcc
	v_cmp_ne_u32_e32 vcc, 0, v14
	v_cndmask_b32_e32 v66, v26, v15, vcc
	s_or_b64 vcc, s[80:81], exec
.LBB94_2010:                            ;   in Loop: Header=BB94_17 Depth=1
	s_or_b64 exec, exec, s[86:87]
	s_andn2_b64 s[60:61], s[80:81], exec
	s_and_b64 vcc, vcc, exec
	s_andn2_b64 s[78:79], s[78:79], exec
	s_or_b64 s[82:83], s[82:83], exec
	s_or_b64 s[80:81], s[60:61], vcc
.LBB94_2011:                            ;   in Loop: Header=BB94_17 Depth=1
	s_or_b64 exec, exec, s[84:85]
	s_and_b64 s[78:79], s[78:79], exec
	s_and_b64 vcc, s[82:83], exec
	s_and_b64 s[82:83], s[80:81], exec
                                        ; implicit-def: $vgpr14_vgpr15
.LBB94_2012:                            ;   in Loop: Header=BB94_17 Depth=1
	s_andn2_saveexec_b64 s[76:77], s[76:77]
	s_cbranch_execz .LBB94_2016
; %bb.2013:                             ;   in Loop: Header=BB94_17 Depth=1
	v_cmp_eq_u16_sdwa s[60:61], v7, v27 src0_sel:BYTE_0 src1_sel:DWORD
	s_mov_b64 s[84:85], s[82:83]
                                        ; implicit-def: $vgpr66
	s_and_saveexec_b64 s[80:81], s[60:61]
	s_cbranch_execz .LBB94_2015
; %bb.2014:                             ;   in Loop: Header=BB94_17 Depth=1
	flat_load_dwordx2 v[14:15], v[14:15]
	s_or_b64 s[84:85], s[82:83], exec
	s_waitcnt vmcnt(0) lgkmcnt(0)
	v_ffbh_u32_e32 v65, v15
	v_min_u32_e32 v65, 32, v65
	v_lshlrev_b64 v[14:15], v65, v[14:15]
	v_min_u32_e32 v14, 1, v14
	v_or_b32_e32 v14, v15, v14
	v_cvt_f32_u32_e32 v14, v14
	v_sub_u32_e32 v15, 32, v65
	v_ldexp_f32 v66, v14, v15
.LBB94_2015:                            ;   in Loop: Header=BB94_17 Depth=1
	s_or_b64 exec, exec, s[80:81]
	s_andn2_b64 s[60:61], s[82:83], exec
	s_and_b64 s[80:81], s[84:85], exec
	s_andn2_b64 s[78:79], s[78:79], exec
	s_or_b64 vcc, vcc, exec
	s_or_b64 s[82:83], s[60:61], s[80:81]
.LBB94_2016:                            ;   in Loop: Header=BB94_17 Depth=1
	s_or_b64 exec, exec, s[76:77]
	s_and_b64 s[80:81], s[78:79], exec
	s_and_b64 s[78:79], vcc, exec
	s_and_b64 s[76:77], s[82:83], exec
                                        ; implicit-def: $vgpr14_vgpr15
.LBB94_2017:                            ;   in Loop: Header=BB94_17 Depth=1
	s_andn2_saveexec_b64 s[68:69], s[68:69]
	s_cbranch_execz .LBB94_2031
; %bb.2018:                             ;   in Loop: Header=BB94_17 Depth=1
	v_cmp_gt_i16_sdwa vcc, v7, v28 src0_sel:BYTE_0 src1_sel:DWORD
                                        ; implicit-def: $vgpr66
	s_and_saveexec_b64 s[60:61], vcc
	s_xor_b64 vcc, exec, s[60:61]
	s_cbranch_execz .LBB94_2024
; %bb.2019:                             ;   in Loop: Header=BB94_17 Depth=1
	v_cmp_gt_i16_sdwa s[60:61], v7, v29 src0_sel:BYTE_0 src1_sel:DWORD
                                        ; implicit-def: $vgpr66
	s_and_saveexec_b64 s[82:83], s[60:61]
	s_xor_b64 s[60:61], exec, s[82:83]
	s_cbranch_execz .LBB94_2021
; %bb.2020:                             ;   in Loop: Header=BB94_17 Depth=1
	flat_load_dword v14, v[14:15]
	s_waitcnt vmcnt(0) lgkmcnt(0)
	v_cvt_f32_u32_e32 v66, v14
                                        ; implicit-def: $vgpr14_vgpr15
.LBB94_2021:                            ;   in Loop: Header=BB94_17 Depth=1
	s_andn2_saveexec_b64 s[82:83], s[60:61]
	s_cbranch_execz .LBB94_2023
; %bb.2022:                             ;   in Loop: Header=BB94_17 Depth=1
	flat_load_ushort v14, v[14:15]
	s_waitcnt vmcnt(0) lgkmcnt(0)
	v_cvt_f32_u32_e32 v66, v14
.LBB94_2023:                            ;   in Loop: Header=BB94_17 Depth=1
	s_or_b64 exec, exec, s[82:83]
                                        ; implicit-def: $vgpr14_vgpr15
.LBB94_2024:                            ;   in Loop: Header=BB94_17 Depth=1
	s_andn2_saveexec_b64 s[82:83], vcc
	s_cbranch_execz .LBB94_2030
; %bb.2025:                             ;   in Loop: Header=BB94_17 Depth=1
	flat_load_ubyte v14, v[14:15]
	s_movk_i32 vcc_lo, 0x7f
	s_mov_b64 s[84:85], 0
                                        ; implicit-def: $sgpr88
	s_waitcnt vmcnt(0) lgkmcnt(0)
	v_cmp_lt_i16_e32 vcc, vcc_lo, v14
	s_and_saveexec_b64 s[60:61], vcc
	s_xor_b64 s[86:87], exec, s[60:61]
	s_cbranch_execnz .LBB94_2904
; %bb.2026:                             ;   in Loop: Header=BB94_17 Depth=1
	s_or_saveexec_b64 s[86:87], s[86:87]
	v_mov_b32_e32 v66, s88
	s_xor_b64 exec, exec, s[86:87]
	s_cbranch_execnz .LBB94_2907
.LBB94_2027:                            ;   in Loop: Header=BB94_17 Depth=1
	s_or_b64 exec, exec, s[86:87]
	s_and_saveexec_b64 s[86:87], s[84:85]
	s_cbranch_execz .LBB94_2029
.LBB94_2028:                            ;   in Loop: Header=BB94_17 Depth=1
	v_lshlrev_b32_e32 v15, 24, v14
	v_and_b32_e32 v14, 0xffff, v14
	v_and_b32_e32 v65, 7, v14
	v_ffbh_u32_e32 v67, v65
	v_min_u32_e32 v67, 32, v67
	v_subrev_u32_e32 v68, 28, v67
	v_bfe_u32 v66, v14, 3, 4
	v_lshlrev_b32_e32 v14, v68, v14
	v_sub_u32_e32 v67, 29, v67
	v_and_b32_e32 v14, 7, v14
	v_cmp_eq_u32_e32 vcc, 0, v66
	v_cndmask_b32_e32 v66, v66, v67, vcc
	v_cndmask_b32_e32 v14, v65, v14, vcc
	v_lshlrev_b32_e32 v14, 20, v14
	v_and_b32_e32 v15, 0x80000000, v15
	v_lshl_add_u32 v65, v66, 23, v30
	v_or3_b32 v66, v15, v65, v14
.LBB94_2029:                            ;   in Loop: Header=BB94_17 Depth=1
	s_or_b64 exec, exec, s[86:87]
.LBB94_2030:                            ;   in Loop: Header=BB94_17 Depth=1
	s_or_b64 exec, exec, s[82:83]
	s_andn2_b64 s[80:81], s[80:81], exec
	s_andn2_b64 s[78:79], s[78:79], exec
	s_or_b64 s[76:77], s[76:77], exec
.LBB94_2031:                            ;   in Loop: Header=BB94_17 Depth=1
	s_or_b64 exec, exec, s[68:69]
	s_and_b64 s[68:69], s[80:81], exec
	s_and_b64 s[78:79], s[78:79], exec
	;; [unrolled: 1-line block ×3, first 2 shown]
                                        ; implicit-def: $vgpr14_vgpr15
.LBB94_2032:                            ;   in Loop: Header=BB94_17 Depth=1
	s_andn2_saveexec_b64 s[66:67], s[66:67]
	s_cbranch_execz .LBB94_2058
; %bb.2033:                             ;   in Loop: Header=BB94_17 Depth=1
	v_cmp_gt_i16_sdwa vcc, v7, v31 src0_sel:BYTE_0 src1_sel:DWORD
	s_mov_b64 s[82:83], s[76:77]
                                        ; implicit-def: $vgpr66
	s_and_saveexec_b64 s[60:61], vcc
	s_xor_b64 s[80:81], exec, s[60:61]
	s_cbranch_execz .LBB94_2047
; %bb.2034:                             ;   in Loop: Header=BB94_17 Depth=1
	v_cmp_gt_i16_sdwa vcc, v7, v32 src0_sel:BYTE_0 src1_sel:DWORD
                                        ; implicit-def: $vgpr66
	s_and_saveexec_b64 s[60:61], vcc
	s_xor_b64 s[82:83], exec, s[60:61]
	s_cbranch_execz .LBB94_2044
; %bb.2035:                             ;   in Loop: Header=BB94_17 Depth=1
	v_cmp_gt_i16_sdwa vcc, v7, v33 src0_sel:BYTE_0 src1_sel:DWORD
                                        ; implicit-def: $vgpr66
	s_and_saveexec_b64 s[60:61], vcc
	s_xor_b64 s[84:85], exec, s[60:61]
	s_cbranch_execz .LBB94_2041
; %bb.2036:                             ;   in Loop: Header=BB94_17 Depth=1
	flat_load_ubyte v14, v[14:15]
	s_movk_i32 vcc_lo, 0x7f
	s_mov_b64 s[86:87], 0
                                        ; implicit-def: $sgpr90
	s_waitcnt vmcnt(0) lgkmcnt(0)
	v_cmp_lt_i16_e32 vcc, vcc_lo, v14
	s_and_saveexec_b64 s[60:61], vcc
	s_xor_b64 s[88:89], exec, s[60:61]
	s_cbranch_execnz .LBB94_3123
; %bb.2037:                             ;   in Loop: Header=BB94_17 Depth=1
	s_or_saveexec_b64 s[88:89], s[88:89]
	v_mov_b32_e32 v66, s90
	s_xor_b64 exec, exec, s[88:89]
	s_cbranch_execnz .LBB94_3126
.LBB94_2038:                            ;   in Loop: Header=BB94_17 Depth=1
	s_or_b64 exec, exec, s[88:89]
	s_and_saveexec_b64 s[88:89], s[86:87]
	s_cbranch_execz .LBB94_2040
.LBB94_2039:                            ;   in Loop: Header=BB94_17 Depth=1
	v_lshlrev_b32_e32 v15, 24, v14
	v_and_b32_e32 v14, 0xffff, v14
	v_and_b32_e32 v65, 3, v14
	v_ffbh_u32_e32 v67, v65
	v_min_u32_e32 v67, 32, v67
	v_subrev_u32_e32 v68, 29, v67
	v_bfe_u32 v66, v14, 2, 5
	v_lshlrev_b32_e32 v14, v68, v14
	v_sub_u32_e32 v67, 30, v67
	v_and_b32_e32 v14, 3, v14
	v_cmp_eq_u32_e32 vcc, 0, v66
	v_cndmask_b32_e32 v66, v66, v67, vcc
	v_cndmask_b32_e32 v14, v65, v14, vcc
	v_lshlrev_b32_e32 v14, 21, v14
	v_and_b32_e32 v15, 0x80000000, v15
	v_lshl_add_u32 v65, v66, 23, v34
	v_or3_b32 v66, v15, v65, v14
.LBB94_2040:                            ;   in Loop: Header=BB94_17 Depth=1
	s_or_b64 exec, exec, s[88:89]
                                        ; implicit-def: $vgpr14_vgpr15
.LBB94_2041:                            ;   in Loop: Header=BB94_17 Depth=1
	s_andn2_saveexec_b64 s[84:85], s[84:85]
	s_cbranch_execz .LBB94_2043
; %bb.2042:                             ;   in Loop: Header=BB94_17 Depth=1
	flat_load_ubyte v14, v[14:15]
	s_mov_b32 vcc_lo, 0x7f800000
	s_waitcnt vmcnt(0) lgkmcnt(0)
	v_lshlrev_b32_e32 v14, 24, v14
	v_and_b32_e32 v15, 0x7f000000, v14
	v_ffbh_u32_e32 v65, v15
	v_min_u32_e32 v65, 32, v65
	v_sub_u32_e64 v65, v65, 4 clamp
	v_lshlrev_b32_e32 v67, v65, v15
	v_lshlrev_b32_e32 v65, 23, v65
	v_lshrrev_b32_e32 v67, 4, v67
	v_add_u32_e32 v66, 0x1000000, v15
	v_sub_u32_e32 v65, v67, v65
	v_ashrrev_i32_e32 v66, 8, v66
	v_add_u32_e32 v65, 0x3c000000, v65
	v_and_or_b32 v65, v66, vcc_lo, v65
	v_cmp_ne_u32_e32 vcc, 0, v15
	v_cndmask_b32_e32 v15, 0, v65, vcc
	s_brev_b32 vcc_lo, 1
	v_and_or_b32 v66, v14, vcc_lo, v15
.LBB94_2043:                            ;   in Loop: Header=BB94_17 Depth=1
	s_or_b64 exec, exec, s[84:85]
                                        ; implicit-def: $vgpr14_vgpr15
.LBB94_2044:                            ;   in Loop: Header=BB94_17 Depth=1
	s_andn2_saveexec_b64 s[82:83], s[82:83]
	s_cbranch_execz .LBB94_2046
; %bb.2045:                             ;   in Loop: Header=BB94_17 Depth=1
	flat_load_ubyte v14, v[14:15]
	s_movk_i32 vcc_lo, 0x7f00
	s_waitcnt vmcnt(0) lgkmcnt(0)
	v_lshlrev_b16_e32 v15, 8, v14
	v_lshlrev_b32_e32 v14, 25, v14
	v_lshrrev_b32_e32 v65, 4, v14
	v_and_or_b32 v66, v15, vcc_lo, 0.5
	v_or_b32_e32 v65, 0x70000000, v65
	s_brev_b32 vcc_lo, 16
	v_add_f32_e32 v66, -0.5, v66
	v_mul_f32_e32 v65, 0x7800000, v65
	v_cmp_gt_u32_e32 vcc, vcc_lo, v14
	v_cndmask_b32_e32 v14, v65, v66, vcc
	v_bfe_i32 v15, v15, 0, 16
	s_brev_b32 vcc_lo, 1
	v_and_or_b32 v66, v15, vcc_lo, v14
.LBB94_2046:                            ;   in Loop: Header=BB94_17 Depth=1
	s_or_b64 exec, exec, s[82:83]
	s_or_b64 s[82:83], s[76:77], exec
                                        ; implicit-def: $vgpr14_vgpr15
.LBB94_2047:                            ;   in Loop: Header=BB94_17 Depth=1
	s_or_saveexec_b64 s[80:81], s[80:81]
                                        ; implicit-def: $vcc
                                        ; implicit-def: $sgpr88_sgpr89
	s_xor_b64 exec, exec, s[80:81]
	s_cbranch_execz .LBB94_2057
; %bb.2048:                             ;   in Loop: Header=BB94_17 Depth=1
	v_cmp_gt_i16_sdwa vcc, v7, v35 src0_sel:BYTE_0 src1_sel:DWORD
	s_mov_b64 s[86:87], s[82:83]
                                        ; implicit-def: $sgpr88_sgpr89
                                        ; implicit-def: $sgpr84_sgpr85
                                        ; implicit-def: $vgpr66
	s_and_saveexec_b64 s[60:61], vcc
	s_xor_b64 vcc, exec, s[60:61]
	s_cbranch_execz .LBB94_2052
; %bb.2049:                             ;   in Loop: Header=BB94_17 Depth=1
	v_cmp_eq_u16_sdwa s[84:85], v7, v36 src0_sel:BYTE_0 src1_sel:DWORD
	s_mov_b64 s[86:87], s[82:83]
                                        ; implicit-def: $vgpr66
	s_and_saveexec_b64 s[60:61], s[84:85]
	s_cbranch_execz .LBB94_2051
; %bb.2050:                             ;   in Loop: Header=BB94_17 Depth=1
	flat_load_ushort v14, v[14:15]
	s_or_b64 s[86:87], s[82:83], exec
	s_waitcnt vmcnt(0) lgkmcnt(0)
	v_lshlrev_b32_e32 v66, 16, v14
.LBB94_2051:                            ;   in Loop: Header=BB94_17 Depth=1
	s_or_b64 exec, exec, s[60:61]
	s_andn2_b64 s[60:61], s[82:83], exec
	s_and_b64 s[86:87], s[86:87], exec
	s_mov_b64 s[84:85], -1
	s_mov_b64 s[88:89], 0
	s_or_b64 s[86:87], s[60:61], s[86:87]
                                        ; implicit-def: $vgpr14_vgpr15
.LBB94_2052:                            ;   in Loop: Header=BB94_17 Depth=1
	s_andn2_saveexec_b64 s[90:91], vcc
	s_cbranch_execz .LBB94_2056
; %bb.2053:                             ;   in Loop: Header=BB94_17 Depth=1
	v_cmp_eq_u16_sdwa s[60:61], v7, v37 src0_sel:BYTE_0 src1_sel:DWORD
	s_mov_b64 vcc, s[86:87]
                                        ; implicit-def: $vgpr66
	s_and_saveexec_b64 s[92:93], s[60:61]
	s_cbranch_execz .LBB94_2055
; %bb.2054:                             ;   in Loop: Header=BB94_17 Depth=1
	flat_load_ubyte v14, v[14:15]
	s_waitcnt vmcnt(0) lgkmcnt(0)
	v_cmp_ne_u16_e32 vcc, 0, v14
	v_cndmask_b32_e64 v66, 0, 1.0, vcc
	s_or_b64 vcc, s[86:87], exec
.LBB94_2055:                            ;   in Loop: Header=BB94_17 Depth=1
	s_or_b64 exec, exec, s[92:93]
	s_andn2_b64 s[60:61], s[86:87], exec
	s_and_b64 vcc, vcc, exec
	s_andn2_b64 s[88:89], s[88:89], exec
	s_or_b64 s[84:85], s[84:85], exec
	s_or_b64 s[86:87], s[60:61], vcc
.LBB94_2056:                            ;   in Loop: Header=BB94_17 Depth=1
	s_or_b64 exec, exec, s[90:91]
	s_andn2_b64 s[60:61], s[82:83], exec
	s_and_b64 s[82:83], s[86:87], exec
	s_and_b64 s[88:89], s[88:89], exec
	s_and_b64 vcc, s[84:85], exec
	s_or_b64 s[82:83], s[60:61], s[82:83]
.LBB94_2057:                            ;   in Loop: Header=BB94_17 Depth=1
	s_or_b64 exec, exec, s[80:81]
	s_andn2_b64 s[60:61], s[68:69], exec
	s_and_b64 s[68:69], s[88:89], exec
	s_or_b64 s[68:69], s[60:61], s[68:69]
	s_andn2_b64 s[60:61], s[78:79], exec
	s_and_b64 vcc, vcc, exec
	s_or_b64 s[78:79], s[60:61], vcc
	s_andn2_b64 vcc, s[76:77], exec
	s_and_b64 s[60:61], s[82:83], exec
	s_or_b64 s[76:77], vcc, s[60:61]
.LBB94_2058:                            ;   in Loop: Header=BB94_17 Depth=1
	s_or_b64 exec, exec, s[66:67]
	s_and_b64 s[68:69], s[68:69], exec
	s_and_b64 s[66:67], s[78:79], exec
	s_and_b64 vcc, s[76:77], exec
                                        ; implicit-def: $vgpr14_vgpr15
	s_andn2_saveexec_b64 s[74:75], s[74:75]
	s_cbranch_execz .LBB94_1883
.LBB94_2059:                            ;   in Loop: Header=BB94_17 Depth=1
	v_cmp_gt_i16_sdwa s[60:61], v7, v38 src0_sel:BYTE_0 src1_sel:DWORD
                                        ; implicit-def: $vgpr66
	s_and_saveexec_b64 s[76:77], s[60:61]
	s_xor_b64 s[76:77], exec, s[76:77]
	s_cbranch_execz .LBB94_2081
; %bb.2060:                             ;   in Loop: Header=BB94_17 Depth=1
	v_cmp_gt_i16_sdwa s[60:61], v7, v39 src0_sel:BYTE_0 src1_sel:DWORD
                                        ; implicit-def: $vgpr66
	s_and_saveexec_b64 s[78:79], s[60:61]
	s_xor_b64 s[78:79], exec, s[78:79]
	s_cbranch_execz .LBB94_2070
; %bb.2061:                             ;   in Loop: Header=BB94_17 Depth=1
	;; [unrolled: 6-line block ×4, first 2 shown]
	flat_load_dwordx2 v[14:15], v[14:15]
	s_waitcnt vmcnt(0) lgkmcnt(0)
	v_cvt_f32_f64_e32 v66, v[14:15]
                                        ; implicit-def: $vgpr14_vgpr15
.LBB94_2064:                            ;   in Loop: Header=BB94_17 Depth=1
	s_andn2_saveexec_b64 s[60:61], s[60:61]
	s_cbranch_execz .LBB94_2066
; %bb.2065:                             ;   in Loop: Header=BB94_17 Depth=1
	flat_load_dword v66, v[14:15]
.LBB94_2066:                            ;   in Loop: Header=BB94_17 Depth=1
	s_or_b64 exec, exec, s[60:61]
                                        ; implicit-def: $vgpr14_vgpr15
.LBB94_2067:                            ;   in Loop: Header=BB94_17 Depth=1
	s_andn2_saveexec_b64 s[80:81], s[80:81]
	s_cbranch_execz .LBB94_2069
; %bb.2068:                             ;   in Loop: Header=BB94_17 Depth=1
	flat_load_dword v14, v[14:15]
	s_waitcnt vmcnt(0) lgkmcnt(0)
	v_cvt_f32_f16_e32 v66, v14
.LBB94_2069:                            ;   in Loop: Header=BB94_17 Depth=1
	s_or_b64 exec, exec, s[80:81]
                                        ; implicit-def: $vgpr14_vgpr15
.LBB94_2070:                            ;   in Loop: Header=BB94_17 Depth=1
	s_andn2_saveexec_b64 s[78:79], s[78:79]
	s_cbranch_execz .LBB94_2080
; %bb.2071:                             ;   in Loop: Header=BB94_17 Depth=1
	v_cmp_gt_i16_sdwa s[60:61], v7, v50 src0_sel:BYTE_0 src1_sel:DWORD
                                        ; implicit-def: $vgpr66
	s_and_saveexec_b64 s[80:81], s[60:61]
	s_xor_b64 s[80:81], exec, s[80:81]
	s_cbranch_execz .LBB94_2077
; %bb.2072:                             ;   in Loop: Header=BB94_17 Depth=1
	v_cmp_gt_i16_sdwa s[60:61], v7, v51 src0_sel:BYTE_0 src1_sel:DWORD
                                        ; implicit-def: $vgpr66
	s_and_saveexec_b64 s[82:83], s[60:61]
	s_xor_b64 s[60:61], exec, s[82:83]
	s_cbranch_execz .LBB94_2074
; %bb.2073:                             ;   in Loop: Header=BB94_17 Depth=1
	flat_load_dwordx2 v[14:15], v[14:15]
	s_waitcnt vmcnt(0) lgkmcnt(0)
	v_cvt_f32_f64_e32 v66, v[14:15]
                                        ; implicit-def: $vgpr14_vgpr15
.LBB94_2074:                            ;   in Loop: Header=BB94_17 Depth=1
	s_andn2_saveexec_b64 s[60:61], s[60:61]
	s_cbranch_execz .LBB94_2076
; %bb.2075:                             ;   in Loop: Header=BB94_17 Depth=1
	s_waitcnt vmcnt(0) lgkmcnt(0)
	flat_load_dword v66, v[14:15]
.LBB94_2076:                            ;   in Loop: Header=BB94_17 Depth=1
	s_or_b64 exec, exec, s[60:61]
                                        ; implicit-def: $vgpr14_vgpr15
.LBB94_2077:                            ;   in Loop: Header=BB94_17 Depth=1
	s_andn2_saveexec_b64 s[80:81], s[80:81]
	s_cbranch_execz .LBB94_2079
; %bb.2078:                             ;   in Loop: Header=BB94_17 Depth=1
	flat_load_ushort v14, v[14:15]
	s_waitcnt vmcnt(0) lgkmcnt(0)
	v_cvt_f32_f16_e32 v66, v14
.LBB94_2079:                            ;   in Loop: Header=BB94_17 Depth=1
	s_or_b64 exec, exec, s[80:81]
.LBB94_2080:                            ;   in Loop: Header=BB94_17 Depth=1
	s_or_b64 exec, exec, s[78:79]
                                        ; implicit-def: $vgpr14_vgpr15
.LBB94_2081:                            ;   in Loop: Header=BB94_17 Depth=1
	s_andn2_saveexec_b64 s[76:77], s[76:77]
	s_cbranch_execz .LBB94_2099
; %bb.2082:                             ;   in Loop: Header=BB94_17 Depth=1
	v_cmp_gt_i16_sdwa s[60:61], v7, v52 src0_sel:BYTE_0 src1_sel:DWORD
                                        ; implicit-def: $vgpr66
	s_and_saveexec_b64 s[78:79], s[60:61]
	s_xor_b64 s[78:79], exec, s[78:79]
	s_cbranch_execz .LBB94_2092
; %bb.2083:                             ;   in Loop: Header=BB94_17 Depth=1
	v_cmp_gt_i16_sdwa s[60:61], v7, v53 src0_sel:BYTE_0 src1_sel:DWORD
                                        ; implicit-def: $vgpr66
	s_and_saveexec_b64 s[80:81], s[60:61]
	s_xor_b64 s[80:81], exec, s[80:81]
	;; [unrolled: 6-line block ×3, first 2 shown]
	s_cbranch_execz .LBB94_2086
; %bb.2085:                             ;   in Loop: Header=BB94_17 Depth=1
	flat_load_dwordx2 v[14:15], v[14:15]
	s_waitcnt vmcnt(0) lgkmcnt(0)
	v_xor_b32_e32 v66, v14, v15
	v_ffbh_i32_e32 v65, v15
	v_ashrrev_i32_e32 v66, 31, v66
	v_add_u32_e32 v65, -1, v65
	v_add_u32_e32 v66, 32, v66
	v_min_u32_e32 v65, v65, v66
	v_lshlrev_b64 v[14:15], v65, v[14:15]
	v_min_u32_e32 v14, 1, v14
	v_or_b32_e32 v14, v15, v14
	v_cvt_f32_i32_e32 v14, v14
	v_sub_u32_e32 v15, 32, v65
	v_ldexp_f32 v66, v14, v15
                                        ; implicit-def: $vgpr14_vgpr15
.LBB94_2086:                            ;   in Loop: Header=BB94_17 Depth=1
	s_andn2_saveexec_b64 s[82:83], s[82:83]
	s_cbranch_execz .LBB94_2088
; %bb.2087:                             ;   in Loop: Header=BB94_17 Depth=1
	flat_load_dword v14, v[14:15]
	s_waitcnt vmcnt(0) lgkmcnt(0)
	v_cvt_f32_i32_e32 v66, v14
.LBB94_2088:                            ;   in Loop: Header=BB94_17 Depth=1
	s_or_b64 exec, exec, s[82:83]
                                        ; implicit-def: $vgpr14_vgpr15
.LBB94_2089:                            ;   in Loop: Header=BB94_17 Depth=1
	s_andn2_saveexec_b64 s[80:81], s[80:81]
	s_cbranch_execz .LBB94_2091
; %bb.2090:                             ;   in Loop: Header=BB94_17 Depth=1
	flat_load_sshort v14, v[14:15]
	s_waitcnt vmcnt(0) lgkmcnt(0)
	v_cvt_f32_i32_e32 v66, v14
.LBB94_2091:                            ;   in Loop: Header=BB94_17 Depth=1
	s_or_b64 exec, exec, s[80:81]
                                        ; implicit-def: $vgpr14_vgpr15
.LBB94_2092:                            ;   in Loop: Header=BB94_17 Depth=1
	s_andn2_saveexec_b64 s[78:79], s[78:79]
	s_cbranch_execz .LBB94_2098
; %bb.2093:                             ;   in Loop: Header=BB94_17 Depth=1
	v_cmp_gt_i16_sdwa s[60:61], v7, v16 src0_sel:BYTE_0 src1_sel:DWORD
                                        ; implicit-def: $vgpr66
	s_and_saveexec_b64 s[80:81], s[60:61]
	s_xor_b64 s[60:61], exec, s[80:81]
	s_cbranch_execz .LBB94_2095
; %bb.2094:                             ;   in Loop: Header=BB94_17 Depth=1
	flat_load_sbyte v14, v[14:15]
	s_waitcnt vmcnt(0) lgkmcnt(0)
	v_cvt_f32_i32_e32 v66, v14
                                        ; implicit-def: $vgpr14_vgpr15
.LBB94_2095:                            ;   in Loop: Header=BB94_17 Depth=1
	s_andn2_saveexec_b64 s[80:81], s[60:61]
	s_cbranch_execz .LBB94_2097
; %bb.2096:                             ;   in Loop: Header=BB94_17 Depth=1
	flat_load_ubyte v14, v[14:15]
	s_waitcnt vmcnt(0) lgkmcnt(0)
	v_cvt_f32_ubyte0_e32 v66, v14
.LBB94_2097:                            ;   in Loop: Header=BB94_17 Depth=1
	s_or_b64 exec, exec, s[80:81]
.LBB94_2098:                            ;   in Loop: Header=BB94_17 Depth=1
	s_or_b64 exec, exec, s[78:79]
.LBB94_2099:                            ;   in Loop: Header=BB94_17 Depth=1
	s_or_b64 exec, exec, s[76:77]
	s_andn2_b64 s[68:69], s[68:69], exec
	s_andn2_b64 s[66:67], s[66:67], exec
	s_or_b64 vcc, vcc, exec
	s_or_b64 exec, exec, s[74:75]
	s_mov_b64 s[76:77], 0
	s_and_saveexec_b64 s[74:75], vcc
	s_cbranch_execz .LBB94_2105
.LBB94_2100:                            ;   in Loop: Header=BB94_17 Depth=1
	v_mul_lo_u32 v14, v64, v10
	v_readlane_b32 s60, v44, 0
	v_add_co_u32_e32 v14, vcc, v4, v14
	v_add_u32_e32 v65, s60, v17
	v_addc_co_u32_e32 v15, vcc, 0, v5, vcc
	v_cmp_gt_i16_sdwa s[60:61], v8, v18 src0_sel:BYTE_0 src1_sel:DWORD
	s_mov_b64 s[80:81], 0
	s_waitcnt vmcnt(0) lgkmcnt(0)
	buffer_store_dword v66, v65, s[0:3], 0 offen offset:76
                                        ; implicit-def: $vcc
                                        ; implicit-def: $sgpr78_sgpr79
                                        ; implicit-def: $vgpr64
	s_and_saveexec_b64 s[76:77], s[60:61]
	s_xor_b64 s[76:77], exec, s[76:77]
	s_cbranch_execnz .LBB94_2127
; %bb.2101:                             ;   in Loop: Header=BB94_17 Depth=1
	s_andn2_saveexec_b64 s[76:77], s[76:77]
	s_cbranch_execnz .LBB94_2186
.LBB94_2102:                            ;   in Loop: Header=BB94_17 Depth=1
	s_or_b64 exec, exec, s[76:77]
	s_mov_b64 s[76:77], 0
	s_and_saveexec_b64 s[82:83], s[80:81]
	s_cbranch_execz .LBB94_2104
.LBB94_2103:                            ;   in Loop: Header=BB94_17 Depth=1
	s_mov_b64 s[76:77], exec
	v_add_u32_e32 v55, 0x200, v55
	s_andn2_b64 s[78:79], s[78:79], exec
	s_andn2_b64 vcc, vcc, exec
	s_waitcnt vmcnt(0) lgkmcnt(0)
	buffer_store_dword v64, v65, s[0:3], 0 offen offset:72
.LBB94_2104:                            ;   in Loop: Header=BB94_17 Depth=1
	s_or_b64 exec, exec, s[82:83]
	s_andn2_b64 s[60:61], s[68:69], exec
	s_and_b64 s[62:63], s[78:79], exec
	s_or_b64 s[68:69], s[60:61], s[62:63]
	s_andn2_b64 s[60:61], s[66:67], exec
	s_and_b64 vcc, vcc, exec
	s_or_b64 s[66:67], s[60:61], vcc
	s_and_b64 s[76:77], s[76:77], exec
.LBB94_2105:                            ;   in Loop: Header=BB94_17 Depth=1
	s_or_b64 exec, exec, s[74:75]
	s_and_b64 vcc, s[68:69], exec
	v_writelane_b32 v44, vcc_lo, 8
	v_writelane_b32 v44, vcc_hi, 9
	s_and_b64 s[62:63], s[66:67], exec
	s_orn2_b64 s[66:67], s[76:77], exec
.LBB94_2106:                            ;   in Loop: Header=BB94_17 Depth=1
	s_or_b64 exec, exec, s[70:71]
	s_mov_b64 vcc, exec
	v_writelane_b32 v44, vcc_lo, 6
	v_writelane_b32 v44, vcc_hi, 7
	s_and_b64 vcc, vcc, s[66:67]
	s_mov_b64 exec, vcc
	s_cbranch_execz .LBB94_7
; %bb.2107:                             ;   in Loop: Header=BB94_17 Depth=1
	v_writelane_b32 v44, s62, 10
	v_cmp_lt_i32_e32 vcc, v55, v6
	s_mov_b64 s[78:79], -1
	s_mov_b64 s[66:67], -1
	v_writelane_b32 v44, s63, 11
                                        ; implicit-def: $sgpr62_sgpr63
                                        ; implicit-def: $sgpr60_sgpr61
                                        ; kill: killed $sgpr60_sgpr61
	s_and_saveexec_b64 s[76:77], vcc
	s_cbranch_execz .LBB94_2333
; %bb.2108:                             ;   in Loop: Header=BB94_17 Depth=1
	v_readlane_b32 vcc_lo, v44, 1
	s_waitcnt vmcnt(0) lgkmcnt(0)
	v_add_u32_e32 v65, vcc_lo, v55
	v_mul_lo_u32 v14, v65, v9
	v_add_co_u32_e32 v14, vcc, v2, v14
	v_addc_co_u32_e32 v15, vcc, 0, v3, vcc
	v_cmp_gt_i16_sdwa s[60:61], v7, v18 src0_sel:BYTE_0 src1_sel:DWORD
	s_mov_b64 vcc, 0
                                        ; implicit-def: $sgpr72_sgpr73
                                        ; implicit-def: $sgpr74_sgpr75
                                        ; implicit-def: $vgpr66
	s_and_saveexec_b64 s[62:63], s[60:61]
	s_xor_b64 s[80:81], exec, s[62:63]
	s_cbranch_execnz .LBB94_2227
; %bb.2109:                             ;   in Loop: Header=BB94_17 Depth=1
	s_andn2_saveexec_b64 s[80:81], s[80:81]
	s_cbranch_execnz .LBB94_2286
.LBB94_2110:                            ;   in Loop: Header=BB94_17 Depth=1
	s_or_b64 exec, exec, s[80:81]
	s_mov_b64 s[66:67], 0
	s_and_saveexec_b64 s[80:81], vcc
	s_cbranch_execnz .LBB94_2327
	s_branch .LBB94_2332
.LBB94_2111:                            ;   in Loop: Header=BB94_17 Depth=1
	s_movk_i32 vcc_lo, 0x80
	v_cmp_eq_u16_e32 vcc, vcc_lo, v14
	s_mov_b64 s[62:63], -1
                                        ; implicit-def: $sgpr68
	s_and_saveexec_b64 s[66:67], vcc
; %bb.2112:                             ;   in Loop: Header=BB94_17 Depth=1
	s_mov_b32 s68, 0x7f800001
	s_xor_b64 s[62:63], exec, -1
; %bb.2113:                             ;   in Loop: Header=BB94_17 Depth=1
	s_or_b64 exec, exec, s[66:67]
	s_and_b64 s[62:63], s[62:63], exec
	s_or_saveexec_b64 s[64:65], s[64:65]
	v_mov_b32_e32 v64, s68
	s_xor_b64 exec, exec, s[64:65]
	s_cbranch_execz .LBB94_1030
.LBB94_2114:                            ;   in Loop: Header=BB94_17 Depth=1
	v_cmp_ne_u16_e32 vcc, 0, v14
	s_andn2_b64 s[62:63], s[62:63], exec
	s_and_b64 vcc, vcc, exec
	v_mov_b32_e32 v64, 0
	s_or_b64 s[62:63], s[62:63], vcc
	s_or_b64 exec, exec, s[64:65]
	s_and_saveexec_b64 s[64:65], s[62:63]
	s_cbranch_execnz .LBB94_1031
	s_branch .LBB94_1032
.LBB94_2115:                            ;   in Loop: Header=BB94_17 Depth=1
	s_movk_i32 vcc_lo, 0x80
	v_cmp_eq_u16_e32 vcc, vcc_lo, v14
	s_mov_b64 s[62:63], -1
                                        ; implicit-def: $sgpr68
	s_and_saveexec_b64 s[66:67], vcc
; %bb.2116:                             ;   in Loop: Header=BB94_17 Depth=1
	s_mov_b32 s68, 0x7f800001
	s_xor_b64 s[62:63], exec, -1
; %bb.2117:                             ;   in Loop: Header=BB94_17 Depth=1
	s_or_b64 exec, exec, s[66:67]
	s_and_b64 s[62:63], s[62:63], exec
	s_or_saveexec_b64 s[64:65], s[64:65]
	v_mov_b32_e32 v66, s68
	s_xor_b64 exec, exec, s[64:65]
	s_cbranch_execz .LBB94_1130
.LBB94_2118:                            ;   in Loop: Header=BB94_17 Depth=1
	v_cmp_ne_u16_e32 vcc, 0, v14
	s_andn2_b64 s[62:63], s[62:63], exec
	s_and_b64 vcc, vcc, exec
	v_mov_b32_e32 v66, 0
	s_or_b64 s[62:63], s[62:63], vcc
	s_or_b64 exec, exec, s[64:65]
	s_and_saveexec_b64 s[64:65], s[62:63]
	s_cbranch_execnz .LBB94_1131
	s_branch .LBB94_1132
.LBB94_2119:                            ;   in Loop: Header=BB94_17 Depth=1
	s_movk_i32 vcc_lo, 0x80
	v_cmp_eq_u16_e32 vcc, vcc_lo, v14
	s_mov_b64 s[66:67], -1
                                        ; implicit-def: $sgpr72
	s_and_saveexec_b64 s[70:71], vcc
; %bb.2120:                             ;   in Loop: Header=BB94_17 Depth=1
	s_mov_b32 s72, 0x7f800001
	s_xor_b64 s[66:67], exec, -1
; %bb.2121:                             ;   in Loop: Header=BB94_17 Depth=1
	s_or_b64 exec, exec, s[70:71]
	s_and_b64 s[66:67], s[66:67], exec
	s_or_saveexec_b64 s[68:69], s[68:69]
	v_mov_b32_e32 v64, s72
	s_xor_b64 exec, exec, s[68:69]
	s_cbranch_execz .LBB94_1246
.LBB94_2122:                            ;   in Loop: Header=BB94_17 Depth=1
	v_cmp_ne_u16_e32 vcc, 0, v14
	s_andn2_b64 s[66:67], s[66:67], exec
	s_and_b64 vcc, vcc, exec
	v_mov_b32_e32 v64, 0
	s_or_b64 s[66:67], s[66:67], vcc
	s_or_b64 exec, exec, s[68:69]
	s_and_saveexec_b64 s[68:69], s[66:67]
	s_cbranch_execnz .LBB94_1247
	s_branch .LBB94_1248
.LBB94_2123:                            ;   in Loop: Header=BB94_17 Depth=1
	s_movk_i32 vcc_lo, 0x80
	v_cmp_eq_u16_e32 vcc, vcc_lo, v14
	s_mov_b64 s[66:67], -1
                                        ; implicit-def: $sgpr72
	s_and_saveexec_b64 s[70:71], vcc
; %bb.2124:                             ;   in Loop: Header=BB94_17 Depth=1
	s_mov_b32 s72, 0x7f800001
	s_xor_b64 s[66:67], exec, -1
; %bb.2125:                             ;   in Loop: Header=BB94_17 Depth=1
	s_or_b64 exec, exec, s[70:71]
	s_and_b64 s[66:67], s[66:67], exec
	s_or_saveexec_b64 s[68:69], s[68:69]
	v_mov_b32_e32 v66, s72
	s_xor_b64 exec, exec, s[68:69]
	s_cbranch_execz .LBB94_1346
.LBB94_2126:                            ;   in Loop: Header=BB94_17 Depth=1
	v_cmp_ne_u16_e32 vcc, 0, v14
	s_andn2_b64 s[66:67], s[66:67], exec
	s_and_b64 vcc, vcc, exec
	v_mov_b32_e32 v66, 0
	s_or_b64 s[66:67], s[66:67], vcc
	s_or_b64 exec, exec, s[68:69]
	s_and_saveexec_b64 s[68:69], s[66:67]
	s_cbranch_execnz .LBB94_1347
	s_branch .LBB94_1348
.LBB94_2127:                            ;   in Loop: Header=BB94_17 Depth=1
	v_cmp_gt_i16_sdwa vcc, v8, v19 src0_sel:BYTE_0 src1_sel:DWORD
                                        ; implicit-def: $sgpr82_sgpr83
                                        ; implicit-def: $sgpr84_sgpr85
                                        ; implicit-def: $vgpr64
	s_and_saveexec_b64 s[60:61], vcc
	s_xor_b64 s[78:79], exec, s[60:61]
	s_cbranch_execz .LBB94_2159
; %bb.2128:                             ;   in Loop: Header=BB94_17 Depth=1
	v_cmp_gt_i16_sdwa vcc, v8, v20 src0_sel:BYTE_0 src1_sel:DWORD
                                        ; implicit-def: $sgpr82_sgpr83
                                        ; implicit-def: $sgpr86_sgpr87
                                        ; implicit-def: $vgpr64
	s_and_saveexec_b64 s[60:61], vcc
	s_xor_b64 s[84:85], exec, s[60:61]
	s_cbranch_execz .LBB94_2144
; %bb.2129:                             ;   in Loop: Header=BB94_17 Depth=1
	v_cmp_gt_i16_sdwa s[60:61], v8, v21 src0_sel:BYTE_0 src1_sel:DWORD
	s_mov_b64 s[88:89], 0
                                        ; implicit-def: $vcc
                                        ; implicit-def: $sgpr86_sgpr87
                                        ; implicit-def: $vgpr64
	s_and_saveexec_b64 s[80:81], s[60:61]
	s_xor_b64 s[80:81], exec, s[80:81]
	s_cbranch_execz .LBB94_2139
; %bb.2130:                             ;   in Loop: Header=BB94_17 Depth=1
	v_cmp_gt_i16_sdwa vcc, v8, v22 src0_sel:BYTE_0 src1_sel:DWORD
                                        ; implicit-def: $sgpr86_sgpr87
                                        ; implicit-def: $sgpr82_sgpr83
                                        ; implicit-def: $vgpr64
	s_and_saveexec_b64 s[60:61], vcc
	s_xor_b64 vcc, exec, s[60:61]
	s_cbranch_execz .LBB94_2134
; %bb.2131:                             ;   in Loop: Header=BB94_17 Depth=1
	v_cmp_eq_u16_sdwa s[60:61], v8, v23 src0_sel:BYTE_0 src1_sel:DWORD
	s_mov_b64 s[82:83], 0
                                        ; implicit-def: $vgpr64
	s_and_saveexec_b64 s[86:87], s[60:61]
	s_cbranch_execz .LBB94_2133
; %bb.2132:                             ;   in Loop: Header=BB94_17 Depth=1
	flat_load_dword v14, v[14:15]
	s_mov_b64 s[88:89], exec
	s_waitcnt vmcnt(0) lgkmcnt(0)
	v_lshlrev_b32_e32 v64, 16, v14
.LBB94_2133:                            ;   in Loop: Header=BB94_17 Depth=1
	s_or_b64 exec, exec, s[86:87]
	s_mov_b64 s[86:87], -1
	s_and_b64 s[88:89], s[88:89], exec
                                        ; implicit-def: $vgpr14_vgpr15
.LBB94_2134:                            ;   in Loop: Header=BB94_17 Depth=1
	s_andn2_saveexec_b64 s[90:91], vcc
	s_cbranch_execz .LBB94_2138
; %bb.2135:                             ;   in Loop: Header=BB94_17 Depth=1
	v_cmp_eq_u16_sdwa s[60:61], v8, v24 src0_sel:BYTE_0 src1_sel:DWORD
	s_mov_b64 vcc, s[88:89]
                                        ; implicit-def: $vgpr64
	s_and_saveexec_b64 s[92:93], s[60:61]
	s_cbranch_execz .LBB94_2137
; %bb.2136:                             ;   in Loop: Header=BB94_17 Depth=1
	flat_load_ubyte v14, v[14:15]
	s_movk_i32 vcc_lo, 0xff
	s_waitcnt vmcnt(0) lgkmcnt(0)
	v_lshlrev_b32_e32 v15, 23, v14
	v_cmp_ne_u32_e32 vcc, vcc_lo, v14
	v_cndmask_b32_e32 v15, v25, v15, vcc
	v_cmp_ne_u32_e32 vcc, 0, v14
	v_cndmask_b32_e32 v64, v26, v15, vcc
	s_or_b64 vcc, s[88:89], exec
.LBB94_2137:                            ;   in Loop: Header=BB94_17 Depth=1
	s_or_b64 exec, exec, s[92:93]
	s_andn2_b64 s[60:61], s[88:89], exec
	s_and_b64 vcc, vcc, exec
	s_or_b64 s[86:87], s[86:87], exec
	s_andn2_b64 s[82:83], s[82:83], exec
	s_or_b64 s[88:89], s[60:61], vcc
.LBB94_2138:                            ;   in Loop: Header=BB94_17 Depth=1
	s_or_b64 exec, exec, s[90:91]
	s_and_b64 s[86:87], s[86:87], exec
	s_and_b64 vcc, s[82:83], exec
	s_and_b64 s[88:89], s[88:89], exec
                                        ; implicit-def: $vgpr14_vgpr15
.LBB94_2139:                            ;   in Loop: Header=BB94_17 Depth=1
	s_andn2_saveexec_b64 s[80:81], s[80:81]
	s_cbranch_execz .LBB94_2143
; %bb.2140:                             ;   in Loop: Header=BB94_17 Depth=1
	v_cmp_eq_u16_sdwa s[60:61], v8, v27 src0_sel:BYTE_0 src1_sel:DWORD
	s_mov_b64 s[90:91], s[88:89]
                                        ; implicit-def: $vgpr64
	s_and_saveexec_b64 s[82:83], s[60:61]
	s_cbranch_execz .LBB94_2142
; %bb.2141:                             ;   in Loop: Header=BB94_17 Depth=1
	flat_load_dwordx2 v[14:15], v[14:15]
	s_or_b64 s[90:91], s[88:89], exec
	s_waitcnt vmcnt(0) lgkmcnt(0)
	v_ffbh_u32_e32 v64, v15
	v_min_u32_e32 v64, 32, v64
	v_lshlrev_b64 v[14:15], v64, v[14:15]
	v_min_u32_e32 v14, 1, v14
	v_or_b32_e32 v14, v15, v14
	v_cvt_f32_u32_e32 v14, v14
	v_sub_u32_e32 v15, 32, v64
	v_ldexp_f32 v64, v14, v15
.LBB94_2142:                            ;   in Loop: Header=BB94_17 Depth=1
	s_or_b64 exec, exec, s[82:83]
	s_andn2_b64 s[60:61], s[88:89], exec
	s_and_b64 s[82:83], s[90:91], exec
	s_or_b64 s[86:87], s[86:87], exec
	s_andn2_b64 vcc, vcc, exec
	s_or_b64 s[88:89], s[60:61], s[82:83]
.LBB94_2143:                            ;   in Loop: Header=BB94_17 Depth=1
	s_or_b64 exec, exec, s[80:81]
	s_and_b64 s[86:87], s[86:87], exec
	s_and_b64 s[82:83], vcc, exec
	s_and_b64 s[80:81], s[88:89], exec
                                        ; implicit-def: $vgpr14_vgpr15
.LBB94_2144:                            ;   in Loop: Header=BB94_17 Depth=1
	s_andn2_saveexec_b64 s[84:85], s[84:85]
	s_cbranch_execz .LBB94_2158
; %bb.2145:                             ;   in Loop: Header=BB94_17 Depth=1
	v_cmp_gt_i16_sdwa vcc, v8, v28 src0_sel:BYTE_0 src1_sel:DWORD
                                        ; implicit-def: $vgpr64
	s_and_saveexec_b64 s[60:61], vcc
	s_xor_b64 vcc, exec, s[60:61]
	s_cbranch_execz .LBB94_2151
; %bb.2146:                             ;   in Loop: Header=BB94_17 Depth=1
	v_cmp_gt_i16_sdwa s[60:61], v8, v29 src0_sel:BYTE_0 src1_sel:DWORD
                                        ; implicit-def: $vgpr64
	s_and_saveexec_b64 s[88:89], s[60:61]
	s_xor_b64 s[60:61], exec, s[88:89]
	s_cbranch_execz .LBB94_2148
; %bb.2147:                             ;   in Loop: Header=BB94_17 Depth=1
	flat_load_dword v14, v[14:15]
	s_waitcnt vmcnt(0) lgkmcnt(0)
	v_cvt_f32_u32_e32 v64, v14
                                        ; implicit-def: $vgpr14_vgpr15
.LBB94_2148:                            ;   in Loop: Header=BB94_17 Depth=1
	s_andn2_saveexec_b64 s[60:61], s[60:61]
	s_cbranch_execz .LBB94_2150
; %bb.2149:                             ;   in Loop: Header=BB94_17 Depth=1
	flat_load_ushort v14, v[14:15]
	s_waitcnt vmcnt(0) lgkmcnt(0)
	v_cvt_f32_u32_e32 v64, v14
.LBB94_2150:                            ;   in Loop: Header=BB94_17 Depth=1
	s_or_b64 exec, exec, s[60:61]
                                        ; implicit-def: $vgpr14_vgpr15
.LBB94_2151:                            ;   in Loop: Header=BB94_17 Depth=1
	s_andn2_saveexec_b64 s[88:89], vcc
	s_cbranch_execz .LBB94_2157
; %bb.2152:                             ;   in Loop: Header=BB94_17 Depth=1
	flat_load_ubyte v14, v[14:15]
	s_movk_i32 vcc_lo, 0x7f
	s_mov_b64 s[90:91], 0
                                        ; implicit-def: $sgpr94
	s_waitcnt vmcnt(0) lgkmcnt(0)
	v_cmp_lt_i16_e32 vcc, vcc_lo, v14
	s_and_saveexec_b64 s[60:61], vcc
	s_xor_b64 s[92:93], exec, s[60:61]
	s_cbranch_execnz .LBB94_3127
; %bb.2153:                             ;   in Loop: Header=BB94_17 Depth=1
	s_or_saveexec_b64 s[92:93], s[92:93]
	v_mov_b32_e32 v64, s94
	s_xor_b64 exec, exec, s[92:93]
	s_cbranch_execnz .LBB94_3130
.LBB94_2154:                            ;   in Loop: Header=BB94_17 Depth=1
	s_or_b64 exec, exec, s[92:93]
	s_and_saveexec_b64 s[92:93], s[90:91]
	s_cbranch_execz .LBB94_2156
.LBB94_2155:                            ;   in Loop: Header=BB94_17 Depth=1
	v_lshlrev_b32_e32 v15, 24, v14
	v_and_b32_e32 v14, 0xffff, v14
	v_and_b32_e32 v64, 7, v14
	v_ffbh_u32_e32 v67, v64
	v_min_u32_e32 v67, 32, v67
	v_subrev_u32_e32 v68, 28, v67
	v_bfe_u32 v66, v14, 3, 4
	v_lshlrev_b32_e32 v14, v68, v14
	v_sub_u32_e32 v67, 29, v67
	v_and_b32_e32 v14, 7, v14
	v_cmp_eq_u32_e32 vcc, 0, v66
	v_cndmask_b32_e32 v66, v66, v67, vcc
	v_cndmask_b32_e32 v14, v64, v14, vcc
	v_lshlrev_b32_e32 v14, 20, v14
	v_and_b32_e32 v15, 0x80000000, v15
	v_lshl_add_u32 v64, v66, 23, v30
	v_or3_b32 v64, v15, v64, v14
.LBB94_2156:                            ;   in Loop: Header=BB94_17 Depth=1
	s_or_b64 exec, exec, s[92:93]
.LBB94_2157:                            ;   in Loop: Header=BB94_17 Depth=1
	s_or_b64 exec, exec, s[88:89]
	s_andn2_b64 s[86:87], s[86:87], exec
	s_andn2_b64 s[82:83], s[82:83], exec
	s_or_b64 s[80:81], s[80:81], exec
.LBB94_2158:                            ;   in Loop: Header=BB94_17 Depth=1
	s_or_b64 exec, exec, s[84:85]
	s_and_b64 s[84:85], s[86:87], exec
	s_and_b64 s[82:83], s[82:83], exec
	;; [unrolled: 1-line block ×3, first 2 shown]
                                        ; implicit-def: $vgpr14_vgpr15
.LBB94_2159:                            ;   in Loop: Header=BB94_17 Depth=1
	s_andn2_saveexec_b64 s[78:79], s[78:79]
	s_cbranch_execz .LBB94_2185
; %bb.2160:                             ;   in Loop: Header=BB94_17 Depth=1
	v_cmp_gt_i16_sdwa vcc, v8, v31 src0_sel:BYTE_0 src1_sel:DWORD
	s_mov_b64 s[88:89], s[80:81]
                                        ; implicit-def: $vgpr64
	s_and_saveexec_b64 s[60:61], vcc
	s_xor_b64 s[86:87], exec, s[60:61]
	s_cbranch_execz .LBB94_2174
; %bb.2161:                             ;   in Loop: Header=BB94_17 Depth=1
	v_cmp_gt_i16_sdwa vcc, v8, v32 src0_sel:BYTE_0 src1_sel:DWORD
                                        ; implicit-def: $vgpr64
	s_and_saveexec_b64 s[60:61], vcc
	s_xor_b64 s[88:89], exec, s[60:61]
	s_cbranch_execz .LBB94_2171
; %bb.2162:                             ;   in Loop: Header=BB94_17 Depth=1
	v_cmp_gt_i16_sdwa vcc, v8, v33 src0_sel:BYTE_0 src1_sel:DWORD
                                        ; implicit-def: $vgpr64
	s_and_saveexec_b64 s[60:61], vcc
	s_xor_b64 s[90:91], exec, s[60:61]
	s_cbranch_execz .LBB94_2168
; %bb.2163:                             ;   in Loop: Header=BB94_17 Depth=1
	flat_load_ubyte v14, v[14:15]
	s_movk_i32 vcc_lo, 0x7f
	s_mov_b64 s[92:93], 0
                                        ; implicit-def: $sgpr96
	s_waitcnt vmcnt(0) lgkmcnt(0)
	v_cmp_lt_i16_e32 vcc, vcc_lo, v14
	s_and_saveexec_b64 s[60:61], vcc
	s_xor_b64 s[94:95], exec, s[60:61]
	s_cbranch_execnz .LBB94_3346
; %bb.2164:                             ;   in Loop: Header=BB94_17 Depth=1
	s_or_saveexec_b64 s[94:95], s[94:95]
	v_mov_b32_e32 v64, s96
	s_xor_b64 exec, exec, s[94:95]
	s_cbranch_execnz .LBB94_3349
.LBB94_2165:                            ;   in Loop: Header=BB94_17 Depth=1
	s_or_b64 exec, exec, s[94:95]
	s_and_saveexec_b64 s[94:95], s[92:93]
	s_cbranch_execz .LBB94_2167
.LBB94_2166:                            ;   in Loop: Header=BB94_17 Depth=1
	v_lshlrev_b32_e32 v15, 24, v14
	v_and_b32_e32 v14, 0xffff, v14
	v_and_b32_e32 v64, 3, v14
	v_ffbh_u32_e32 v67, v64
	v_min_u32_e32 v67, 32, v67
	v_subrev_u32_e32 v68, 29, v67
	v_bfe_u32 v66, v14, 2, 5
	v_lshlrev_b32_e32 v14, v68, v14
	v_sub_u32_e32 v67, 30, v67
	v_and_b32_e32 v14, 3, v14
	v_cmp_eq_u32_e32 vcc, 0, v66
	v_cndmask_b32_e32 v66, v66, v67, vcc
	v_cndmask_b32_e32 v14, v64, v14, vcc
	v_lshlrev_b32_e32 v14, 21, v14
	v_and_b32_e32 v15, 0x80000000, v15
	v_lshl_add_u32 v64, v66, 23, v34
	v_or3_b32 v64, v15, v64, v14
.LBB94_2167:                            ;   in Loop: Header=BB94_17 Depth=1
	s_or_b64 exec, exec, s[94:95]
                                        ; implicit-def: $vgpr14_vgpr15
.LBB94_2168:                            ;   in Loop: Header=BB94_17 Depth=1
	s_andn2_saveexec_b64 s[90:91], s[90:91]
	s_cbranch_execz .LBB94_2170
; %bb.2169:                             ;   in Loop: Header=BB94_17 Depth=1
	flat_load_ubyte v14, v[14:15]
	s_mov_b32 vcc_lo, 0x7f800000
	s_waitcnt vmcnt(0) lgkmcnt(0)
	v_lshlrev_b32_e32 v14, 24, v14
	v_and_b32_e32 v15, 0x7f000000, v14
	v_ffbh_u32_e32 v64, v15
	v_min_u32_e32 v64, 32, v64
	v_sub_u32_e64 v64, v64, 4 clamp
	v_lshlrev_b32_e32 v67, v64, v15
	v_lshlrev_b32_e32 v64, 23, v64
	v_lshrrev_b32_e32 v67, 4, v67
	v_add_u32_e32 v66, 0x1000000, v15
	v_sub_u32_e32 v64, v67, v64
	v_ashrrev_i32_e32 v66, 8, v66
	v_add_u32_e32 v64, 0x3c000000, v64
	v_and_or_b32 v64, v66, vcc_lo, v64
	v_cmp_ne_u32_e32 vcc, 0, v15
	v_cndmask_b32_e32 v15, 0, v64, vcc
	s_brev_b32 vcc_lo, 1
	v_and_or_b32 v64, v14, vcc_lo, v15
.LBB94_2170:                            ;   in Loop: Header=BB94_17 Depth=1
	s_or_b64 exec, exec, s[90:91]
                                        ; implicit-def: $vgpr14_vgpr15
.LBB94_2171:                            ;   in Loop: Header=BB94_17 Depth=1
	s_andn2_saveexec_b64 s[88:89], s[88:89]
	s_cbranch_execz .LBB94_2173
; %bb.2172:                             ;   in Loop: Header=BB94_17 Depth=1
	flat_load_ubyte v14, v[14:15]
	s_movk_i32 vcc_lo, 0x7f00
	s_waitcnt vmcnt(0) lgkmcnt(0)
	v_lshlrev_b16_e32 v15, 8, v14
	v_lshlrev_b32_e32 v14, 25, v14
	v_lshrrev_b32_e32 v64, 4, v14
	v_and_or_b32 v66, v15, vcc_lo, 0.5
	v_or_b32_e32 v64, 0x70000000, v64
	s_brev_b32 vcc_lo, 16
	v_add_f32_e32 v66, -0.5, v66
	v_mul_f32_e32 v64, 0x7800000, v64
	v_cmp_gt_u32_e32 vcc, vcc_lo, v14
	v_cndmask_b32_e32 v14, v64, v66, vcc
	v_bfe_i32 v15, v15, 0, 16
	s_brev_b32 vcc_lo, 1
	v_and_or_b32 v64, v15, vcc_lo, v14
.LBB94_2173:                            ;   in Loop: Header=BB94_17 Depth=1
	s_or_b64 exec, exec, s[88:89]
	s_or_b64 s[88:89], s[80:81], exec
                                        ; implicit-def: $vgpr14_vgpr15
.LBB94_2174:                            ;   in Loop: Header=BB94_17 Depth=1
	s_or_saveexec_b64 s[86:87], s[86:87]
                                        ; implicit-def: $vcc
                                        ; implicit-def: $sgpr94_sgpr95
	s_xor_b64 exec, exec, s[86:87]
	s_cbranch_execz .LBB94_2184
; %bb.2175:                             ;   in Loop: Header=BB94_17 Depth=1
	v_cmp_gt_i16_sdwa vcc, v8, v35 src0_sel:BYTE_0 src1_sel:DWORD
	s_mov_b64 s[92:93], s[88:89]
                                        ; implicit-def: $sgpr94_sgpr95
                                        ; implicit-def: $sgpr90_sgpr91
                                        ; implicit-def: $vgpr64
	s_and_saveexec_b64 s[60:61], vcc
	s_xor_b64 vcc, exec, s[60:61]
	s_cbranch_execz .LBB94_2179
; %bb.2176:                             ;   in Loop: Header=BB94_17 Depth=1
	v_cmp_eq_u16_sdwa s[90:91], v8, v36 src0_sel:BYTE_0 src1_sel:DWORD
	s_mov_b64 s[92:93], s[88:89]
                                        ; implicit-def: $vgpr64
	s_and_saveexec_b64 s[60:61], s[90:91]
	s_cbranch_execz .LBB94_2178
; %bb.2177:                             ;   in Loop: Header=BB94_17 Depth=1
	flat_load_ushort v14, v[14:15]
	s_or_b64 s[92:93], s[88:89], exec
	s_waitcnt vmcnt(0) lgkmcnt(0)
	v_lshlrev_b32_e32 v64, 16, v14
.LBB94_2178:                            ;   in Loop: Header=BB94_17 Depth=1
	s_or_b64 exec, exec, s[60:61]
	s_andn2_b64 s[60:61], s[88:89], exec
	s_and_b64 s[92:93], s[92:93], exec
	s_mov_b64 s[90:91], 0
	s_mov_b64 s[94:95], -1
	s_or_b64 s[92:93], s[60:61], s[92:93]
                                        ; implicit-def: $vgpr14_vgpr15
.LBB94_2179:                            ;   in Loop: Header=BB94_17 Depth=1
	s_andn2_saveexec_b64 s[96:97], vcc
	s_cbranch_execz .LBB94_2183
; %bb.2180:                             ;   in Loop: Header=BB94_17 Depth=1
	v_cmp_eq_u16_sdwa s[62:63], v8, v37 src0_sel:BYTE_0 src1_sel:DWORD
	s_mov_b64 vcc, s[92:93]
                                        ; implicit-def: $vgpr64
	s_and_saveexec_b64 s[60:61], s[62:63]
	s_cbranch_execz .LBB94_2182
; %bb.2181:                             ;   in Loop: Header=BB94_17 Depth=1
	flat_load_ubyte v14, v[14:15]
	s_waitcnt vmcnt(0) lgkmcnt(0)
	v_cmp_ne_u16_e32 vcc, 0, v14
	v_cndmask_b32_e64 v64, 0, 1.0, vcc
	s_or_b64 vcc, s[92:93], exec
.LBB94_2182:                            ;   in Loop: Header=BB94_17 Depth=1
	s_or_b64 exec, exec, s[60:61]
	s_andn2_b64 s[60:61], s[92:93], exec
	s_and_b64 vcc, vcc, exec
	s_or_b64 s[94:95], s[94:95], exec
	s_andn2_b64 s[90:91], s[90:91], exec
	s_or_b64 s[92:93], s[60:61], vcc
.LBB94_2183:                            ;   in Loop: Header=BB94_17 Depth=1
	s_or_b64 exec, exec, s[96:97]
	s_andn2_b64 s[60:61], s[88:89], exec
	s_and_b64 s[62:63], s[92:93], exec
	s_and_b64 s[94:95], s[94:95], exec
	s_and_b64 vcc, s[90:91], exec
	s_or_b64 s[88:89], s[60:61], s[62:63]
.LBB94_2184:                            ;   in Loop: Header=BB94_17 Depth=1
	s_or_b64 exec, exec, s[86:87]
	s_andn2_b64 s[60:61], s[84:85], exec
	s_and_b64 s[84:85], s[94:95], exec
	s_or_b64 s[84:85], s[60:61], s[84:85]
	s_andn2_b64 s[60:61], s[82:83], exec
	s_and_b64 vcc, vcc, exec
	s_or_b64 s[82:83], s[60:61], vcc
	s_andn2_b64 vcc, s[80:81], exec
	s_and_b64 s[60:61], s[88:89], exec
	s_or_b64 s[80:81], vcc, s[60:61]
.LBB94_2185:                            ;   in Loop: Header=BB94_17 Depth=1
	s_or_b64 exec, exec, s[78:79]
	s_and_b64 s[78:79], s[84:85], exec
	s_and_b64 vcc, s[82:83], exec
	s_and_b64 s[80:81], s[80:81], exec
                                        ; implicit-def: $vgpr14_vgpr15
	s_andn2_saveexec_b64 s[76:77], s[76:77]
	s_cbranch_execz .LBB94_2102
.LBB94_2186:                            ;   in Loop: Header=BB94_17 Depth=1
	v_cmp_gt_i16_sdwa s[60:61], v8, v38 src0_sel:BYTE_0 src1_sel:DWORD
                                        ; implicit-def: $vgpr64
	s_and_saveexec_b64 s[62:63], s[60:61]
	s_xor_b64 s[82:83], exec, s[62:63]
	s_cbranch_execz .LBB94_2208
; %bb.2187:                             ;   in Loop: Header=BB94_17 Depth=1
	v_cmp_gt_i16_sdwa s[60:61], v8, v39 src0_sel:BYTE_0 src1_sel:DWORD
                                        ; implicit-def: $vgpr64
	s_and_saveexec_b64 s[62:63], s[60:61]
	s_xor_b64 s[84:85], exec, s[62:63]
	s_cbranch_execz .LBB94_2197
; %bb.2188:                             ;   in Loop: Header=BB94_17 Depth=1
	;; [unrolled: 6-line block ×4, first 2 shown]
	flat_load_dwordx2 v[14:15], v[14:15]
	s_waitcnt vmcnt(0) lgkmcnt(0)
	v_cvt_f32_f64_e32 v64, v[14:15]
                                        ; implicit-def: $vgpr14_vgpr15
.LBB94_2191:                            ;   in Loop: Header=BB94_17 Depth=1
	s_andn2_saveexec_b64 s[60:61], s[60:61]
	s_cbranch_execz .LBB94_2193
; %bb.2192:                             ;   in Loop: Header=BB94_17 Depth=1
	flat_load_dword v64, v[14:15]
.LBB94_2193:                            ;   in Loop: Header=BB94_17 Depth=1
	s_or_b64 exec, exec, s[60:61]
                                        ; implicit-def: $vgpr14_vgpr15
.LBB94_2194:                            ;   in Loop: Header=BB94_17 Depth=1
	s_andn2_saveexec_b64 s[60:61], s[86:87]
	s_cbranch_execz .LBB94_2196
; %bb.2195:                             ;   in Loop: Header=BB94_17 Depth=1
	flat_load_dword v14, v[14:15]
	s_waitcnt vmcnt(0) lgkmcnt(0)
	v_cvt_f32_f16_e32 v64, v14
.LBB94_2196:                            ;   in Loop: Header=BB94_17 Depth=1
	s_or_b64 exec, exec, s[60:61]
                                        ; implicit-def: $vgpr14_vgpr15
.LBB94_2197:                            ;   in Loop: Header=BB94_17 Depth=1
	s_andn2_saveexec_b64 s[84:85], s[84:85]
	s_cbranch_execz .LBB94_2207
; %bb.2198:                             ;   in Loop: Header=BB94_17 Depth=1
	v_cmp_gt_i16_sdwa s[60:61], v8, v50 src0_sel:BYTE_0 src1_sel:DWORD
                                        ; implicit-def: $vgpr64
	s_and_saveexec_b64 s[62:63], s[60:61]
	s_xor_b64 s[86:87], exec, s[62:63]
	s_cbranch_execz .LBB94_2204
; %bb.2199:                             ;   in Loop: Header=BB94_17 Depth=1
	v_cmp_gt_i16_sdwa s[60:61], v8, v51 src0_sel:BYTE_0 src1_sel:DWORD
                                        ; implicit-def: $vgpr64
	s_and_saveexec_b64 s[62:63], s[60:61]
	s_xor_b64 s[60:61], exec, s[62:63]
	s_cbranch_execz .LBB94_2201
; %bb.2200:                             ;   in Loop: Header=BB94_17 Depth=1
	flat_load_dwordx2 v[14:15], v[14:15]
	s_waitcnt vmcnt(0) lgkmcnt(0)
	v_cvt_f32_f64_e32 v64, v[14:15]
                                        ; implicit-def: $vgpr14_vgpr15
.LBB94_2201:                            ;   in Loop: Header=BB94_17 Depth=1
	s_andn2_saveexec_b64 s[60:61], s[60:61]
	s_cbranch_execz .LBB94_2203
; %bb.2202:                             ;   in Loop: Header=BB94_17 Depth=1
	s_waitcnt vmcnt(0) lgkmcnt(0)
	flat_load_dword v64, v[14:15]
.LBB94_2203:                            ;   in Loop: Header=BB94_17 Depth=1
	s_or_b64 exec, exec, s[60:61]
                                        ; implicit-def: $vgpr14_vgpr15
.LBB94_2204:                            ;   in Loop: Header=BB94_17 Depth=1
	s_andn2_saveexec_b64 s[60:61], s[86:87]
	s_cbranch_execz .LBB94_2206
; %bb.2205:                             ;   in Loop: Header=BB94_17 Depth=1
	flat_load_ushort v14, v[14:15]
	s_waitcnt vmcnt(0) lgkmcnt(0)
	v_cvt_f32_f16_e32 v64, v14
.LBB94_2206:                            ;   in Loop: Header=BB94_17 Depth=1
	s_or_b64 exec, exec, s[60:61]
.LBB94_2207:                            ;   in Loop: Header=BB94_17 Depth=1
	s_or_b64 exec, exec, s[84:85]
                                        ; implicit-def: $vgpr14_vgpr15
.LBB94_2208:                            ;   in Loop: Header=BB94_17 Depth=1
	s_andn2_saveexec_b64 s[82:83], s[82:83]
	s_cbranch_execz .LBB94_2226
; %bb.2209:                             ;   in Loop: Header=BB94_17 Depth=1
	v_cmp_gt_i16_sdwa s[60:61], v8, v52 src0_sel:BYTE_0 src1_sel:DWORD
                                        ; implicit-def: $vgpr64
	s_and_saveexec_b64 s[62:63], s[60:61]
	s_xor_b64 s[84:85], exec, s[62:63]
	s_cbranch_execz .LBB94_2219
; %bb.2210:                             ;   in Loop: Header=BB94_17 Depth=1
	v_cmp_gt_i16_sdwa s[60:61], v8, v53 src0_sel:BYTE_0 src1_sel:DWORD
                                        ; implicit-def: $vgpr64
	s_and_saveexec_b64 s[62:63], s[60:61]
	s_xor_b64 s[86:87], exec, s[62:63]
	;; [unrolled: 6-line block ×3, first 2 shown]
	s_cbranch_execz .LBB94_2213
; %bb.2212:                             ;   in Loop: Header=BB94_17 Depth=1
	flat_load_dwordx2 v[14:15], v[14:15]
	s_waitcnt vmcnt(0) lgkmcnt(0)
	v_xor_b32_e32 v66, v14, v15
	v_ffbh_i32_e32 v64, v15
	v_ashrrev_i32_e32 v66, 31, v66
	v_add_u32_e32 v64, -1, v64
	v_add_u32_e32 v66, 32, v66
	v_min_u32_e32 v64, v64, v66
	v_lshlrev_b64 v[14:15], v64, v[14:15]
	v_min_u32_e32 v14, 1, v14
	v_or_b32_e32 v14, v15, v14
	v_cvt_f32_i32_e32 v14, v14
	v_sub_u32_e32 v15, 32, v64
	v_ldexp_f32 v64, v14, v15
                                        ; implicit-def: $vgpr14_vgpr15
.LBB94_2213:                            ;   in Loop: Header=BB94_17 Depth=1
	s_andn2_saveexec_b64 s[60:61], s[88:89]
	s_cbranch_execz .LBB94_2215
; %bb.2214:                             ;   in Loop: Header=BB94_17 Depth=1
	flat_load_dword v14, v[14:15]
	s_waitcnt vmcnt(0) lgkmcnt(0)
	v_cvt_f32_i32_e32 v64, v14
.LBB94_2215:                            ;   in Loop: Header=BB94_17 Depth=1
	s_or_b64 exec, exec, s[60:61]
                                        ; implicit-def: $vgpr14_vgpr15
.LBB94_2216:                            ;   in Loop: Header=BB94_17 Depth=1
	s_andn2_saveexec_b64 s[60:61], s[86:87]
	s_cbranch_execz .LBB94_2218
; %bb.2217:                             ;   in Loop: Header=BB94_17 Depth=1
	flat_load_sshort v14, v[14:15]
	s_waitcnt vmcnt(0) lgkmcnt(0)
	v_cvt_f32_i32_e32 v64, v14
.LBB94_2218:                            ;   in Loop: Header=BB94_17 Depth=1
	s_or_b64 exec, exec, s[60:61]
                                        ; implicit-def: $vgpr14_vgpr15
.LBB94_2219:                            ;   in Loop: Header=BB94_17 Depth=1
	s_andn2_saveexec_b64 s[84:85], s[84:85]
	s_cbranch_execz .LBB94_2225
; %bb.2220:                             ;   in Loop: Header=BB94_17 Depth=1
	v_cmp_gt_i16_sdwa s[60:61], v8, v16 src0_sel:BYTE_0 src1_sel:DWORD
                                        ; implicit-def: $vgpr64
	s_and_saveexec_b64 s[62:63], s[60:61]
	s_xor_b64 s[60:61], exec, s[62:63]
	s_cbranch_execz .LBB94_2222
; %bb.2221:                             ;   in Loop: Header=BB94_17 Depth=1
	flat_load_sbyte v14, v[14:15]
	s_waitcnt vmcnt(0) lgkmcnt(0)
	v_cvt_f32_i32_e32 v64, v14
                                        ; implicit-def: $vgpr14_vgpr15
.LBB94_2222:                            ;   in Loop: Header=BB94_17 Depth=1
	s_andn2_saveexec_b64 s[60:61], s[60:61]
	s_cbranch_execz .LBB94_2224
; %bb.2223:                             ;   in Loop: Header=BB94_17 Depth=1
	flat_load_ubyte v14, v[14:15]
	s_waitcnt vmcnt(0) lgkmcnt(0)
	v_cvt_f32_ubyte0_e32 v64, v14
.LBB94_2224:                            ;   in Loop: Header=BB94_17 Depth=1
	s_or_b64 exec, exec, s[60:61]
.LBB94_2225:                            ;   in Loop: Header=BB94_17 Depth=1
	s_or_b64 exec, exec, s[84:85]
.LBB94_2226:                            ;   in Loop: Header=BB94_17 Depth=1
	s_or_b64 exec, exec, s[82:83]
	s_andn2_b64 s[78:79], s[78:79], exec
	s_andn2_b64 vcc, vcc, exec
	s_or_b64 s[80:81], s[80:81], exec
	s_or_b64 exec, exec, s[76:77]
	s_mov_b64 s[76:77], 0
	s_and_saveexec_b64 s[82:83], s[80:81]
	s_cbranch_execnz .LBB94_2103
	s_branch .LBB94_2104
.LBB94_2227:                            ;   in Loop: Header=BB94_17 Depth=1
	v_cmp_gt_i16_sdwa vcc, v7, v19 src0_sel:BYTE_0 src1_sel:DWORD
	s_mov_b64 s[82:83], 0
                                        ; implicit-def: $sgpr84_sgpr85
                                        ; implicit-def: $sgpr74_sgpr75
                                        ; implicit-def: $vgpr66
	s_and_saveexec_b64 s[60:61], vcc
	s_xor_b64 s[72:73], exec, s[60:61]
	s_cbranch_execz .LBB94_2259
; %bb.2228:                             ;   in Loop: Header=BB94_17 Depth=1
	v_cmp_gt_i16_sdwa vcc, v7, v20 src0_sel:BYTE_0 src1_sel:DWORD
                                        ; implicit-def: $sgpr84_sgpr85
                                        ; implicit-def: $sgpr86_sgpr87
                                        ; implicit-def: $vgpr66
	s_and_saveexec_b64 s[60:61], vcc
	s_xor_b64 s[74:75], exec, s[60:61]
	s_cbranch_execz .LBB94_2244
; %bb.2229:                             ;   in Loop: Header=BB94_17 Depth=1
	v_cmp_gt_i16_sdwa s[60:61], v7, v21 src0_sel:BYTE_0 src1_sel:DWORD
	s_mov_b64 s[88:89], 0
                                        ; implicit-def: $vcc
                                        ; implicit-def: $sgpr84_sgpr85
                                        ; implicit-def: $vgpr66
	s_and_saveexec_b64 s[62:63], s[60:61]
	s_xor_b64 s[82:83], exec, s[62:63]
	s_cbranch_execz .LBB94_2239
; %bb.2230:                             ;   in Loop: Header=BB94_17 Depth=1
	v_cmp_gt_i16_sdwa vcc, v7, v22 src0_sel:BYTE_0 src1_sel:DWORD
	s_mov_b64 s[86:87], 0
                                        ; implicit-def: $sgpr84_sgpr85
                                        ; implicit-def: $sgpr88_sgpr89
                                        ; implicit-def: $vgpr66
	s_and_saveexec_b64 s[60:61], vcc
	s_xor_b64 vcc, exec, s[60:61]
	s_cbranch_execz .LBB94_2234
; %bb.2231:                             ;   in Loop: Header=BB94_17 Depth=1
	v_cmp_eq_u16_sdwa s[62:63], v7, v23 src0_sel:BYTE_0 src1_sel:DWORD
	s_mov_b64 s[84:85], 0
	s_mov_b64 s[66:67], 0
                                        ; implicit-def: $vgpr66
	s_and_saveexec_b64 s[60:61], s[62:63]
	s_cbranch_execz .LBB94_2233
; %bb.2232:                             ;   in Loop: Header=BB94_17 Depth=1
	flat_load_dword v14, v[14:15]
	s_mov_b64 s[66:67], exec
	s_waitcnt vmcnt(0) lgkmcnt(0)
	v_lshlrev_b32_e32 v66, 16, v14
.LBB94_2233:                            ;   in Loop: Header=BB94_17 Depth=1
	s_or_b64 exec, exec, s[60:61]
	s_mov_b64 s[88:89], -1
	s_and_b64 s[86:87], s[66:67], exec
                                        ; implicit-def: $vgpr14_vgpr15
.LBB94_2234:                            ;   in Loop: Header=BB94_17 Depth=1
	s_andn2_saveexec_b64 s[66:67], vcc
	s_cbranch_execz .LBB94_2238
; %bb.2235:                             ;   in Loop: Header=BB94_17 Depth=1
	v_cmp_eq_u16_sdwa s[60:61], v7, v24 src0_sel:BYTE_0 src1_sel:DWORD
	s_mov_b64 vcc, s[86:87]
                                        ; implicit-def: $vgpr66
	s_and_saveexec_b64 s[68:69], s[60:61]
	s_cbranch_execz .LBB94_2237
; %bb.2236:                             ;   in Loop: Header=BB94_17 Depth=1
	flat_load_ubyte v14, v[14:15]
	s_movk_i32 vcc_lo, 0xff
	s_waitcnt vmcnt(0) lgkmcnt(0)
	v_lshlrev_b32_e32 v15, 23, v14
	v_cmp_ne_u32_e32 vcc, vcc_lo, v14
	v_cndmask_b32_e32 v15, v25, v15, vcc
	v_cmp_ne_u32_e32 vcc, 0, v14
	v_cndmask_b32_e32 v66, v26, v15, vcc
	s_or_b64 vcc, s[86:87], exec
.LBB94_2237:                            ;   in Loop: Header=BB94_17 Depth=1
	s_or_b64 exec, exec, s[68:69]
	s_andn2_b64 s[60:61], s[86:87], exec
	s_and_b64 vcc, vcc, exec
	s_andn2_b64 s[84:85], s[84:85], exec
	s_or_b64 s[88:89], s[88:89], exec
	s_or_b64 s[86:87], s[60:61], vcc
.LBB94_2238:                            ;   in Loop: Header=BB94_17 Depth=1
	s_or_b64 exec, exec, s[66:67]
	s_and_b64 s[84:85], s[84:85], exec
	s_and_b64 vcc, s[88:89], exec
	s_and_b64 s[88:89], s[86:87], exec
                                        ; implicit-def: $vgpr14_vgpr15
.LBB94_2239:                            ;   in Loop: Header=BB94_17 Depth=1
	s_andn2_saveexec_b64 s[66:67], s[82:83]
	s_cbranch_execz .LBB94_2243
; %bb.2240:                             ;   in Loop: Header=BB94_17 Depth=1
	v_cmp_eq_u16_sdwa s[60:61], v7, v27 src0_sel:BYTE_0 src1_sel:DWORD
	s_mov_b64 s[70:71], s[88:89]
                                        ; implicit-def: $vgpr66
	s_and_saveexec_b64 s[68:69], s[60:61]
	s_cbranch_execz .LBB94_2242
; %bb.2241:                             ;   in Loop: Header=BB94_17 Depth=1
	flat_load_dwordx2 v[14:15], v[14:15]
	s_or_b64 s[70:71], s[88:89], exec
	s_waitcnt vmcnt(0) lgkmcnt(0)
	v_ffbh_u32_e32 v64, v15
	v_min_u32_e32 v64, 32, v64
	v_lshlrev_b64 v[14:15], v64, v[14:15]
	v_min_u32_e32 v14, 1, v14
	v_or_b32_e32 v14, v15, v14
	v_cvt_f32_u32_e32 v14, v14
	v_sub_u32_e32 v15, 32, v64
	v_ldexp_f32 v66, v14, v15
.LBB94_2242:                            ;   in Loop: Header=BB94_17 Depth=1
	s_or_b64 exec, exec, s[68:69]
	s_andn2_b64 s[60:61], s[88:89], exec
	s_and_b64 s[62:63], s[70:71], exec
	s_andn2_b64 s[84:85], s[84:85], exec
	s_or_b64 vcc, vcc, exec
	s_or_b64 s[88:89], s[60:61], s[62:63]
.LBB94_2243:                            ;   in Loop: Header=BB94_17 Depth=1
	s_or_b64 exec, exec, s[66:67]
	s_and_b64 s[86:87], s[84:85], exec
	s_and_b64 s[84:85], vcc, exec
	s_and_b64 s[82:83], s[88:89], exec
                                        ; implicit-def: $vgpr14_vgpr15
.LBB94_2244:                            ;   in Loop: Header=BB94_17 Depth=1
	s_andn2_saveexec_b64 s[74:75], s[74:75]
	s_cbranch_execz .LBB94_2258
; %bb.2245:                             ;   in Loop: Header=BB94_17 Depth=1
	v_cmp_gt_i16_sdwa vcc, v7, v28 src0_sel:BYTE_0 src1_sel:DWORD
                                        ; implicit-def: $vgpr66
	s_and_saveexec_b64 s[60:61], vcc
	s_xor_b64 vcc, exec, s[60:61]
	s_cbranch_execz .LBB94_2251
; %bb.2246:                             ;   in Loop: Header=BB94_17 Depth=1
	v_cmp_gt_i16_sdwa s[60:61], v7, v29 src0_sel:BYTE_0 src1_sel:DWORD
                                        ; implicit-def: $vgpr66
	s_and_saveexec_b64 s[62:63], s[60:61]
	s_xor_b64 s[60:61], exec, s[62:63]
	s_cbranch_execz .LBB94_2248
; %bb.2247:                             ;   in Loop: Header=BB94_17 Depth=1
	flat_load_dword v14, v[14:15]
	s_waitcnt vmcnt(0) lgkmcnt(0)
	v_cvt_f32_u32_e32 v66, v14
                                        ; implicit-def: $vgpr14_vgpr15
.LBB94_2248:                            ;   in Loop: Header=BB94_17 Depth=1
	s_andn2_saveexec_b64 s[60:61], s[60:61]
	s_cbranch_execz .LBB94_2250
; %bb.2249:                             ;   in Loop: Header=BB94_17 Depth=1
	flat_load_ushort v14, v[14:15]
	s_waitcnt vmcnt(0) lgkmcnt(0)
	v_cvt_f32_u32_e32 v66, v14
.LBB94_2250:                            ;   in Loop: Header=BB94_17 Depth=1
	s_or_b64 exec, exec, s[60:61]
                                        ; implicit-def: $vgpr14_vgpr15
.LBB94_2251:                            ;   in Loop: Header=BB94_17 Depth=1
	s_andn2_saveexec_b64 s[88:89], vcc
	s_cbranch_execz .LBB94_2257
; %bb.2252:                             ;   in Loop: Header=BB94_17 Depth=1
	flat_load_ubyte v14, v[14:15]
	s_movk_i32 vcc_lo, 0x7f
	s_mov_b64 s[66:67], 0
                                        ; implicit-def: $sgpr70
	s_waitcnt vmcnt(0) lgkmcnt(0)
	v_cmp_lt_i16_e32 vcc, vcc_lo, v14
	s_and_saveexec_b64 s[60:61], vcc
	s_xor_b64 s[68:69], exec, s[60:61]
	s_cbranch_execnz .LBB94_3131
; %bb.2253:                             ;   in Loop: Header=BB94_17 Depth=1
	s_or_saveexec_b64 s[68:69], s[68:69]
	v_mov_b32_e32 v66, s70
	s_xor_b64 exec, exec, s[68:69]
	s_cbranch_execnz .LBB94_3134
.LBB94_2254:                            ;   in Loop: Header=BB94_17 Depth=1
	s_or_b64 exec, exec, s[68:69]
	s_and_saveexec_b64 s[68:69], s[66:67]
	s_cbranch_execz .LBB94_2256
.LBB94_2255:                            ;   in Loop: Header=BB94_17 Depth=1
	v_lshlrev_b32_e32 v15, 24, v14
	v_and_b32_e32 v14, 0xffff, v14
	v_and_b32_e32 v64, 7, v14
	v_ffbh_u32_e32 v67, v64
	v_min_u32_e32 v67, 32, v67
	v_subrev_u32_e32 v68, 28, v67
	v_bfe_u32 v66, v14, 3, 4
	v_lshlrev_b32_e32 v14, v68, v14
	v_sub_u32_e32 v67, 29, v67
	v_and_b32_e32 v14, 7, v14
	v_cmp_eq_u32_e32 vcc, 0, v66
	v_cndmask_b32_e32 v66, v66, v67, vcc
	v_cndmask_b32_e32 v14, v64, v14, vcc
	v_lshlrev_b32_e32 v14, 20, v14
	v_and_b32_e32 v15, 0x80000000, v15
	v_lshl_add_u32 v64, v66, 23, v30
	v_or3_b32 v66, v15, v64, v14
.LBB94_2256:                            ;   in Loop: Header=BB94_17 Depth=1
	s_or_b64 exec, exec, s[68:69]
.LBB94_2257:                            ;   in Loop: Header=BB94_17 Depth=1
	s_or_b64 exec, exec, s[88:89]
	s_andn2_b64 s[86:87], s[86:87], exec
	s_andn2_b64 s[84:85], s[84:85], exec
	s_or_b64 s[82:83], s[82:83], exec
.LBB94_2258:                            ;   in Loop: Header=BB94_17 Depth=1
	s_or_b64 exec, exec, s[74:75]
	s_and_b64 s[74:75], s[86:87], exec
	s_and_b64 s[84:85], s[84:85], exec
	;; [unrolled: 1-line block ×3, first 2 shown]
                                        ; implicit-def: $vgpr14_vgpr15
.LBB94_2259:                            ;   in Loop: Header=BB94_17 Depth=1
	s_andn2_saveexec_b64 s[72:73], s[72:73]
	s_cbranch_execz .LBB94_2285
; %bb.2260:                             ;   in Loop: Header=BB94_17 Depth=1
	v_cmp_gt_i16_sdwa vcc, v7, v31 src0_sel:BYTE_0 src1_sel:DWORD
	s_mov_b64 s[88:89], s[82:83]
                                        ; implicit-def: $vgpr66
	s_and_saveexec_b64 s[60:61], vcc
	s_xor_b64 s[86:87], exec, s[60:61]
	s_cbranch_execz .LBB94_2274
; %bb.2261:                             ;   in Loop: Header=BB94_17 Depth=1
	v_cmp_gt_i16_sdwa vcc, v7, v32 src0_sel:BYTE_0 src1_sel:DWORD
                                        ; implicit-def: $vgpr66
	s_and_saveexec_b64 s[60:61], vcc
	s_xor_b64 s[88:89], exec, s[60:61]
	s_cbranch_execz .LBB94_2271
; %bb.2262:                             ;   in Loop: Header=BB94_17 Depth=1
	v_cmp_gt_i16_sdwa vcc, v7, v33 src0_sel:BYTE_0 src1_sel:DWORD
                                        ; implicit-def: $vgpr66
	s_and_saveexec_b64 s[60:61], vcc
	s_xor_b64 s[90:91], exec, s[60:61]
	s_cbranch_execz .LBB94_2268
; %bb.2263:                             ;   in Loop: Header=BB94_17 Depth=1
	flat_load_ubyte v14, v[14:15]
	s_movk_i32 vcc_lo, 0x7f
	s_mov_b64 s[66:67], 0
                                        ; implicit-def: $sgpr70
	s_waitcnt vmcnt(0) lgkmcnt(0)
	v_cmp_lt_i16_e32 vcc, vcc_lo, v14
	s_and_saveexec_b64 s[60:61], vcc
	s_xor_b64 s[68:69], exec, s[60:61]
	s_cbranch_execnz .LBB94_3350
; %bb.2264:                             ;   in Loop: Header=BB94_17 Depth=1
	s_or_saveexec_b64 s[68:69], s[68:69]
	v_mov_b32_e32 v66, s70
	s_xor_b64 exec, exec, s[68:69]
	s_cbranch_execnz .LBB94_3353
.LBB94_2265:                            ;   in Loop: Header=BB94_17 Depth=1
	s_or_b64 exec, exec, s[68:69]
	s_and_saveexec_b64 s[68:69], s[66:67]
	s_cbranch_execz .LBB94_2267
.LBB94_2266:                            ;   in Loop: Header=BB94_17 Depth=1
	v_lshlrev_b32_e32 v15, 24, v14
	v_and_b32_e32 v14, 0xffff, v14
	v_and_b32_e32 v64, 3, v14
	v_ffbh_u32_e32 v67, v64
	v_min_u32_e32 v67, 32, v67
	v_subrev_u32_e32 v68, 29, v67
	v_bfe_u32 v66, v14, 2, 5
	v_lshlrev_b32_e32 v14, v68, v14
	v_sub_u32_e32 v67, 30, v67
	v_and_b32_e32 v14, 3, v14
	v_cmp_eq_u32_e32 vcc, 0, v66
	v_cndmask_b32_e32 v66, v66, v67, vcc
	v_cndmask_b32_e32 v14, v64, v14, vcc
	v_lshlrev_b32_e32 v14, 21, v14
	v_and_b32_e32 v15, 0x80000000, v15
	v_lshl_add_u32 v64, v66, 23, v34
	v_or3_b32 v66, v15, v64, v14
.LBB94_2267:                            ;   in Loop: Header=BB94_17 Depth=1
	s_or_b64 exec, exec, s[68:69]
                                        ; implicit-def: $vgpr14_vgpr15
.LBB94_2268:                            ;   in Loop: Header=BB94_17 Depth=1
	s_andn2_saveexec_b64 s[66:67], s[90:91]
	s_cbranch_execz .LBB94_2270
; %bb.2269:                             ;   in Loop: Header=BB94_17 Depth=1
	flat_load_ubyte v14, v[14:15]
	s_mov_b32 vcc_lo, 0x7f800000
	s_waitcnt vmcnt(0) lgkmcnt(0)
	v_lshlrev_b32_e32 v14, 24, v14
	v_and_b32_e32 v15, 0x7f000000, v14
	v_ffbh_u32_e32 v64, v15
	v_min_u32_e32 v64, 32, v64
	v_sub_u32_e64 v64, v64, 4 clamp
	v_lshlrev_b32_e32 v67, v64, v15
	v_lshlrev_b32_e32 v64, 23, v64
	v_lshrrev_b32_e32 v67, 4, v67
	v_add_u32_e32 v66, 0x1000000, v15
	v_sub_u32_e32 v64, v67, v64
	v_ashrrev_i32_e32 v66, 8, v66
	v_add_u32_e32 v64, 0x3c000000, v64
	v_and_or_b32 v64, v66, vcc_lo, v64
	v_cmp_ne_u32_e32 vcc, 0, v15
	v_cndmask_b32_e32 v15, 0, v64, vcc
	s_brev_b32 vcc_lo, 1
	v_and_or_b32 v66, v14, vcc_lo, v15
.LBB94_2270:                            ;   in Loop: Header=BB94_17 Depth=1
	s_or_b64 exec, exec, s[66:67]
                                        ; implicit-def: $vgpr14_vgpr15
.LBB94_2271:                            ;   in Loop: Header=BB94_17 Depth=1
	s_andn2_saveexec_b64 s[66:67], s[88:89]
	s_cbranch_execz .LBB94_2273
; %bb.2272:                             ;   in Loop: Header=BB94_17 Depth=1
	flat_load_ubyte v14, v[14:15]
	s_movk_i32 vcc_lo, 0x7f00
	s_waitcnt vmcnt(0) lgkmcnt(0)
	v_lshlrev_b16_e32 v15, 8, v14
	v_lshlrev_b32_e32 v14, 25, v14
	v_lshrrev_b32_e32 v64, 4, v14
	v_and_or_b32 v66, v15, vcc_lo, 0.5
	v_or_b32_e32 v64, 0x70000000, v64
	s_brev_b32 vcc_lo, 16
	v_add_f32_e32 v66, -0.5, v66
	v_mul_f32_e32 v64, 0x7800000, v64
	v_cmp_gt_u32_e32 vcc, vcc_lo, v14
	v_cndmask_b32_e32 v14, v64, v66, vcc
	v_bfe_i32 v15, v15, 0, 16
	s_brev_b32 vcc_lo, 1
	v_and_or_b32 v66, v15, vcc_lo, v14
.LBB94_2273:                            ;   in Loop: Header=BB94_17 Depth=1
	s_or_b64 exec, exec, s[66:67]
	s_or_b64 s[88:89], s[82:83], exec
                                        ; implicit-def: $vgpr14_vgpr15
.LBB94_2274:                            ;   in Loop: Header=BB94_17 Depth=1
	s_or_saveexec_b64 s[86:87], s[86:87]
                                        ; implicit-def: $vcc
                                        ; implicit-def: $sgpr66_sgpr67
	s_xor_b64 exec, exec, s[86:87]
	s_cbranch_execz .LBB94_2284
; %bb.2275:                             ;   in Loop: Header=BB94_17 Depth=1
	v_cmp_gt_i16_sdwa vcc, v7, v35 src0_sel:BYTE_0 src1_sel:DWORD
	s_mov_b64 s[92:93], s[88:89]
                                        ; implicit-def: $sgpr66_sgpr67
                                        ; implicit-def: $sgpr90_sgpr91
                                        ; implicit-def: $vgpr66
	s_and_saveexec_b64 s[60:61], vcc
	s_xor_b64 vcc, exec, s[60:61]
	s_cbranch_execz .LBB94_2279
; %bb.2276:                             ;   in Loop: Header=BB94_17 Depth=1
	v_cmp_eq_u16_sdwa s[62:63], v7, v36 src0_sel:BYTE_0 src1_sel:DWORD
	s_mov_b64 s[68:69], s[88:89]
                                        ; implicit-def: $vgpr66
	s_and_saveexec_b64 s[60:61], s[62:63]
	s_cbranch_execz .LBB94_2278
; %bb.2277:                             ;   in Loop: Header=BB94_17 Depth=1
	flat_load_ushort v14, v[14:15]
	s_or_b64 s[68:69], s[88:89], exec
	s_waitcnt vmcnt(0) lgkmcnt(0)
	v_lshlrev_b32_e32 v66, 16, v14
.LBB94_2278:                            ;   in Loop: Header=BB94_17 Depth=1
	s_or_b64 exec, exec, s[60:61]
	s_andn2_b64 s[60:61], s[88:89], exec
	s_and_b64 s[62:63], s[68:69], exec
	s_mov_b64 s[90:91], -1
	s_mov_b64 s[66:67], 0
	s_or_b64 s[92:93], s[60:61], s[62:63]
                                        ; implicit-def: $vgpr14_vgpr15
.LBB94_2279:                            ;   in Loop: Header=BB94_17 Depth=1
	s_andn2_saveexec_b64 s[68:69], vcc
	s_cbranch_execz .LBB94_2283
; %bb.2280:                             ;   in Loop: Header=BB94_17 Depth=1
	v_cmp_eq_u16_sdwa s[62:63], v7, v37 src0_sel:BYTE_0 src1_sel:DWORD
	s_mov_b64 vcc, s[92:93]
                                        ; implicit-def: $vgpr66
	s_and_saveexec_b64 s[60:61], s[62:63]
	s_cbranch_execz .LBB94_2282
; %bb.2281:                             ;   in Loop: Header=BB94_17 Depth=1
	flat_load_ubyte v14, v[14:15]
	s_waitcnt vmcnt(0) lgkmcnt(0)
	v_cmp_ne_u16_e32 vcc, 0, v14
	v_cndmask_b32_e64 v66, 0, 1.0, vcc
	s_or_b64 vcc, s[92:93], exec
.LBB94_2282:                            ;   in Loop: Header=BB94_17 Depth=1
	s_or_b64 exec, exec, s[60:61]
	s_andn2_b64 s[60:61], s[92:93], exec
	s_and_b64 vcc, vcc, exec
	s_andn2_b64 s[66:67], s[66:67], exec
	s_or_b64 s[90:91], s[90:91], exec
	s_or_b64 s[92:93], s[60:61], vcc
.LBB94_2283:                            ;   in Loop: Header=BB94_17 Depth=1
	s_or_b64 exec, exec, s[68:69]
	s_andn2_b64 s[60:61], s[88:89], exec
	s_and_b64 s[62:63], s[92:93], exec
	s_and_b64 s[66:67], s[66:67], exec
	s_and_b64 vcc, s[90:91], exec
	s_or_b64 s[88:89], s[60:61], s[62:63]
.LBB94_2284:                            ;   in Loop: Header=BB94_17 Depth=1
	s_or_b64 exec, exec, s[86:87]
	s_andn2_b64 s[60:61], s[74:75], exec
	s_and_b64 s[62:63], s[66:67], exec
	s_or_b64 s[74:75], s[60:61], s[62:63]
	s_andn2_b64 s[60:61], s[84:85], exec
	s_and_b64 vcc, vcc, exec
	s_or_b64 s[84:85], s[60:61], vcc
	s_andn2_b64 vcc, s[82:83], exec
	s_and_b64 s[60:61], s[88:89], exec
	s_or_b64 s[82:83], vcc, s[60:61]
.LBB94_2285:                            ;   in Loop: Header=BB94_17 Depth=1
	s_or_b64 exec, exec, s[72:73]
	s_and_b64 s[74:75], s[74:75], exec
	s_and_b64 s[72:73], s[84:85], exec
	s_and_b64 vcc, s[82:83], exec
                                        ; implicit-def: $vgpr14_vgpr15
	s_andn2_saveexec_b64 s[80:81], s[80:81]
	s_cbranch_execz .LBB94_2110
.LBB94_2286:                            ;   in Loop: Header=BB94_17 Depth=1
	v_cmp_gt_i16_sdwa s[60:61], v7, v38 src0_sel:BYTE_0 src1_sel:DWORD
                                        ; implicit-def: $vgpr66
	s_and_saveexec_b64 s[62:63], s[60:61]
	s_xor_b64 s[82:83], exec, s[62:63]
	s_cbranch_execz .LBB94_2308
; %bb.2287:                             ;   in Loop: Header=BB94_17 Depth=1
	v_cmp_gt_i16_sdwa s[60:61], v7, v39 src0_sel:BYTE_0 src1_sel:DWORD
                                        ; implicit-def: $vgpr66
	s_and_saveexec_b64 s[62:63], s[60:61]
	s_xor_b64 s[66:67], exec, s[62:63]
	s_cbranch_execz .LBB94_2297
; %bb.2288:                             ;   in Loop: Header=BB94_17 Depth=1
	v_cmp_gt_i16_sdwa s[60:61], v7, v48 src0_sel:BYTE_0 src1_sel:DWORD
                                        ; implicit-def: $vgpr66
	s_and_saveexec_b64 s[62:63], s[60:61]
	s_xor_b64 s[68:69], exec, s[62:63]
	s_cbranch_execz .LBB94_2294
; %bb.2289:                             ;   in Loop: Header=BB94_17 Depth=1
	v_cmp_gt_i16_sdwa s[60:61], v7, v49 src0_sel:BYTE_0 src1_sel:DWORD
                                        ; implicit-def: $vgpr66
	s_and_saveexec_b64 s[62:63], s[60:61]
	s_xor_b64 s[60:61], exec, s[62:63]
	s_cbranch_execz .LBB94_2291
; %bb.2290:                             ;   in Loop: Header=BB94_17 Depth=1
	flat_load_dwordx2 v[14:15], v[14:15]
	s_waitcnt vmcnt(0) lgkmcnt(0)
	v_cvt_f32_f64_e32 v66, v[14:15]
                                        ; implicit-def: $vgpr14_vgpr15
.LBB94_2291:                            ;   in Loop: Header=BB94_17 Depth=1
	s_andn2_saveexec_b64 s[60:61], s[60:61]
	s_cbranch_execz .LBB94_2293
; %bb.2292:                             ;   in Loop: Header=BB94_17 Depth=1
	s_waitcnt vmcnt(0) lgkmcnt(0)
	flat_load_dword v66, v[14:15]
.LBB94_2293:                            ;   in Loop: Header=BB94_17 Depth=1
	s_or_b64 exec, exec, s[60:61]
                                        ; implicit-def: $vgpr14_vgpr15
.LBB94_2294:                            ;   in Loop: Header=BB94_17 Depth=1
	s_andn2_saveexec_b64 s[60:61], s[68:69]
	s_cbranch_execz .LBB94_2296
; %bb.2295:                             ;   in Loop: Header=BB94_17 Depth=1
	flat_load_dword v14, v[14:15]
	s_waitcnt vmcnt(0) lgkmcnt(0)
	v_cvt_f32_f16_e32 v66, v14
.LBB94_2296:                            ;   in Loop: Header=BB94_17 Depth=1
	s_or_b64 exec, exec, s[60:61]
                                        ; implicit-def: $vgpr14_vgpr15
.LBB94_2297:                            ;   in Loop: Header=BB94_17 Depth=1
	s_andn2_saveexec_b64 s[66:67], s[66:67]
	s_cbranch_execz .LBB94_2307
; %bb.2298:                             ;   in Loop: Header=BB94_17 Depth=1
	v_cmp_gt_i16_sdwa s[60:61], v7, v50 src0_sel:BYTE_0 src1_sel:DWORD
                                        ; implicit-def: $vgpr66
	s_and_saveexec_b64 s[62:63], s[60:61]
	s_xor_b64 s[68:69], exec, s[62:63]
	s_cbranch_execz .LBB94_2304
; %bb.2299:                             ;   in Loop: Header=BB94_17 Depth=1
	v_cmp_gt_i16_sdwa s[60:61], v7, v51 src0_sel:BYTE_0 src1_sel:DWORD
                                        ; implicit-def: $vgpr66
	s_and_saveexec_b64 s[62:63], s[60:61]
	s_xor_b64 s[60:61], exec, s[62:63]
	s_cbranch_execz .LBB94_2301
; %bb.2300:                             ;   in Loop: Header=BB94_17 Depth=1
	flat_load_dwordx2 v[14:15], v[14:15]
	s_waitcnt vmcnt(0) lgkmcnt(0)
	v_cvt_f32_f64_e32 v66, v[14:15]
                                        ; implicit-def: $vgpr14_vgpr15
.LBB94_2301:                            ;   in Loop: Header=BB94_17 Depth=1
	s_andn2_saveexec_b64 s[60:61], s[60:61]
	s_cbranch_execz .LBB94_2303
; %bb.2302:                             ;   in Loop: Header=BB94_17 Depth=1
	s_waitcnt vmcnt(0) lgkmcnt(0)
	flat_load_dword v66, v[14:15]
.LBB94_2303:                            ;   in Loop: Header=BB94_17 Depth=1
	s_or_b64 exec, exec, s[60:61]
                                        ; implicit-def: $vgpr14_vgpr15
.LBB94_2304:                            ;   in Loop: Header=BB94_17 Depth=1
	s_andn2_saveexec_b64 s[60:61], s[68:69]
	s_cbranch_execz .LBB94_2306
; %bb.2305:                             ;   in Loop: Header=BB94_17 Depth=1
	flat_load_ushort v14, v[14:15]
	s_waitcnt vmcnt(0) lgkmcnt(0)
	v_cvt_f32_f16_e32 v66, v14
.LBB94_2306:                            ;   in Loop: Header=BB94_17 Depth=1
	s_or_b64 exec, exec, s[60:61]
.LBB94_2307:                            ;   in Loop: Header=BB94_17 Depth=1
	s_or_b64 exec, exec, s[66:67]
                                        ; implicit-def: $vgpr14_vgpr15
.LBB94_2308:                            ;   in Loop: Header=BB94_17 Depth=1
	s_andn2_saveexec_b64 s[82:83], s[82:83]
	s_cbranch_execz .LBB94_2326
; %bb.2309:                             ;   in Loop: Header=BB94_17 Depth=1
	v_cmp_gt_i16_sdwa s[60:61], v7, v52 src0_sel:BYTE_0 src1_sel:DWORD
                                        ; implicit-def: $vgpr66
	s_and_saveexec_b64 s[62:63], s[60:61]
	s_xor_b64 s[84:85], exec, s[62:63]
	s_cbranch_execz .LBB94_2319
; %bb.2310:                             ;   in Loop: Header=BB94_17 Depth=1
	v_cmp_gt_i16_sdwa s[60:61], v7, v53 src0_sel:BYTE_0 src1_sel:DWORD
                                        ; implicit-def: $vgpr66
	s_and_saveexec_b64 s[62:63], s[60:61]
	s_xor_b64 s[66:67], exec, s[62:63]
	;; [unrolled: 6-line block ×3, first 2 shown]
	s_cbranch_execz .LBB94_2313
; %bb.2312:                             ;   in Loop: Header=BB94_17 Depth=1
	flat_load_dwordx2 v[14:15], v[14:15]
	s_waitcnt vmcnt(0) lgkmcnt(0)
	v_xor_b32_e32 v66, v14, v15
	v_ffbh_i32_e32 v64, v15
	v_ashrrev_i32_e32 v66, 31, v66
	v_add_u32_e32 v64, -1, v64
	v_add_u32_e32 v66, 32, v66
	v_min_u32_e32 v64, v64, v66
	v_lshlrev_b64 v[14:15], v64, v[14:15]
	v_min_u32_e32 v14, 1, v14
	v_or_b32_e32 v14, v15, v14
	v_cvt_f32_i32_e32 v14, v14
	v_sub_u32_e32 v15, 32, v64
	v_ldexp_f32 v66, v14, v15
                                        ; implicit-def: $vgpr14_vgpr15
.LBB94_2313:                            ;   in Loop: Header=BB94_17 Depth=1
	s_andn2_saveexec_b64 s[60:61], s[68:69]
	s_cbranch_execz .LBB94_2315
; %bb.2314:                             ;   in Loop: Header=BB94_17 Depth=1
	flat_load_dword v14, v[14:15]
	s_waitcnt vmcnt(0) lgkmcnt(0)
	v_cvt_f32_i32_e32 v66, v14
.LBB94_2315:                            ;   in Loop: Header=BB94_17 Depth=1
	s_or_b64 exec, exec, s[60:61]
                                        ; implicit-def: $vgpr14_vgpr15
.LBB94_2316:                            ;   in Loop: Header=BB94_17 Depth=1
	s_andn2_saveexec_b64 s[60:61], s[66:67]
	s_cbranch_execz .LBB94_2318
; %bb.2317:                             ;   in Loop: Header=BB94_17 Depth=1
	flat_load_sshort v14, v[14:15]
	s_waitcnt vmcnt(0) lgkmcnt(0)
	v_cvt_f32_i32_e32 v66, v14
.LBB94_2318:                            ;   in Loop: Header=BB94_17 Depth=1
	s_or_b64 exec, exec, s[60:61]
                                        ; implicit-def: $vgpr14_vgpr15
.LBB94_2319:                            ;   in Loop: Header=BB94_17 Depth=1
	s_andn2_saveexec_b64 s[66:67], s[84:85]
	s_cbranch_execz .LBB94_2325
; %bb.2320:                             ;   in Loop: Header=BB94_17 Depth=1
	v_cmp_gt_i16_sdwa s[60:61], v7, v16 src0_sel:BYTE_0 src1_sel:DWORD
                                        ; implicit-def: $vgpr66
	s_and_saveexec_b64 s[62:63], s[60:61]
	s_xor_b64 s[60:61], exec, s[62:63]
	s_cbranch_execz .LBB94_2322
; %bb.2321:                             ;   in Loop: Header=BB94_17 Depth=1
	flat_load_sbyte v14, v[14:15]
	s_waitcnt vmcnt(0) lgkmcnt(0)
	v_cvt_f32_i32_e32 v66, v14
                                        ; implicit-def: $vgpr14_vgpr15
.LBB94_2322:                            ;   in Loop: Header=BB94_17 Depth=1
	s_andn2_saveexec_b64 s[60:61], s[60:61]
	s_cbranch_execz .LBB94_2324
; %bb.2323:                             ;   in Loop: Header=BB94_17 Depth=1
	flat_load_ubyte v14, v[14:15]
	s_waitcnt vmcnt(0) lgkmcnt(0)
	v_cvt_f32_ubyte0_e32 v66, v14
.LBB94_2324:                            ;   in Loop: Header=BB94_17 Depth=1
	s_or_b64 exec, exec, s[60:61]
.LBB94_2325:                            ;   in Loop: Header=BB94_17 Depth=1
	s_or_b64 exec, exec, s[66:67]
.LBB94_2326:                            ;   in Loop: Header=BB94_17 Depth=1
	s_or_b64 exec, exec, s[82:83]
	s_andn2_b64 s[74:75], s[74:75], exec
	s_andn2_b64 s[72:73], s[72:73], exec
	s_or_b64 vcc, vcc, exec
	s_or_b64 exec, exec, s[80:81]
	s_mov_b64 s[66:67], 0
	s_and_saveexec_b64 s[80:81], vcc
	s_cbranch_execz .LBB94_2332
.LBB94_2327:                            ;   in Loop: Header=BB94_17 Depth=1
	v_mul_lo_u32 v14, v65, v10
	v_readlane_b32 s60, v44, 0
	v_add_co_u32_e32 v14, vcc, v4, v14
	s_waitcnt vmcnt(0) lgkmcnt(0)
	v_add_u32_e32 v64, s60, v17
	v_addc_co_u32_e32 v15, vcc, 0, v5, vcc
	v_cmp_gt_i16_sdwa s[60:61], v8, v18 src0_sel:BYTE_0 src1_sel:DWORD
	s_mov_b64 s[86:87], 0
	buffer_store_dword v66, v64, s[0:3], 0 offen offset:84
                                        ; implicit-def: $vcc
                                        ; implicit-def: $sgpr84_sgpr85
                                        ; implicit-def: $vgpr65
	s_and_saveexec_b64 s[62:63], s[60:61]
	s_xor_b64 s[82:83], exec, s[62:63]
	s_cbranch_execnz .LBB94_2354
; %bb.2328:                             ;   in Loop: Header=BB94_17 Depth=1
	s_andn2_saveexec_b64 s[82:83], s[82:83]
	s_cbranch_execnz .LBB94_2413
.LBB94_2329:                            ;   in Loop: Header=BB94_17 Depth=1
	s_or_b64 exec, exec, s[82:83]
	s_mov_b64 s[66:67], 0
	s_and_saveexec_b64 s[68:69], s[86:87]
	s_cbranch_execz .LBB94_2331
.LBB94_2330:                            ;   in Loop: Header=BB94_17 Depth=1
	s_mov_b64 s[66:67], exec
	v_add_u32_e32 v55, 0x200, v55
	s_andn2_b64 s[84:85], s[84:85], exec
	s_andn2_b64 vcc, vcc, exec
	s_waitcnt vmcnt(0) lgkmcnt(0)
	buffer_store_dword v65, v64, s[0:3], 0 offen offset:80
.LBB94_2331:                            ;   in Loop: Header=BB94_17 Depth=1
	s_or_b64 exec, exec, s[68:69]
	s_andn2_b64 s[60:61], s[74:75], exec
	s_and_b64 s[62:63], s[84:85], exec
	s_or_b64 s[74:75], s[60:61], s[62:63]
	s_andn2_b64 s[60:61], s[72:73], exec
	s_and_b64 vcc, vcc, exec
	s_or_b64 s[72:73], s[60:61], vcc
	s_and_b64 s[66:67], s[66:67], exec
.LBB94_2332:                            ;   in Loop: Header=BB94_17 Depth=1
	s_or_b64 exec, exec, s[80:81]
	s_and_b64 vcc, s[74:75], exec
	v_writelane_b32 v44, vcc_lo, 14
	v_writelane_b32 v44, vcc_hi, 15
	s_and_b64 s[62:63], s[72:73], exec
	s_orn2_b64 s[66:67], s[66:67], exec
.LBB94_2333:                            ;   in Loop: Header=BB94_17 Depth=1
	s_or_b64 exec, exec, s[76:77]
	s_mov_b64 vcc, exec
	v_writelane_b32 v44, vcc_lo, 12
	v_writelane_b32 v44, vcc_hi, 13
	s_and_b64 vcc, vcc, s[66:67]
	s_mov_b64 exec, vcc
	s_cbranch_execz .LBB94_6
; %bb.2334:                             ;   in Loop: Header=BB94_17 Depth=1
	v_writelane_b32 v44, s62, 16
	v_cmp_lt_i32_e32 vcc, v55, v6
	s_mov_b64 s[84:85], -1
	s_mov_b64 s[66:67], -1
	v_writelane_b32 v44, s63, 17
                                        ; implicit-def: $sgpr62_sgpr63
                                        ; implicit-def: $sgpr60_sgpr61
                                        ; kill: killed $sgpr60_sgpr61
	s_and_saveexec_b64 s[82:83], vcc
	s_cbranch_execz .LBB94_2560
; %bb.2335:                             ;   in Loop: Header=BB94_17 Depth=1
	v_readlane_b32 vcc_lo, v44, 1
	s_waitcnt vmcnt(0) lgkmcnt(0)
	v_add_u32_e32 v65, vcc_lo, v55
	v_mul_lo_u32 v14, v65, v9
	v_add_co_u32_e32 v14, vcc, v2, v14
	v_addc_co_u32_e32 v15, vcc, 0, v3, vcc
	v_cmp_gt_i16_sdwa s[60:61], v7, v18 src0_sel:BYTE_0 src1_sel:DWORD
	s_mov_b64 vcc, 0
                                        ; implicit-def: $sgpr78_sgpr79
                                        ; implicit-def: $sgpr80_sgpr81
                                        ; implicit-def: $vgpr66
	s_and_saveexec_b64 s[62:63], s[60:61]
	s_xor_b64 s[86:87], exec, s[62:63]
	s_cbranch_execnz .LBB94_2454
; %bb.2336:                             ;   in Loop: Header=BB94_17 Depth=1
	s_andn2_saveexec_b64 s[86:87], s[86:87]
	s_cbranch_execnz .LBB94_2513
.LBB94_2337:                            ;   in Loop: Header=BB94_17 Depth=1
	s_or_b64 exec, exec, s[86:87]
	s_mov_b64 s[66:67], 0
	s_and_saveexec_b64 s[86:87], vcc
	s_cbranch_execnz .LBB94_2554
	s_branch .LBB94_2559
.LBB94_2338:                            ;   in Loop: Header=BB94_17 Depth=1
	s_movk_i32 vcc_lo, 0x80
	v_cmp_eq_u16_e32 vcc, vcc_lo, v14
	s_mov_b64 s[68:69], -1
                                        ; implicit-def: $sgpr74
	s_and_saveexec_b64 s[72:73], vcc
; %bb.2339:                             ;   in Loop: Header=BB94_17 Depth=1
	s_mov_b32 s74, 0x7f800001
	s_xor_b64 s[68:69], exec, -1
; %bb.2340:                             ;   in Loop: Header=BB94_17 Depth=1
	s_or_b64 exec, exec, s[72:73]
	s_and_b64 s[68:69], s[68:69], exec
	s_or_saveexec_b64 s[70:71], s[70:71]
	v_mov_b32_e32 v64, s74
	s_xor_b64 exec, exec, s[70:71]
	s_cbranch_execz .LBB94_1257
.LBB94_2341:                            ;   in Loop: Header=BB94_17 Depth=1
	v_cmp_ne_u16_e32 vcc, 0, v14
	s_andn2_b64 s[68:69], s[68:69], exec
	s_and_b64 vcc, vcc, exec
	v_mov_b32_e32 v64, 0
	s_or_b64 s[68:69], s[68:69], vcc
	s_or_b64 exec, exec, s[70:71]
	s_and_saveexec_b64 s[70:71], s[68:69]
	s_cbranch_execnz .LBB94_1258
	s_branch .LBB94_1259
.LBB94_2342:                            ;   in Loop: Header=BB94_17 Depth=1
	s_movk_i32 vcc_lo, 0x80
	v_cmp_eq_u16_e32 vcc, vcc_lo, v14
	s_mov_b64 s[68:69], -1
                                        ; implicit-def: $sgpr74
	s_and_saveexec_b64 s[72:73], vcc
; %bb.2343:                             ;   in Loop: Header=BB94_17 Depth=1
	s_mov_b32 s74, 0x7f800001
	s_xor_b64 s[68:69], exec, -1
; %bb.2344:                             ;   in Loop: Header=BB94_17 Depth=1
	s_or_b64 exec, exec, s[72:73]
	s_and_b64 s[68:69], s[68:69], exec
	s_or_saveexec_b64 s[70:71], s[70:71]
	v_mov_b32_e32 v66, s74
	s_xor_b64 exec, exec, s[70:71]
	s_cbranch_execz .LBB94_1357
.LBB94_2345:                            ;   in Loop: Header=BB94_17 Depth=1
	v_cmp_ne_u16_e32 vcc, 0, v14
	s_andn2_b64 s[68:69], s[68:69], exec
	s_and_b64 vcc, vcc, exec
	v_mov_b32_e32 v66, 0
	s_or_b64 s[68:69], s[68:69], vcc
	s_or_b64 exec, exec, s[70:71]
	s_and_saveexec_b64 s[70:71], s[68:69]
	s_cbranch_execnz .LBB94_1358
	s_branch .LBB94_1359
.LBB94_2346:                            ;   in Loop: Header=BB94_17 Depth=1
	s_movk_i32 vcc_lo, 0x80
	v_cmp_eq_u16_e32 vcc, vcc_lo, v14
	s_mov_b64 s[72:73], -1
                                        ; implicit-def: $sgpr78
	s_and_saveexec_b64 s[76:77], vcc
; %bb.2347:                             ;   in Loop: Header=BB94_17 Depth=1
	s_mov_b32 s78, 0x7f800001
	s_xor_b64 s[72:73], exec, -1
; %bb.2348:                             ;   in Loop: Header=BB94_17 Depth=1
	s_or_b64 exec, exec, s[76:77]
	s_and_b64 s[72:73], s[72:73], exec
	s_or_saveexec_b64 s[74:75], s[74:75]
	v_mov_b32_e32 v64, s78
	s_xor_b64 exec, exec, s[74:75]
	s_cbranch_execz .LBB94_1473
.LBB94_2349:                            ;   in Loop: Header=BB94_17 Depth=1
	v_cmp_ne_u16_e32 vcc, 0, v14
	s_andn2_b64 s[72:73], s[72:73], exec
	s_and_b64 vcc, vcc, exec
	v_mov_b32_e32 v64, 0
	s_or_b64 s[72:73], s[72:73], vcc
	s_or_b64 exec, exec, s[74:75]
	s_and_saveexec_b64 s[74:75], s[72:73]
	s_cbranch_execnz .LBB94_1474
	s_branch .LBB94_1475
.LBB94_2350:                            ;   in Loop: Header=BB94_17 Depth=1
	s_movk_i32 vcc_lo, 0x80
	v_cmp_eq_u16_e32 vcc, vcc_lo, v14
	s_mov_b64 s[72:73], -1
                                        ; implicit-def: $sgpr78
	s_and_saveexec_b64 s[76:77], vcc
; %bb.2351:                             ;   in Loop: Header=BB94_17 Depth=1
	s_mov_b32 s78, 0x7f800001
	s_xor_b64 s[72:73], exec, -1
; %bb.2352:                             ;   in Loop: Header=BB94_17 Depth=1
	s_or_b64 exec, exec, s[76:77]
	s_and_b64 s[72:73], s[72:73], exec
	s_or_saveexec_b64 s[74:75], s[74:75]
	v_mov_b32_e32 v66, s78
	s_xor_b64 exec, exec, s[74:75]
	s_cbranch_execz .LBB94_1573
.LBB94_2353:                            ;   in Loop: Header=BB94_17 Depth=1
	v_cmp_ne_u16_e32 vcc, 0, v14
	s_andn2_b64 s[72:73], s[72:73], exec
	s_and_b64 vcc, vcc, exec
	v_mov_b32_e32 v66, 0
	s_or_b64 s[72:73], s[72:73], vcc
	s_or_b64 exec, exec, s[74:75]
	s_and_saveexec_b64 s[74:75], s[72:73]
	s_cbranch_execnz .LBB94_1574
	s_branch .LBB94_1575
.LBB94_2354:                            ;   in Loop: Header=BB94_17 Depth=1
	v_cmp_gt_i16_sdwa vcc, v8, v19 src0_sel:BYTE_0 src1_sel:DWORD
                                        ; implicit-def: $sgpr88_sgpr89
                                        ; implicit-def: $sgpr90_sgpr91
                                        ; implicit-def: $vgpr65
	s_and_saveexec_b64 s[60:61], vcc
	s_xor_b64 s[84:85], exec, s[60:61]
	s_cbranch_execz .LBB94_2386
; %bb.2355:                             ;   in Loop: Header=BB94_17 Depth=1
	v_cmp_gt_i16_sdwa vcc, v8, v20 src0_sel:BYTE_0 src1_sel:DWORD
                                        ; implicit-def: $sgpr92_sgpr93
                                        ; implicit-def: $sgpr90_sgpr91
                                        ; implicit-def: $vgpr65
	s_and_saveexec_b64 s[60:61], vcc
	s_xor_b64 s[88:89], exec, s[60:61]
	s_cbranch_execz .LBB94_2371
; %bb.2356:                             ;   in Loop: Header=BB94_17 Depth=1
	v_cmp_gt_i16_sdwa s[60:61], v8, v21 src0_sel:BYTE_0 src1_sel:DWORD
	s_mov_b64 s[94:95], 0
                                        ; implicit-def: $vcc
                                        ; implicit-def: $sgpr96_sgpr97
                                        ; implicit-def: $vgpr65
	s_and_saveexec_b64 s[62:63], s[60:61]
	s_xor_b64 s[86:87], exec, s[62:63]
	s_cbranch_execz .LBB94_2366
; %bb.2357:                             ;   in Loop: Header=BB94_17 Depth=1
	v_cmp_gt_i16_sdwa vcc, v8, v22 src0_sel:BYTE_0 src1_sel:DWORD
	s_mov_b64 s[92:93], 0
                                        ; implicit-def: $sgpr94_sgpr95
                                        ; implicit-def: $sgpr90_sgpr91
                                        ; implicit-def: $vgpr65
	s_and_saveexec_b64 s[60:61], vcc
	s_xor_b64 vcc, exec, s[60:61]
	s_cbranch_execz .LBB94_2361
; %bb.2358:                             ;   in Loop: Header=BB94_17 Depth=1
	v_cmp_eq_u16_sdwa s[62:63], v8, v23 src0_sel:BYTE_0 src1_sel:DWORD
	s_mov_b64 s[90:91], 0
                                        ; implicit-def: $vgpr65
	s_and_saveexec_b64 s[60:61], s[62:63]
	s_cbranch_execz .LBB94_2360
; %bb.2359:                             ;   in Loop: Header=BB94_17 Depth=1
	flat_load_dword v14, v[14:15]
	s_mov_b64 s[66:67], exec
	s_waitcnt vmcnt(0) lgkmcnt(0)
	v_lshlrev_b32_e32 v65, 16, v14
.LBB94_2360:                            ;   in Loop: Header=BB94_17 Depth=1
	s_or_b64 exec, exec, s[60:61]
	s_mov_b64 s[94:95], -1
	s_and_b64 s[92:93], s[66:67], exec
                                        ; implicit-def: $vgpr14_vgpr15
.LBB94_2361:                            ;   in Loop: Header=BB94_17 Depth=1
	s_andn2_saveexec_b64 s[66:67], vcc
	s_cbranch_execz .LBB94_2365
; %bb.2362:                             ;   in Loop: Header=BB94_17 Depth=1
	v_cmp_eq_u16_sdwa s[60:61], v8, v24 src0_sel:BYTE_0 src1_sel:DWORD
	s_mov_b64 vcc, s[92:93]
                                        ; implicit-def: $vgpr65
	s_and_saveexec_b64 s[68:69], s[60:61]
	s_cbranch_execz .LBB94_2364
; %bb.2363:                             ;   in Loop: Header=BB94_17 Depth=1
	flat_load_ubyte v14, v[14:15]
	s_movk_i32 vcc_lo, 0xff
	s_waitcnt vmcnt(0) lgkmcnt(0)
	v_lshlrev_b32_e32 v15, 23, v14
	v_cmp_ne_u32_e32 vcc, vcc_lo, v14
	v_cndmask_b32_e32 v15, v25, v15, vcc
	v_cmp_ne_u32_e32 vcc, 0, v14
	v_cndmask_b32_e32 v65, v26, v15, vcc
	s_or_b64 vcc, s[92:93], exec
.LBB94_2364:                            ;   in Loop: Header=BB94_17 Depth=1
	s_or_b64 exec, exec, s[68:69]
	s_andn2_b64 s[60:61], s[92:93], exec
	s_and_b64 vcc, vcc, exec
	s_or_b64 s[94:95], s[94:95], exec
	s_andn2_b64 s[90:91], s[90:91], exec
	s_or_b64 s[92:93], s[60:61], vcc
.LBB94_2365:                            ;   in Loop: Header=BB94_17 Depth=1
	s_or_b64 exec, exec, s[66:67]
	s_and_b64 s[96:97], s[94:95], exec
	s_and_b64 vcc, s[90:91], exec
	s_and_b64 s[94:95], s[92:93], exec
                                        ; implicit-def: $vgpr14_vgpr15
.LBB94_2366:                            ;   in Loop: Header=BB94_17 Depth=1
	s_andn2_saveexec_b64 s[66:67], s[86:87]
	s_cbranch_execz .LBB94_2370
; %bb.2367:                             ;   in Loop: Header=BB94_17 Depth=1
	v_cmp_eq_u16_sdwa s[60:61], v8, v27 src0_sel:BYTE_0 src1_sel:DWORD
	s_mov_b64 s[70:71], s[94:95]
                                        ; implicit-def: $vgpr65
	s_and_saveexec_b64 s[68:69], s[60:61]
	s_cbranch_execz .LBB94_2369
; %bb.2368:                             ;   in Loop: Header=BB94_17 Depth=1
	flat_load_dwordx2 v[14:15], v[14:15]
	s_or_b64 s[70:71], s[94:95], exec
	s_waitcnt vmcnt(0) lgkmcnt(0)
	v_ffbh_u32_e32 v65, v15
	v_min_u32_e32 v65, 32, v65
	v_lshlrev_b64 v[14:15], v65, v[14:15]
	v_min_u32_e32 v14, 1, v14
	v_or_b32_e32 v14, v15, v14
	v_cvt_f32_u32_e32 v14, v14
	v_sub_u32_e32 v15, 32, v65
	v_ldexp_f32 v65, v14, v15
.LBB94_2369:                            ;   in Loop: Header=BB94_17 Depth=1
	s_or_b64 exec, exec, s[68:69]
	s_andn2_b64 s[60:61], s[94:95], exec
	s_and_b64 s[62:63], s[70:71], exec
	s_or_b64 s[96:97], s[96:97], exec
	s_andn2_b64 vcc, vcc, exec
	s_or_b64 s[94:95], s[60:61], s[62:63]
.LBB94_2370:                            ;   in Loop: Header=BB94_17 Depth=1
	s_or_b64 exec, exec, s[66:67]
	s_and_b64 s[90:91], s[96:97], exec
	s_and_b64 s[92:93], vcc, exec
	s_and_b64 s[86:87], s[94:95], exec
                                        ; implicit-def: $vgpr14_vgpr15
.LBB94_2371:                            ;   in Loop: Header=BB94_17 Depth=1
	s_andn2_saveexec_b64 s[88:89], s[88:89]
	s_cbranch_execz .LBB94_2385
; %bb.2372:                             ;   in Loop: Header=BB94_17 Depth=1
	v_cmp_gt_i16_sdwa vcc, v8, v28 src0_sel:BYTE_0 src1_sel:DWORD
                                        ; implicit-def: $vgpr65
	s_and_saveexec_b64 s[60:61], vcc
	s_xor_b64 vcc, exec, s[60:61]
	s_cbranch_execz .LBB94_2378
; %bb.2373:                             ;   in Loop: Header=BB94_17 Depth=1
	v_cmp_gt_i16_sdwa s[60:61], v8, v29 src0_sel:BYTE_0 src1_sel:DWORD
                                        ; implicit-def: $vgpr65
	s_and_saveexec_b64 s[62:63], s[60:61]
	s_xor_b64 s[60:61], exec, s[62:63]
	s_cbranch_execz .LBB94_2375
; %bb.2374:                             ;   in Loop: Header=BB94_17 Depth=1
	flat_load_dword v14, v[14:15]
	s_waitcnt vmcnt(0) lgkmcnt(0)
	v_cvt_f32_u32_e32 v65, v14
                                        ; implicit-def: $vgpr14_vgpr15
.LBB94_2375:                            ;   in Loop: Header=BB94_17 Depth=1
	s_andn2_saveexec_b64 s[60:61], s[60:61]
	s_cbranch_execz .LBB94_2377
; %bb.2376:                             ;   in Loop: Header=BB94_17 Depth=1
	flat_load_ushort v14, v[14:15]
	s_waitcnt vmcnt(0) lgkmcnt(0)
	v_cvt_f32_u32_e32 v65, v14
.LBB94_2377:                            ;   in Loop: Header=BB94_17 Depth=1
	s_or_b64 exec, exec, s[60:61]
                                        ; implicit-def: $vgpr14_vgpr15
.LBB94_2378:                            ;   in Loop: Header=BB94_17 Depth=1
	s_andn2_saveexec_b64 s[94:95], vcc
	s_cbranch_execz .LBB94_2384
; %bb.2379:                             ;   in Loop: Header=BB94_17 Depth=1
	flat_load_ubyte v14, v[14:15]
	s_movk_i32 vcc_lo, 0x7f
	s_mov_b64 s[66:67], 0
                                        ; implicit-def: $sgpr70
	s_waitcnt vmcnt(0) lgkmcnt(0)
	v_cmp_lt_i16_e32 vcc, vcc_lo, v14
	s_and_saveexec_b64 s[60:61], vcc
	s_xor_b64 s[68:69], exec, s[60:61]
	s_cbranch_execnz .LBB94_3354
; %bb.2380:                             ;   in Loop: Header=BB94_17 Depth=1
	s_or_saveexec_b64 s[68:69], s[68:69]
	v_mov_b32_e32 v65, s70
	s_xor_b64 exec, exec, s[68:69]
	s_cbranch_execnz .LBB94_3357
.LBB94_2381:                            ;   in Loop: Header=BB94_17 Depth=1
	s_or_b64 exec, exec, s[68:69]
	s_and_saveexec_b64 s[68:69], s[66:67]
	s_cbranch_execz .LBB94_2383
.LBB94_2382:                            ;   in Loop: Header=BB94_17 Depth=1
	v_lshlrev_b32_e32 v15, 24, v14
	v_and_b32_e32 v14, 0xffff, v14
	v_and_b32_e32 v65, 7, v14
	v_ffbh_u32_e32 v67, v65
	v_min_u32_e32 v67, 32, v67
	v_subrev_u32_e32 v68, 28, v67
	v_bfe_u32 v66, v14, 3, 4
	v_lshlrev_b32_e32 v14, v68, v14
	v_sub_u32_e32 v67, 29, v67
	v_and_b32_e32 v14, 7, v14
	v_cmp_eq_u32_e32 vcc, 0, v66
	v_cndmask_b32_e32 v66, v66, v67, vcc
	v_cndmask_b32_e32 v14, v65, v14, vcc
	v_lshlrev_b32_e32 v14, 20, v14
	v_and_b32_e32 v15, 0x80000000, v15
	v_lshl_add_u32 v65, v66, 23, v30
	v_or3_b32 v65, v15, v65, v14
.LBB94_2383:                            ;   in Loop: Header=BB94_17 Depth=1
	s_or_b64 exec, exec, s[68:69]
.LBB94_2384:                            ;   in Loop: Header=BB94_17 Depth=1
	s_or_b64 exec, exec, s[94:95]
	s_andn2_b64 s[90:91], s[90:91], exec
	s_andn2_b64 s[92:93], s[92:93], exec
	s_or_b64 s[86:87], s[86:87], exec
.LBB94_2385:                            ;   in Loop: Header=BB94_17 Depth=1
	s_or_b64 exec, exec, s[88:89]
	s_and_b64 s[90:91], s[90:91], exec
	s_and_b64 s[88:89], s[92:93], exec
	s_and_b64 s[86:87], s[86:87], exec
                                        ; implicit-def: $vgpr14_vgpr15
.LBB94_2386:                            ;   in Loop: Header=BB94_17 Depth=1
	s_andn2_saveexec_b64 s[84:85], s[84:85]
	s_cbranch_execz .LBB94_2412
; %bb.2387:                             ;   in Loop: Header=BB94_17 Depth=1
	v_cmp_gt_i16_sdwa vcc, v8, v31 src0_sel:BYTE_0 src1_sel:DWORD
	s_mov_b64 s[94:95], s[86:87]
                                        ; implicit-def: $vgpr65
	s_and_saveexec_b64 s[60:61], vcc
	s_xor_b64 s[92:93], exec, s[60:61]
	s_cbranch_execz .LBB94_2401
; %bb.2388:                             ;   in Loop: Header=BB94_17 Depth=1
	v_cmp_gt_i16_sdwa vcc, v8, v32 src0_sel:BYTE_0 src1_sel:DWORD
                                        ; implicit-def: $vgpr65
	s_and_saveexec_b64 s[60:61], vcc
	s_xor_b64 s[94:95], exec, s[60:61]
	s_cbranch_execz .LBB94_2398
; %bb.2389:                             ;   in Loop: Header=BB94_17 Depth=1
	v_cmp_gt_i16_sdwa vcc, v8, v33 src0_sel:BYTE_0 src1_sel:DWORD
                                        ; implicit-def: $vgpr65
	s_and_saveexec_b64 s[60:61], vcc
	s_xor_b64 s[96:97], exec, s[60:61]
	s_cbranch_execz .LBB94_2395
; %bb.2390:                             ;   in Loop: Header=BB94_17 Depth=1
	flat_load_ubyte v14, v[14:15]
	s_movk_i32 vcc_lo, 0x7f
	s_mov_b64 s[66:67], 0
                                        ; implicit-def: $sgpr70
	s_waitcnt vmcnt(0) lgkmcnt(0)
	v_cmp_lt_i16_e32 vcc, vcc_lo, v14
	s_and_saveexec_b64 s[60:61], vcc
	s_xor_b64 s[68:69], exec, s[60:61]
	s_cbranch_execnz .LBB94_3470
; %bb.2391:                             ;   in Loop: Header=BB94_17 Depth=1
	s_or_saveexec_b64 s[68:69], s[68:69]
	v_mov_b32_e32 v65, s70
	s_xor_b64 exec, exec, s[68:69]
	s_cbranch_execnz .LBB94_3473
.LBB94_2392:                            ;   in Loop: Header=BB94_17 Depth=1
	s_or_b64 exec, exec, s[68:69]
	s_and_saveexec_b64 s[68:69], s[66:67]
	s_cbranch_execz .LBB94_2394
.LBB94_2393:                            ;   in Loop: Header=BB94_17 Depth=1
	v_lshlrev_b32_e32 v15, 24, v14
	v_and_b32_e32 v14, 0xffff, v14
	v_and_b32_e32 v65, 3, v14
	v_ffbh_u32_e32 v67, v65
	v_min_u32_e32 v67, 32, v67
	v_subrev_u32_e32 v68, 29, v67
	v_bfe_u32 v66, v14, 2, 5
	v_lshlrev_b32_e32 v14, v68, v14
	v_sub_u32_e32 v67, 30, v67
	v_and_b32_e32 v14, 3, v14
	v_cmp_eq_u32_e32 vcc, 0, v66
	v_cndmask_b32_e32 v66, v66, v67, vcc
	v_cndmask_b32_e32 v14, v65, v14, vcc
	v_lshlrev_b32_e32 v14, 21, v14
	v_and_b32_e32 v15, 0x80000000, v15
	v_lshl_add_u32 v65, v66, 23, v34
	v_or3_b32 v65, v15, v65, v14
.LBB94_2394:                            ;   in Loop: Header=BB94_17 Depth=1
	s_or_b64 exec, exec, s[68:69]
                                        ; implicit-def: $vgpr14_vgpr15
.LBB94_2395:                            ;   in Loop: Header=BB94_17 Depth=1
	s_andn2_saveexec_b64 s[66:67], s[96:97]
	s_cbranch_execz .LBB94_2397
; %bb.2396:                             ;   in Loop: Header=BB94_17 Depth=1
	flat_load_ubyte v14, v[14:15]
	s_mov_b32 vcc_lo, 0x7f800000
	s_waitcnt vmcnt(0) lgkmcnt(0)
	v_lshlrev_b32_e32 v14, 24, v14
	v_and_b32_e32 v15, 0x7f000000, v14
	v_ffbh_u32_e32 v65, v15
	v_min_u32_e32 v65, 32, v65
	v_sub_u32_e64 v65, v65, 4 clamp
	v_lshlrev_b32_e32 v67, v65, v15
	v_lshlrev_b32_e32 v65, 23, v65
	v_lshrrev_b32_e32 v67, 4, v67
	v_add_u32_e32 v66, 0x1000000, v15
	v_sub_u32_e32 v65, v67, v65
	v_ashrrev_i32_e32 v66, 8, v66
	v_add_u32_e32 v65, 0x3c000000, v65
	v_and_or_b32 v65, v66, vcc_lo, v65
	v_cmp_ne_u32_e32 vcc, 0, v15
	v_cndmask_b32_e32 v15, 0, v65, vcc
	s_brev_b32 vcc_lo, 1
	v_and_or_b32 v65, v14, vcc_lo, v15
.LBB94_2397:                            ;   in Loop: Header=BB94_17 Depth=1
	s_or_b64 exec, exec, s[66:67]
                                        ; implicit-def: $vgpr14_vgpr15
.LBB94_2398:                            ;   in Loop: Header=BB94_17 Depth=1
	s_andn2_saveexec_b64 s[66:67], s[94:95]
	s_cbranch_execz .LBB94_2400
; %bb.2399:                             ;   in Loop: Header=BB94_17 Depth=1
	flat_load_ubyte v14, v[14:15]
	s_movk_i32 vcc_lo, 0x7f00
	s_waitcnt vmcnt(0) lgkmcnt(0)
	v_lshlrev_b16_e32 v15, 8, v14
	v_lshlrev_b32_e32 v14, 25, v14
	v_lshrrev_b32_e32 v65, 4, v14
	v_and_or_b32 v66, v15, vcc_lo, 0.5
	v_or_b32_e32 v65, 0x70000000, v65
	s_brev_b32 vcc_lo, 16
	v_add_f32_e32 v66, -0.5, v66
	v_mul_f32_e32 v65, 0x7800000, v65
	v_cmp_gt_u32_e32 vcc, vcc_lo, v14
	v_cndmask_b32_e32 v14, v65, v66, vcc
	v_bfe_i32 v15, v15, 0, 16
	s_brev_b32 vcc_lo, 1
	v_and_or_b32 v65, v15, vcc_lo, v14
.LBB94_2400:                            ;   in Loop: Header=BB94_17 Depth=1
	s_or_b64 exec, exec, s[66:67]
	s_or_b64 s[94:95], s[86:87], exec
                                        ; implicit-def: $vgpr14_vgpr15
.LBB94_2401:                            ;   in Loop: Header=BB94_17 Depth=1
	s_or_saveexec_b64 s[92:93], s[92:93]
                                        ; implicit-def: $vcc
                                        ; implicit-def: $sgpr68_sgpr69
	s_xor_b64 exec, exec, s[92:93]
	s_cbranch_execz .LBB94_2411
; %bb.2402:                             ;   in Loop: Header=BB94_17 Depth=1
	v_cmp_gt_i16_sdwa vcc, v8, v35 src0_sel:BYTE_0 src1_sel:DWORD
	s_mov_b64 s[66:67], s[94:95]
                                        ; implicit-def: $sgpr68_sgpr69
                                        ; implicit-def: $sgpr96_sgpr97
                                        ; implicit-def: $vgpr65
	s_and_saveexec_b64 s[60:61], vcc
	s_xor_b64 vcc, exec, s[60:61]
	s_cbranch_execz .LBB94_2406
; %bb.2403:                             ;   in Loop: Header=BB94_17 Depth=1
	v_cmp_eq_u16_sdwa s[62:63], v8, v36 src0_sel:BYTE_0 src1_sel:DWORD
	s_mov_b64 s[66:67], s[94:95]
                                        ; implicit-def: $vgpr65
	s_and_saveexec_b64 s[60:61], s[62:63]
	s_cbranch_execz .LBB94_2405
; %bb.2404:                             ;   in Loop: Header=BB94_17 Depth=1
	flat_load_ushort v14, v[14:15]
	s_or_b64 s[66:67], s[94:95], exec
	s_waitcnt vmcnt(0) lgkmcnt(0)
	v_lshlrev_b32_e32 v65, 16, v14
.LBB94_2405:                            ;   in Loop: Header=BB94_17 Depth=1
	s_or_b64 exec, exec, s[60:61]
	s_andn2_b64 s[60:61], s[94:95], exec
	s_and_b64 s[62:63], s[66:67], exec
	s_mov_b64 s[96:97], 0
	s_mov_b64 s[68:69], -1
	s_or_b64 s[66:67], s[60:61], s[62:63]
                                        ; implicit-def: $vgpr14_vgpr15
.LBB94_2406:                            ;   in Loop: Header=BB94_17 Depth=1
	s_andn2_saveexec_b64 s[70:71], vcc
	s_cbranch_execz .LBB94_2410
; %bb.2407:                             ;   in Loop: Header=BB94_17 Depth=1
	v_cmp_eq_u16_sdwa s[62:63], v8, v37 src0_sel:BYTE_0 src1_sel:DWORD
	s_mov_b64 vcc, s[66:67]
                                        ; implicit-def: $vgpr65
	s_and_saveexec_b64 s[60:61], s[62:63]
	s_cbranch_execz .LBB94_2409
; %bb.2408:                             ;   in Loop: Header=BB94_17 Depth=1
	flat_load_ubyte v14, v[14:15]
	s_waitcnt vmcnt(0) lgkmcnt(0)
	v_cmp_ne_u16_e32 vcc, 0, v14
	v_cndmask_b32_e64 v65, 0, 1.0, vcc
	s_or_b64 vcc, s[66:67], exec
.LBB94_2409:                            ;   in Loop: Header=BB94_17 Depth=1
	s_or_b64 exec, exec, s[60:61]
	s_andn2_b64 s[60:61], s[66:67], exec
	s_and_b64 vcc, vcc, exec
	s_or_b64 s[68:69], s[68:69], exec
	s_andn2_b64 s[96:97], s[96:97], exec
	s_or_b64 s[66:67], s[60:61], vcc
.LBB94_2410:                            ;   in Loop: Header=BB94_17 Depth=1
	s_or_b64 exec, exec, s[70:71]
	s_andn2_b64 s[60:61], s[94:95], exec
	s_and_b64 s[62:63], s[66:67], exec
	s_and_b64 s[68:69], s[68:69], exec
	s_and_b64 vcc, s[96:97], exec
	s_or_b64 s[94:95], s[60:61], s[62:63]
.LBB94_2411:                            ;   in Loop: Header=BB94_17 Depth=1
	s_or_b64 exec, exec, s[92:93]
	s_andn2_b64 s[60:61], s[90:91], exec
	s_and_b64 s[62:63], s[68:69], exec
	s_or_b64 s[90:91], s[60:61], s[62:63]
	s_andn2_b64 s[60:61], s[88:89], exec
	s_and_b64 vcc, vcc, exec
	s_or_b64 s[88:89], s[60:61], vcc
	s_andn2_b64 vcc, s[86:87], exec
	s_and_b64 s[60:61], s[94:95], exec
	s_or_b64 s[86:87], vcc, s[60:61]
.LBB94_2412:                            ;   in Loop: Header=BB94_17 Depth=1
	s_or_b64 exec, exec, s[84:85]
	s_and_b64 s[84:85], s[90:91], exec
	s_and_b64 vcc, s[88:89], exec
	s_and_b64 s[86:87], s[86:87], exec
                                        ; implicit-def: $vgpr14_vgpr15
	s_andn2_saveexec_b64 s[82:83], s[82:83]
	s_cbranch_execz .LBB94_2329
.LBB94_2413:                            ;   in Loop: Header=BB94_17 Depth=1
	v_cmp_gt_i16_sdwa s[60:61], v8, v38 src0_sel:BYTE_0 src1_sel:DWORD
                                        ; implicit-def: $vgpr65
	s_and_saveexec_b64 s[62:63], s[60:61]
	s_xor_b64 s[88:89], exec, s[62:63]
	s_cbranch_execz .LBB94_2435
; %bb.2414:                             ;   in Loop: Header=BB94_17 Depth=1
	v_cmp_gt_i16_sdwa s[60:61], v8, v39 src0_sel:BYTE_0 src1_sel:DWORD
                                        ; implicit-def: $vgpr65
	s_and_saveexec_b64 s[62:63], s[60:61]
	s_xor_b64 s[66:67], exec, s[62:63]
	s_cbranch_execz .LBB94_2424
; %bb.2415:                             ;   in Loop: Header=BB94_17 Depth=1
	;; [unrolled: 6-line block ×4, first 2 shown]
	flat_load_dwordx2 v[14:15], v[14:15]
	s_waitcnt vmcnt(0) lgkmcnt(0)
	v_cvt_f32_f64_e32 v65, v[14:15]
                                        ; implicit-def: $vgpr14_vgpr15
.LBB94_2418:                            ;   in Loop: Header=BB94_17 Depth=1
	s_andn2_saveexec_b64 s[60:61], s[60:61]
	s_cbranch_execz .LBB94_2420
; %bb.2419:                             ;   in Loop: Header=BB94_17 Depth=1
	flat_load_dword v65, v[14:15]
.LBB94_2420:                            ;   in Loop: Header=BB94_17 Depth=1
	s_or_b64 exec, exec, s[60:61]
                                        ; implicit-def: $vgpr14_vgpr15
.LBB94_2421:                            ;   in Loop: Header=BB94_17 Depth=1
	s_andn2_saveexec_b64 s[60:61], s[68:69]
	s_cbranch_execz .LBB94_2423
; %bb.2422:                             ;   in Loop: Header=BB94_17 Depth=1
	flat_load_dword v14, v[14:15]
	s_waitcnt vmcnt(0) lgkmcnt(0)
	v_cvt_f32_f16_e32 v65, v14
.LBB94_2423:                            ;   in Loop: Header=BB94_17 Depth=1
	s_or_b64 exec, exec, s[60:61]
                                        ; implicit-def: $vgpr14_vgpr15
.LBB94_2424:                            ;   in Loop: Header=BB94_17 Depth=1
	s_andn2_saveexec_b64 s[66:67], s[66:67]
	s_cbranch_execz .LBB94_2434
; %bb.2425:                             ;   in Loop: Header=BB94_17 Depth=1
	v_cmp_gt_i16_sdwa s[60:61], v8, v50 src0_sel:BYTE_0 src1_sel:DWORD
                                        ; implicit-def: $vgpr65
	s_and_saveexec_b64 s[62:63], s[60:61]
	s_xor_b64 s[68:69], exec, s[62:63]
	s_cbranch_execz .LBB94_2431
; %bb.2426:                             ;   in Loop: Header=BB94_17 Depth=1
	v_cmp_gt_i16_sdwa s[60:61], v8, v51 src0_sel:BYTE_0 src1_sel:DWORD
                                        ; implicit-def: $vgpr65
	s_and_saveexec_b64 s[62:63], s[60:61]
	s_xor_b64 s[60:61], exec, s[62:63]
	s_cbranch_execz .LBB94_2428
; %bb.2427:                             ;   in Loop: Header=BB94_17 Depth=1
	flat_load_dwordx2 v[14:15], v[14:15]
	s_waitcnt vmcnt(0) lgkmcnt(0)
	v_cvt_f32_f64_e32 v65, v[14:15]
                                        ; implicit-def: $vgpr14_vgpr15
.LBB94_2428:                            ;   in Loop: Header=BB94_17 Depth=1
	s_andn2_saveexec_b64 s[60:61], s[60:61]
	s_cbranch_execz .LBB94_2430
; %bb.2429:                             ;   in Loop: Header=BB94_17 Depth=1
	s_waitcnt vmcnt(0) lgkmcnt(0)
	flat_load_dword v65, v[14:15]
.LBB94_2430:                            ;   in Loop: Header=BB94_17 Depth=1
	s_or_b64 exec, exec, s[60:61]
                                        ; implicit-def: $vgpr14_vgpr15
.LBB94_2431:                            ;   in Loop: Header=BB94_17 Depth=1
	s_andn2_saveexec_b64 s[60:61], s[68:69]
	s_cbranch_execz .LBB94_2433
; %bb.2432:                             ;   in Loop: Header=BB94_17 Depth=1
	flat_load_ushort v14, v[14:15]
	s_waitcnt vmcnt(0) lgkmcnt(0)
	v_cvt_f32_f16_e32 v65, v14
.LBB94_2433:                            ;   in Loop: Header=BB94_17 Depth=1
	s_or_b64 exec, exec, s[60:61]
.LBB94_2434:                            ;   in Loop: Header=BB94_17 Depth=1
	s_or_b64 exec, exec, s[66:67]
                                        ; implicit-def: $vgpr14_vgpr15
.LBB94_2435:                            ;   in Loop: Header=BB94_17 Depth=1
	s_andn2_saveexec_b64 s[88:89], s[88:89]
	s_cbranch_execz .LBB94_2453
; %bb.2436:                             ;   in Loop: Header=BB94_17 Depth=1
	v_cmp_gt_i16_sdwa s[60:61], v8, v52 src0_sel:BYTE_0 src1_sel:DWORD
                                        ; implicit-def: $vgpr65
	s_and_saveexec_b64 s[62:63], s[60:61]
	s_xor_b64 s[90:91], exec, s[62:63]
	s_cbranch_execz .LBB94_2446
; %bb.2437:                             ;   in Loop: Header=BB94_17 Depth=1
	v_cmp_gt_i16_sdwa s[60:61], v8, v53 src0_sel:BYTE_0 src1_sel:DWORD
                                        ; implicit-def: $vgpr65
	s_and_saveexec_b64 s[62:63], s[60:61]
	s_xor_b64 s[66:67], exec, s[62:63]
	;; [unrolled: 6-line block ×3, first 2 shown]
	s_cbranch_execz .LBB94_2440
; %bb.2439:                             ;   in Loop: Header=BB94_17 Depth=1
	flat_load_dwordx2 v[14:15], v[14:15]
	s_waitcnt vmcnt(0) lgkmcnt(0)
	v_xor_b32_e32 v66, v14, v15
	v_ffbh_i32_e32 v65, v15
	v_ashrrev_i32_e32 v66, 31, v66
	v_add_u32_e32 v65, -1, v65
	v_add_u32_e32 v66, 32, v66
	v_min_u32_e32 v65, v65, v66
	v_lshlrev_b64 v[14:15], v65, v[14:15]
	v_min_u32_e32 v14, 1, v14
	v_or_b32_e32 v14, v15, v14
	v_cvt_f32_i32_e32 v14, v14
	v_sub_u32_e32 v15, 32, v65
	v_ldexp_f32 v65, v14, v15
                                        ; implicit-def: $vgpr14_vgpr15
.LBB94_2440:                            ;   in Loop: Header=BB94_17 Depth=1
	s_andn2_saveexec_b64 s[60:61], s[68:69]
	s_cbranch_execz .LBB94_2442
; %bb.2441:                             ;   in Loop: Header=BB94_17 Depth=1
	flat_load_dword v14, v[14:15]
	s_waitcnt vmcnt(0) lgkmcnt(0)
	v_cvt_f32_i32_e32 v65, v14
.LBB94_2442:                            ;   in Loop: Header=BB94_17 Depth=1
	s_or_b64 exec, exec, s[60:61]
                                        ; implicit-def: $vgpr14_vgpr15
.LBB94_2443:                            ;   in Loop: Header=BB94_17 Depth=1
	s_andn2_saveexec_b64 s[60:61], s[66:67]
	s_cbranch_execz .LBB94_2445
; %bb.2444:                             ;   in Loop: Header=BB94_17 Depth=1
	flat_load_sshort v14, v[14:15]
	s_waitcnt vmcnt(0) lgkmcnt(0)
	v_cvt_f32_i32_e32 v65, v14
.LBB94_2445:                            ;   in Loop: Header=BB94_17 Depth=1
	s_or_b64 exec, exec, s[60:61]
                                        ; implicit-def: $vgpr14_vgpr15
.LBB94_2446:                            ;   in Loop: Header=BB94_17 Depth=1
	s_andn2_saveexec_b64 s[66:67], s[90:91]
	s_cbranch_execz .LBB94_2452
; %bb.2447:                             ;   in Loop: Header=BB94_17 Depth=1
	v_cmp_gt_i16_sdwa s[60:61], v8, v16 src0_sel:BYTE_0 src1_sel:DWORD
                                        ; implicit-def: $vgpr65
	s_and_saveexec_b64 s[62:63], s[60:61]
	s_xor_b64 s[60:61], exec, s[62:63]
	s_cbranch_execz .LBB94_2449
; %bb.2448:                             ;   in Loop: Header=BB94_17 Depth=1
	flat_load_sbyte v14, v[14:15]
	s_waitcnt vmcnt(0) lgkmcnt(0)
	v_cvt_f32_i32_e32 v65, v14
                                        ; implicit-def: $vgpr14_vgpr15
.LBB94_2449:                            ;   in Loop: Header=BB94_17 Depth=1
	s_andn2_saveexec_b64 s[60:61], s[60:61]
	s_cbranch_execz .LBB94_2451
; %bb.2450:                             ;   in Loop: Header=BB94_17 Depth=1
	flat_load_ubyte v14, v[14:15]
	s_waitcnt vmcnt(0) lgkmcnt(0)
	v_cvt_f32_ubyte0_e32 v65, v14
.LBB94_2451:                            ;   in Loop: Header=BB94_17 Depth=1
	s_or_b64 exec, exec, s[60:61]
.LBB94_2452:                            ;   in Loop: Header=BB94_17 Depth=1
	s_or_b64 exec, exec, s[66:67]
.LBB94_2453:                            ;   in Loop: Header=BB94_17 Depth=1
	s_or_b64 exec, exec, s[88:89]
	s_andn2_b64 s[84:85], s[84:85], exec
	s_andn2_b64 vcc, vcc, exec
	s_or_b64 s[86:87], s[86:87], exec
	s_or_b64 exec, exec, s[82:83]
	s_mov_b64 s[66:67], 0
	s_and_saveexec_b64 s[68:69], s[86:87]
	s_cbranch_execnz .LBB94_2330
	s_branch .LBB94_2331
.LBB94_2454:                            ;   in Loop: Header=BB94_17 Depth=1
	v_cmp_gt_i16_sdwa vcc, v7, v19 src0_sel:BYTE_0 src1_sel:DWORD
	s_mov_b64 s[88:89], 0
                                        ; implicit-def: $sgpr90_sgpr91
                                        ; implicit-def: $sgpr80_sgpr81
                                        ; implicit-def: $vgpr66
	s_and_saveexec_b64 s[60:61], vcc
	s_xor_b64 s[78:79], exec, s[60:61]
	s_cbranch_execz .LBB94_2486
; %bb.2455:                             ;   in Loop: Header=BB94_17 Depth=1
	v_cmp_gt_i16_sdwa vcc, v7, v20 src0_sel:BYTE_0 src1_sel:DWORD
                                        ; implicit-def: $sgpr90_sgpr91
                                        ; implicit-def: $sgpr72_sgpr73
                                        ; implicit-def: $vgpr66
	s_and_saveexec_b64 s[60:61], vcc
	s_xor_b64 s[80:81], exec, s[60:61]
	s_cbranch_execz .LBB94_2471
; %bb.2456:                             ;   in Loop: Header=BB94_17 Depth=1
	v_cmp_gt_i16_sdwa s[60:61], v7, v21 src0_sel:BYTE_0 src1_sel:DWORD
	s_mov_b64 s[74:75], 0
                                        ; implicit-def: $vcc
                                        ; implicit-def: $sgpr90_sgpr91
                                        ; implicit-def: $vgpr66
	s_and_saveexec_b64 s[62:63], s[60:61]
	s_xor_b64 s[72:73], exec, s[62:63]
	s_cbranch_execz .LBB94_2466
; %bb.2457:                             ;   in Loop: Header=BB94_17 Depth=1
	v_cmp_gt_i16_sdwa vcc, v7, v22 src0_sel:BYTE_0 src1_sel:DWORD
                                        ; implicit-def: $sgpr74_sgpr75
                                        ; implicit-def: $sgpr92_sgpr93
                                        ; implicit-def: $vgpr66
	s_and_saveexec_b64 s[60:61], vcc
	s_xor_b64 vcc, exec, s[60:61]
	s_cbranch_execz .LBB94_2461
; %bb.2458:                             ;   in Loop: Header=BB94_17 Depth=1
	v_cmp_eq_u16_sdwa s[62:63], v7, v23 src0_sel:BYTE_0 src1_sel:DWORD
	s_mov_b64 s[74:75], 0
	s_mov_b64 s[66:67], 0
                                        ; implicit-def: $vgpr66
	s_and_saveexec_b64 s[60:61], s[62:63]
	s_cbranch_execz .LBB94_2460
; %bb.2459:                             ;   in Loop: Header=BB94_17 Depth=1
	flat_load_dword v14, v[14:15]
	s_mov_b64 s[66:67], exec
	s_waitcnt vmcnt(0) lgkmcnt(0)
	v_lshlrev_b32_e32 v66, 16, v14
.LBB94_2460:                            ;   in Loop: Header=BB94_17 Depth=1
	s_or_b64 exec, exec, s[60:61]
	s_mov_b64 s[92:93], -1
	s_and_b64 s[88:89], s[66:67], exec
                                        ; implicit-def: $vgpr14_vgpr15
.LBB94_2461:                            ;   in Loop: Header=BB94_17 Depth=1
	s_andn2_saveexec_b64 s[66:67], vcc
	s_cbranch_execz .LBB94_2465
; %bb.2462:                             ;   in Loop: Header=BB94_17 Depth=1
	v_cmp_eq_u16_sdwa s[60:61], v7, v24 src0_sel:BYTE_0 src1_sel:DWORD
	s_mov_b64 vcc, s[88:89]
                                        ; implicit-def: $vgpr66
	s_and_saveexec_b64 s[68:69], s[60:61]
	s_cbranch_execz .LBB94_2464
; %bb.2463:                             ;   in Loop: Header=BB94_17 Depth=1
	flat_load_ubyte v14, v[14:15]
	s_movk_i32 vcc_lo, 0xff
	s_waitcnt vmcnt(0) lgkmcnt(0)
	v_lshlrev_b32_e32 v15, 23, v14
	v_cmp_ne_u32_e32 vcc, vcc_lo, v14
	v_cndmask_b32_e32 v15, v25, v15, vcc
	v_cmp_ne_u32_e32 vcc, 0, v14
	v_cndmask_b32_e32 v66, v26, v15, vcc
	s_or_b64 vcc, s[88:89], exec
.LBB94_2464:                            ;   in Loop: Header=BB94_17 Depth=1
	s_or_b64 exec, exec, s[68:69]
	s_andn2_b64 s[60:61], s[88:89], exec
	s_and_b64 vcc, vcc, exec
	s_andn2_b64 s[74:75], s[74:75], exec
	s_or_b64 s[92:93], s[92:93], exec
	s_or_b64 s[88:89], s[60:61], vcc
.LBB94_2465:                            ;   in Loop: Header=BB94_17 Depth=1
	s_or_b64 exec, exec, s[66:67]
	s_and_b64 s[90:91], s[74:75], exec
	s_and_b64 vcc, s[92:93], exec
	s_and_b64 s[74:75], s[88:89], exec
                                        ; implicit-def: $vgpr14_vgpr15
.LBB94_2466:                            ;   in Loop: Header=BB94_17 Depth=1
	s_andn2_saveexec_b64 s[66:67], s[72:73]
	s_cbranch_execz .LBB94_2470
; %bb.2467:                             ;   in Loop: Header=BB94_17 Depth=1
	v_cmp_eq_u16_sdwa s[60:61], v7, v27 src0_sel:BYTE_0 src1_sel:DWORD
	s_mov_b64 s[70:71], s[74:75]
                                        ; implicit-def: $vgpr66
	s_and_saveexec_b64 s[68:69], s[60:61]
	s_cbranch_execz .LBB94_2469
; %bb.2468:                             ;   in Loop: Header=BB94_17 Depth=1
	flat_load_dwordx2 v[14:15], v[14:15]
	s_or_b64 s[70:71], s[74:75], exec
	s_waitcnt vmcnt(0) lgkmcnt(0)
	v_ffbh_u32_e32 v64, v15
	v_min_u32_e32 v64, 32, v64
	v_lshlrev_b64 v[14:15], v64, v[14:15]
	v_min_u32_e32 v14, 1, v14
	v_or_b32_e32 v14, v15, v14
	v_cvt_f32_u32_e32 v14, v14
	v_sub_u32_e32 v15, 32, v64
	v_ldexp_f32 v66, v14, v15
.LBB94_2469:                            ;   in Loop: Header=BB94_17 Depth=1
	s_or_b64 exec, exec, s[68:69]
	s_andn2_b64 s[60:61], s[74:75], exec
	s_and_b64 s[62:63], s[70:71], exec
	s_andn2_b64 s[90:91], s[90:91], exec
	s_or_b64 vcc, vcc, exec
	s_or_b64 s[74:75], s[60:61], s[62:63]
.LBB94_2470:                            ;   in Loop: Header=BB94_17 Depth=1
	s_or_b64 exec, exec, s[66:67]
	s_and_b64 s[72:73], s[90:91], exec
	s_and_b64 s[90:91], vcc, exec
	s_and_b64 s[88:89], s[74:75], exec
                                        ; implicit-def: $vgpr14_vgpr15
.LBB94_2471:                            ;   in Loop: Header=BB94_17 Depth=1
	s_andn2_saveexec_b64 s[80:81], s[80:81]
	s_cbranch_execz .LBB94_2485
; %bb.2472:                             ;   in Loop: Header=BB94_17 Depth=1
	v_cmp_gt_i16_sdwa vcc, v7, v28 src0_sel:BYTE_0 src1_sel:DWORD
                                        ; implicit-def: $vgpr66
	s_and_saveexec_b64 s[60:61], vcc
	s_xor_b64 vcc, exec, s[60:61]
	s_cbranch_execz .LBB94_2478
; %bb.2473:                             ;   in Loop: Header=BB94_17 Depth=1
	v_cmp_gt_i16_sdwa s[60:61], v7, v29 src0_sel:BYTE_0 src1_sel:DWORD
                                        ; implicit-def: $vgpr66
	s_and_saveexec_b64 s[62:63], s[60:61]
	s_xor_b64 s[60:61], exec, s[62:63]
	s_cbranch_execz .LBB94_2475
; %bb.2474:                             ;   in Loop: Header=BB94_17 Depth=1
	flat_load_dword v14, v[14:15]
	s_waitcnt vmcnt(0) lgkmcnt(0)
	v_cvt_f32_u32_e32 v66, v14
                                        ; implicit-def: $vgpr14_vgpr15
.LBB94_2475:                            ;   in Loop: Header=BB94_17 Depth=1
	s_andn2_saveexec_b64 s[60:61], s[60:61]
	s_cbranch_execz .LBB94_2477
; %bb.2476:                             ;   in Loop: Header=BB94_17 Depth=1
	flat_load_ushort v14, v[14:15]
	s_waitcnt vmcnt(0) lgkmcnt(0)
	v_cvt_f32_u32_e32 v66, v14
.LBB94_2477:                            ;   in Loop: Header=BB94_17 Depth=1
	s_or_b64 exec, exec, s[60:61]
                                        ; implicit-def: $vgpr14_vgpr15
.LBB94_2478:                            ;   in Loop: Header=BB94_17 Depth=1
	s_andn2_saveexec_b64 s[74:75], vcc
	s_cbranch_execz .LBB94_2484
; %bb.2479:                             ;   in Loop: Header=BB94_17 Depth=1
	flat_load_ubyte v14, v[14:15]
	s_movk_i32 vcc_lo, 0x7f
	s_mov_b64 s[66:67], 0
                                        ; implicit-def: $sgpr70
	s_waitcnt vmcnt(0) lgkmcnt(0)
	v_cmp_lt_i16_e32 vcc, vcc_lo, v14
	s_and_saveexec_b64 s[60:61], vcc
	s_xor_b64 s[68:69], exec, s[60:61]
	s_cbranch_execnz .LBB94_3358
; %bb.2480:                             ;   in Loop: Header=BB94_17 Depth=1
	s_or_saveexec_b64 s[68:69], s[68:69]
	v_mov_b32_e32 v66, s70
	s_xor_b64 exec, exec, s[68:69]
	s_cbranch_execnz .LBB94_3361
.LBB94_2481:                            ;   in Loop: Header=BB94_17 Depth=1
	s_or_b64 exec, exec, s[68:69]
	s_and_saveexec_b64 s[68:69], s[66:67]
	s_cbranch_execz .LBB94_2483
.LBB94_2482:                            ;   in Loop: Header=BB94_17 Depth=1
	v_lshlrev_b32_e32 v15, 24, v14
	v_and_b32_e32 v14, 0xffff, v14
	v_and_b32_e32 v64, 7, v14
	v_ffbh_u32_e32 v67, v64
	v_min_u32_e32 v67, 32, v67
	v_subrev_u32_e32 v68, 28, v67
	v_bfe_u32 v66, v14, 3, 4
	v_lshlrev_b32_e32 v14, v68, v14
	v_sub_u32_e32 v67, 29, v67
	v_and_b32_e32 v14, 7, v14
	v_cmp_eq_u32_e32 vcc, 0, v66
	v_cndmask_b32_e32 v66, v66, v67, vcc
	v_cndmask_b32_e32 v14, v64, v14, vcc
	v_lshlrev_b32_e32 v14, 20, v14
	v_and_b32_e32 v15, 0x80000000, v15
	v_lshl_add_u32 v64, v66, 23, v30
	v_or3_b32 v66, v15, v64, v14
.LBB94_2483:                            ;   in Loop: Header=BB94_17 Depth=1
	s_or_b64 exec, exec, s[68:69]
.LBB94_2484:                            ;   in Loop: Header=BB94_17 Depth=1
	s_or_b64 exec, exec, s[74:75]
	s_andn2_b64 s[72:73], s[72:73], exec
	s_andn2_b64 s[90:91], s[90:91], exec
	s_or_b64 s[88:89], s[88:89], exec
.LBB94_2485:                            ;   in Loop: Header=BB94_17 Depth=1
	s_or_b64 exec, exec, s[80:81]
	s_and_b64 s[80:81], s[72:73], exec
	s_and_b64 s[90:91], s[90:91], exec
	;; [unrolled: 1-line block ×3, first 2 shown]
                                        ; implicit-def: $vgpr14_vgpr15
.LBB94_2486:                            ;   in Loop: Header=BB94_17 Depth=1
	s_andn2_saveexec_b64 s[78:79], s[78:79]
	s_cbranch_execz .LBB94_2512
; %bb.2487:                             ;   in Loop: Header=BB94_17 Depth=1
	v_cmp_gt_i16_sdwa vcc, v7, v31 src0_sel:BYTE_0 src1_sel:DWORD
	s_mov_b64 s[92:93], s[88:89]
                                        ; implicit-def: $vgpr66
	s_and_saveexec_b64 s[60:61], vcc
	s_xor_b64 s[72:73], exec, s[60:61]
	s_cbranch_execz .LBB94_2501
; %bb.2488:                             ;   in Loop: Header=BB94_17 Depth=1
	v_cmp_gt_i16_sdwa vcc, v7, v32 src0_sel:BYTE_0 src1_sel:DWORD
                                        ; implicit-def: $vgpr66
	s_and_saveexec_b64 s[60:61], vcc
	s_xor_b64 s[92:93], exec, s[60:61]
	s_cbranch_execz .LBB94_2498
; %bb.2489:                             ;   in Loop: Header=BB94_17 Depth=1
	v_cmp_gt_i16_sdwa vcc, v7, v33 src0_sel:BYTE_0 src1_sel:DWORD
                                        ; implicit-def: $vgpr66
	s_and_saveexec_b64 s[60:61], vcc
	s_xor_b64 s[74:75], exec, s[60:61]
	s_cbranch_execz .LBB94_2495
; %bb.2490:                             ;   in Loop: Header=BB94_17 Depth=1
	flat_load_ubyte v14, v[14:15]
	s_movk_i32 vcc_lo, 0x7f
	s_mov_b64 s[66:67], 0
                                        ; implicit-def: $sgpr70
	s_waitcnt vmcnt(0) lgkmcnt(0)
	v_cmp_lt_i16_e32 vcc, vcc_lo, v14
	s_and_saveexec_b64 s[60:61], vcc
	s_xor_b64 s[68:69], exec, s[60:61]
	s_cbranch_execnz .LBB94_3474
; %bb.2491:                             ;   in Loop: Header=BB94_17 Depth=1
	s_or_saveexec_b64 s[68:69], s[68:69]
	v_mov_b32_e32 v66, s70
	s_xor_b64 exec, exec, s[68:69]
	s_cbranch_execnz .LBB94_3477
.LBB94_2492:                            ;   in Loop: Header=BB94_17 Depth=1
	s_or_b64 exec, exec, s[68:69]
	s_and_saveexec_b64 s[68:69], s[66:67]
	s_cbranch_execz .LBB94_2494
.LBB94_2493:                            ;   in Loop: Header=BB94_17 Depth=1
	v_lshlrev_b32_e32 v15, 24, v14
	v_and_b32_e32 v14, 0xffff, v14
	v_and_b32_e32 v64, 3, v14
	v_ffbh_u32_e32 v67, v64
	v_min_u32_e32 v67, 32, v67
	v_subrev_u32_e32 v68, 29, v67
	v_bfe_u32 v66, v14, 2, 5
	v_lshlrev_b32_e32 v14, v68, v14
	v_sub_u32_e32 v67, 30, v67
	v_and_b32_e32 v14, 3, v14
	v_cmp_eq_u32_e32 vcc, 0, v66
	v_cndmask_b32_e32 v66, v66, v67, vcc
	v_cndmask_b32_e32 v14, v64, v14, vcc
	v_lshlrev_b32_e32 v14, 21, v14
	v_and_b32_e32 v15, 0x80000000, v15
	v_lshl_add_u32 v64, v66, 23, v34
	v_or3_b32 v66, v15, v64, v14
.LBB94_2494:                            ;   in Loop: Header=BB94_17 Depth=1
	s_or_b64 exec, exec, s[68:69]
                                        ; implicit-def: $vgpr14_vgpr15
.LBB94_2495:                            ;   in Loop: Header=BB94_17 Depth=1
	s_andn2_saveexec_b64 s[66:67], s[74:75]
	s_cbranch_execz .LBB94_2497
; %bb.2496:                             ;   in Loop: Header=BB94_17 Depth=1
	flat_load_ubyte v14, v[14:15]
	s_mov_b32 vcc_lo, 0x7f800000
	s_waitcnt vmcnt(0) lgkmcnt(0)
	v_lshlrev_b32_e32 v14, 24, v14
	v_and_b32_e32 v15, 0x7f000000, v14
	v_ffbh_u32_e32 v64, v15
	v_min_u32_e32 v64, 32, v64
	v_sub_u32_e64 v64, v64, 4 clamp
	v_lshlrev_b32_e32 v67, v64, v15
	v_lshlrev_b32_e32 v64, 23, v64
	v_lshrrev_b32_e32 v67, 4, v67
	v_add_u32_e32 v66, 0x1000000, v15
	v_sub_u32_e32 v64, v67, v64
	v_ashrrev_i32_e32 v66, 8, v66
	v_add_u32_e32 v64, 0x3c000000, v64
	v_and_or_b32 v64, v66, vcc_lo, v64
	v_cmp_ne_u32_e32 vcc, 0, v15
	v_cndmask_b32_e32 v15, 0, v64, vcc
	s_brev_b32 vcc_lo, 1
	v_and_or_b32 v66, v14, vcc_lo, v15
.LBB94_2497:                            ;   in Loop: Header=BB94_17 Depth=1
	s_or_b64 exec, exec, s[66:67]
                                        ; implicit-def: $vgpr14_vgpr15
.LBB94_2498:                            ;   in Loop: Header=BB94_17 Depth=1
	s_andn2_saveexec_b64 s[66:67], s[92:93]
	s_cbranch_execz .LBB94_2500
; %bb.2499:                             ;   in Loop: Header=BB94_17 Depth=1
	flat_load_ubyte v14, v[14:15]
	s_movk_i32 vcc_lo, 0x7f00
	s_waitcnt vmcnt(0) lgkmcnt(0)
	v_lshlrev_b16_e32 v15, 8, v14
	v_lshlrev_b32_e32 v14, 25, v14
	v_lshrrev_b32_e32 v64, 4, v14
	v_and_or_b32 v66, v15, vcc_lo, 0.5
	v_or_b32_e32 v64, 0x70000000, v64
	s_brev_b32 vcc_lo, 16
	v_add_f32_e32 v66, -0.5, v66
	v_mul_f32_e32 v64, 0x7800000, v64
	v_cmp_gt_u32_e32 vcc, vcc_lo, v14
	v_cndmask_b32_e32 v14, v64, v66, vcc
	v_bfe_i32 v15, v15, 0, 16
	s_brev_b32 vcc_lo, 1
	v_and_or_b32 v66, v15, vcc_lo, v14
.LBB94_2500:                            ;   in Loop: Header=BB94_17 Depth=1
	s_or_b64 exec, exec, s[66:67]
	s_or_b64 s[92:93], s[88:89], exec
                                        ; implicit-def: $vgpr14_vgpr15
.LBB94_2501:                            ;   in Loop: Header=BB94_17 Depth=1
	s_or_saveexec_b64 s[72:73], s[72:73]
                                        ; implicit-def: $vcc
                                        ; implicit-def: $sgpr68_sgpr69
	s_xor_b64 exec, exec, s[72:73]
	s_cbranch_execz .LBB94_2511
; %bb.2502:                             ;   in Loop: Header=BB94_17 Depth=1
	v_cmp_gt_i16_sdwa vcc, v7, v35 src0_sel:BYTE_0 src1_sel:DWORD
	s_mov_b64 s[66:67], s[92:93]
                                        ; implicit-def: $sgpr68_sgpr69
                                        ; implicit-def: $sgpr74_sgpr75
                                        ; implicit-def: $vgpr66
	s_and_saveexec_b64 s[60:61], vcc
	s_xor_b64 vcc, exec, s[60:61]
	s_cbranch_execz .LBB94_2506
; %bb.2503:                             ;   in Loop: Header=BB94_17 Depth=1
	v_cmp_eq_u16_sdwa s[62:63], v7, v36 src0_sel:BYTE_0 src1_sel:DWORD
	s_mov_b64 s[66:67], s[92:93]
                                        ; implicit-def: $vgpr66
	s_and_saveexec_b64 s[60:61], s[62:63]
	s_cbranch_execz .LBB94_2505
; %bb.2504:                             ;   in Loop: Header=BB94_17 Depth=1
	flat_load_ushort v14, v[14:15]
	s_or_b64 s[66:67], s[92:93], exec
	s_waitcnt vmcnt(0) lgkmcnt(0)
	v_lshlrev_b32_e32 v66, 16, v14
.LBB94_2505:                            ;   in Loop: Header=BB94_17 Depth=1
	s_or_b64 exec, exec, s[60:61]
	s_andn2_b64 s[60:61], s[92:93], exec
	s_and_b64 s[62:63], s[66:67], exec
	s_mov_b64 s[74:75], -1
	s_mov_b64 s[68:69], 0
	s_or_b64 s[66:67], s[60:61], s[62:63]
                                        ; implicit-def: $vgpr14_vgpr15
.LBB94_2506:                            ;   in Loop: Header=BB94_17 Depth=1
	s_andn2_saveexec_b64 s[70:71], vcc
	s_cbranch_execz .LBB94_2510
; %bb.2507:                             ;   in Loop: Header=BB94_17 Depth=1
	v_cmp_eq_u16_sdwa s[62:63], v7, v37 src0_sel:BYTE_0 src1_sel:DWORD
	s_mov_b64 vcc, s[66:67]
                                        ; implicit-def: $vgpr66
	s_and_saveexec_b64 s[60:61], s[62:63]
	s_cbranch_execz .LBB94_2509
; %bb.2508:                             ;   in Loop: Header=BB94_17 Depth=1
	flat_load_ubyte v14, v[14:15]
	s_waitcnt vmcnt(0) lgkmcnt(0)
	v_cmp_ne_u16_e32 vcc, 0, v14
	v_cndmask_b32_e64 v66, 0, 1.0, vcc
	s_or_b64 vcc, s[66:67], exec
.LBB94_2509:                            ;   in Loop: Header=BB94_17 Depth=1
	s_or_b64 exec, exec, s[60:61]
	s_andn2_b64 s[60:61], s[66:67], exec
	s_and_b64 vcc, vcc, exec
	s_andn2_b64 s[68:69], s[68:69], exec
	s_or_b64 s[74:75], s[74:75], exec
	s_or_b64 s[66:67], s[60:61], vcc
.LBB94_2510:                            ;   in Loop: Header=BB94_17 Depth=1
	s_or_b64 exec, exec, s[70:71]
	s_andn2_b64 s[60:61], s[92:93], exec
	s_and_b64 s[62:63], s[66:67], exec
	s_and_b64 s[68:69], s[68:69], exec
	s_and_b64 vcc, s[74:75], exec
	s_or_b64 s[92:93], s[60:61], s[62:63]
.LBB94_2511:                            ;   in Loop: Header=BB94_17 Depth=1
	s_or_b64 exec, exec, s[72:73]
	s_andn2_b64 s[60:61], s[80:81], exec
	s_and_b64 s[62:63], s[68:69], exec
	s_or_b64 s[80:81], s[60:61], s[62:63]
	s_andn2_b64 s[60:61], s[90:91], exec
	s_and_b64 vcc, vcc, exec
	s_or_b64 s[90:91], s[60:61], vcc
	s_andn2_b64 vcc, s[88:89], exec
	s_and_b64 s[60:61], s[92:93], exec
	s_or_b64 s[88:89], vcc, s[60:61]
.LBB94_2512:                            ;   in Loop: Header=BB94_17 Depth=1
	s_or_b64 exec, exec, s[78:79]
	s_and_b64 s[80:81], s[80:81], exec
	s_and_b64 s[78:79], s[90:91], exec
	s_and_b64 vcc, s[88:89], exec
                                        ; implicit-def: $vgpr14_vgpr15
	s_andn2_saveexec_b64 s[86:87], s[86:87]
	s_cbranch_execz .LBB94_2337
.LBB94_2513:                            ;   in Loop: Header=BB94_17 Depth=1
	v_cmp_gt_i16_sdwa s[60:61], v7, v38 src0_sel:BYTE_0 src1_sel:DWORD
                                        ; implicit-def: $vgpr66
	s_and_saveexec_b64 s[62:63], s[60:61]
	s_xor_b64 s[72:73], exec, s[62:63]
	s_cbranch_execz .LBB94_2535
; %bb.2514:                             ;   in Loop: Header=BB94_17 Depth=1
	v_cmp_gt_i16_sdwa s[60:61], v7, v39 src0_sel:BYTE_0 src1_sel:DWORD
                                        ; implicit-def: $vgpr66
	s_and_saveexec_b64 s[62:63], s[60:61]
	s_xor_b64 s[66:67], exec, s[62:63]
	s_cbranch_execz .LBB94_2524
; %bb.2515:                             ;   in Loop: Header=BB94_17 Depth=1
	;; [unrolled: 6-line block ×4, first 2 shown]
	flat_load_dwordx2 v[14:15], v[14:15]
	s_waitcnt vmcnt(0) lgkmcnt(0)
	v_cvt_f32_f64_e32 v66, v[14:15]
                                        ; implicit-def: $vgpr14_vgpr15
.LBB94_2518:                            ;   in Loop: Header=BB94_17 Depth=1
	s_andn2_saveexec_b64 s[60:61], s[60:61]
	s_cbranch_execz .LBB94_2520
; %bb.2519:                             ;   in Loop: Header=BB94_17 Depth=1
	flat_load_dword v66, v[14:15]
.LBB94_2520:                            ;   in Loop: Header=BB94_17 Depth=1
	s_or_b64 exec, exec, s[60:61]
                                        ; implicit-def: $vgpr14_vgpr15
.LBB94_2521:                            ;   in Loop: Header=BB94_17 Depth=1
	s_andn2_saveexec_b64 s[60:61], s[68:69]
	s_cbranch_execz .LBB94_2523
; %bb.2522:                             ;   in Loop: Header=BB94_17 Depth=1
	flat_load_dword v14, v[14:15]
	s_waitcnt vmcnt(0) lgkmcnt(0)
	v_cvt_f32_f16_e32 v66, v14
.LBB94_2523:                            ;   in Loop: Header=BB94_17 Depth=1
	s_or_b64 exec, exec, s[60:61]
                                        ; implicit-def: $vgpr14_vgpr15
.LBB94_2524:                            ;   in Loop: Header=BB94_17 Depth=1
	s_andn2_saveexec_b64 s[66:67], s[66:67]
	s_cbranch_execz .LBB94_2534
; %bb.2525:                             ;   in Loop: Header=BB94_17 Depth=1
	v_cmp_gt_i16_sdwa s[60:61], v7, v50 src0_sel:BYTE_0 src1_sel:DWORD
                                        ; implicit-def: $vgpr66
	s_and_saveexec_b64 s[62:63], s[60:61]
	s_xor_b64 s[68:69], exec, s[62:63]
	s_cbranch_execz .LBB94_2531
; %bb.2526:                             ;   in Loop: Header=BB94_17 Depth=1
	v_cmp_gt_i16_sdwa s[60:61], v7, v51 src0_sel:BYTE_0 src1_sel:DWORD
                                        ; implicit-def: $vgpr66
	s_and_saveexec_b64 s[62:63], s[60:61]
	s_xor_b64 s[60:61], exec, s[62:63]
	s_cbranch_execz .LBB94_2528
; %bb.2527:                             ;   in Loop: Header=BB94_17 Depth=1
	flat_load_dwordx2 v[14:15], v[14:15]
	s_waitcnt vmcnt(0) lgkmcnt(0)
	v_cvt_f32_f64_e32 v66, v[14:15]
                                        ; implicit-def: $vgpr14_vgpr15
.LBB94_2528:                            ;   in Loop: Header=BB94_17 Depth=1
	s_andn2_saveexec_b64 s[60:61], s[60:61]
	s_cbranch_execz .LBB94_2530
; %bb.2529:                             ;   in Loop: Header=BB94_17 Depth=1
	s_waitcnt vmcnt(0) lgkmcnt(0)
	flat_load_dword v66, v[14:15]
.LBB94_2530:                            ;   in Loop: Header=BB94_17 Depth=1
	s_or_b64 exec, exec, s[60:61]
                                        ; implicit-def: $vgpr14_vgpr15
.LBB94_2531:                            ;   in Loop: Header=BB94_17 Depth=1
	s_andn2_saveexec_b64 s[60:61], s[68:69]
	s_cbranch_execz .LBB94_2533
; %bb.2532:                             ;   in Loop: Header=BB94_17 Depth=1
	flat_load_ushort v14, v[14:15]
	s_waitcnt vmcnt(0) lgkmcnt(0)
	v_cvt_f32_f16_e32 v66, v14
.LBB94_2533:                            ;   in Loop: Header=BB94_17 Depth=1
	s_or_b64 exec, exec, s[60:61]
.LBB94_2534:                            ;   in Loop: Header=BB94_17 Depth=1
	s_or_b64 exec, exec, s[66:67]
                                        ; implicit-def: $vgpr14_vgpr15
.LBB94_2535:                            ;   in Loop: Header=BB94_17 Depth=1
	s_andn2_saveexec_b64 s[72:73], s[72:73]
	s_cbranch_execz .LBB94_2553
; %bb.2536:                             ;   in Loop: Header=BB94_17 Depth=1
	v_cmp_gt_i16_sdwa s[60:61], v7, v52 src0_sel:BYTE_0 src1_sel:DWORD
                                        ; implicit-def: $vgpr66
	s_and_saveexec_b64 s[62:63], s[60:61]
	s_xor_b64 s[74:75], exec, s[62:63]
	s_cbranch_execz .LBB94_2546
; %bb.2537:                             ;   in Loop: Header=BB94_17 Depth=1
	v_cmp_gt_i16_sdwa s[60:61], v7, v53 src0_sel:BYTE_0 src1_sel:DWORD
                                        ; implicit-def: $vgpr66
	s_and_saveexec_b64 s[62:63], s[60:61]
	s_xor_b64 s[66:67], exec, s[62:63]
	;; [unrolled: 6-line block ×3, first 2 shown]
	s_cbranch_execz .LBB94_2540
; %bb.2539:                             ;   in Loop: Header=BB94_17 Depth=1
	flat_load_dwordx2 v[14:15], v[14:15]
	s_waitcnt vmcnt(0) lgkmcnt(0)
	v_xor_b32_e32 v66, v14, v15
	v_ffbh_i32_e32 v64, v15
	v_ashrrev_i32_e32 v66, 31, v66
	v_add_u32_e32 v64, -1, v64
	v_add_u32_e32 v66, 32, v66
	v_min_u32_e32 v64, v64, v66
	v_lshlrev_b64 v[14:15], v64, v[14:15]
	v_min_u32_e32 v14, 1, v14
	v_or_b32_e32 v14, v15, v14
	v_cvt_f32_i32_e32 v14, v14
	v_sub_u32_e32 v15, 32, v64
	v_ldexp_f32 v66, v14, v15
                                        ; implicit-def: $vgpr14_vgpr15
.LBB94_2540:                            ;   in Loop: Header=BB94_17 Depth=1
	s_andn2_saveexec_b64 s[60:61], s[68:69]
	s_cbranch_execz .LBB94_2542
; %bb.2541:                             ;   in Loop: Header=BB94_17 Depth=1
	flat_load_dword v14, v[14:15]
	s_waitcnt vmcnt(0) lgkmcnt(0)
	v_cvt_f32_i32_e32 v66, v14
.LBB94_2542:                            ;   in Loop: Header=BB94_17 Depth=1
	s_or_b64 exec, exec, s[60:61]
                                        ; implicit-def: $vgpr14_vgpr15
.LBB94_2543:                            ;   in Loop: Header=BB94_17 Depth=1
	s_andn2_saveexec_b64 s[60:61], s[66:67]
	s_cbranch_execz .LBB94_2545
; %bb.2544:                             ;   in Loop: Header=BB94_17 Depth=1
	flat_load_sshort v14, v[14:15]
	s_waitcnt vmcnt(0) lgkmcnt(0)
	v_cvt_f32_i32_e32 v66, v14
.LBB94_2545:                            ;   in Loop: Header=BB94_17 Depth=1
	s_or_b64 exec, exec, s[60:61]
                                        ; implicit-def: $vgpr14_vgpr15
.LBB94_2546:                            ;   in Loop: Header=BB94_17 Depth=1
	s_andn2_saveexec_b64 s[66:67], s[74:75]
	s_cbranch_execz .LBB94_2552
; %bb.2547:                             ;   in Loop: Header=BB94_17 Depth=1
	v_cmp_gt_i16_sdwa s[60:61], v7, v16 src0_sel:BYTE_0 src1_sel:DWORD
                                        ; implicit-def: $vgpr66
	s_and_saveexec_b64 s[62:63], s[60:61]
	s_xor_b64 s[60:61], exec, s[62:63]
	s_cbranch_execz .LBB94_2549
; %bb.2548:                             ;   in Loop: Header=BB94_17 Depth=1
	flat_load_sbyte v14, v[14:15]
	s_waitcnt vmcnt(0) lgkmcnt(0)
	v_cvt_f32_i32_e32 v66, v14
                                        ; implicit-def: $vgpr14_vgpr15
.LBB94_2549:                            ;   in Loop: Header=BB94_17 Depth=1
	s_andn2_saveexec_b64 s[60:61], s[60:61]
	s_cbranch_execz .LBB94_2551
; %bb.2550:                             ;   in Loop: Header=BB94_17 Depth=1
	flat_load_ubyte v14, v[14:15]
	s_waitcnt vmcnt(0) lgkmcnt(0)
	v_cvt_f32_ubyte0_e32 v66, v14
.LBB94_2551:                            ;   in Loop: Header=BB94_17 Depth=1
	s_or_b64 exec, exec, s[60:61]
.LBB94_2552:                            ;   in Loop: Header=BB94_17 Depth=1
	s_or_b64 exec, exec, s[66:67]
.LBB94_2553:                            ;   in Loop: Header=BB94_17 Depth=1
	s_or_b64 exec, exec, s[72:73]
	s_andn2_b64 s[80:81], s[80:81], exec
	s_andn2_b64 s[78:79], s[78:79], exec
	s_or_b64 vcc, vcc, exec
	s_or_b64 exec, exec, s[86:87]
	s_mov_b64 s[66:67], 0
	s_and_saveexec_b64 s[86:87], vcc
	s_cbranch_execz .LBB94_2559
.LBB94_2554:                            ;   in Loop: Header=BB94_17 Depth=1
	v_mul_lo_u32 v14, v65, v10
	v_readlane_b32 s60, v44, 0
	v_add_co_u32_e32 v14, vcc, v4, v14
	v_add_u32_e32 v64, s60, v17
	v_addc_co_u32_e32 v15, vcc, 0, v5, vcc
	v_cmp_gt_i16_sdwa s[60:61], v8, v18 src0_sel:BYTE_0 src1_sel:DWORD
	s_mov_b64 s[92:93], 0
	s_waitcnt vmcnt(0) lgkmcnt(0)
	buffer_store_dword v66, v64, s[0:3], 0 offen offset:92
                                        ; implicit-def: $vcc
                                        ; implicit-def: $sgpr90_sgpr91
                                        ; implicit-def: $vgpr65
	s_and_saveexec_b64 s[62:63], s[60:61]
	s_xor_b64 s[88:89], exec, s[62:63]
	s_cbranch_execnz .LBB94_2581
; %bb.2555:                             ;   in Loop: Header=BB94_17 Depth=1
	s_andn2_saveexec_b64 s[88:89], s[88:89]
	s_cbranch_execnz .LBB94_2640
.LBB94_2556:                            ;   in Loop: Header=BB94_17 Depth=1
	s_or_b64 exec, exec, s[88:89]
	s_mov_b64 s[66:67], 0
	s_and_saveexec_b64 s[68:69], s[92:93]
	s_cbranch_execz .LBB94_2558
.LBB94_2557:                            ;   in Loop: Header=BB94_17 Depth=1
	s_mov_b64 s[66:67], exec
	v_add_u32_e32 v55, 0x200, v55
	s_andn2_b64 s[90:91], s[90:91], exec
	s_andn2_b64 vcc, vcc, exec
	s_waitcnt vmcnt(0) lgkmcnt(0)
	buffer_store_dword v65, v64, s[0:3], 0 offen offset:88
.LBB94_2558:                            ;   in Loop: Header=BB94_17 Depth=1
	s_or_b64 exec, exec, s[68:69]
	s_andn2_b64 s[60:61], s[80:81], exec
	s_and_b64 s[62:63], s[90:91], exec
	s_or_b64 s[80:81], s[60:61], s[62:63]
	s_andn2_b64 s[60:61], s[78:79], exec
	s_and_b64 vcc, vcc, exec
	s_or_b64 s[78:79], s[60:61], vcc
	s_and_b64 s[66:67], s[66:67], exec
.LBB94_2559:                            ;   in Loop: Header=BB94_17 Depth=1
	s_or_b64 exec, exec, s[86:87]
	s_and_b64 vcc, s[80:81], exec
	v_writelane_b32 v44, vcc_lo, 18
	v_writelane_b32 v44, vcc_hi, 19
	s_and_b64 s[62:63], s[78:79], exec
	s_orn2_b64 s[66:67], s[66:67], exec
.LBB94_2560:                            ;   in Loop: Header=BB94_17 Depth=1
	s_or_b64 exec, exec, s[82:83]
	s_and_saveexec_b64 s[82:83], s[66:67]
	s_cbranch_execz .LBB94_5
; %bb.2561:                             ;   in Loop: Header=BB94_17 Depth=1
	v_writelane_b32 v44, s62, 20
	v_cmp_lt_i32_e32 vcc, v55, v6
	s_mov_b64 s[90:91], -1
	s_mov_b64 s[66:67], -1
	v_writelane_b32 v44, s63, 21
                                        ; implicit-def: $sgpr62_sgpr63
                                        ; implicit-def: $sgpr60_sgpr61
                                        ; kill: killed $sgpr60_sgpr61
	s_and_saveexec_b64 s[88:89], vcc
	s_cbranch_execz .LBB94_2887
; %bb.2562:                             ;   in Loop: Header=BB94_17 Depth=1
	v_readlane_b32 vcc_lo, v44, 1
	s_waitcnt vmcnt(0) lgkmcnt(0)
	v_add_u32_e32 v65, vcc_lo, v55
	v_mul_lo_u32 v14, v65, v9
	v_add_co_u32_e32 v14, vcc, v2, v14
	v_addc_co_u32_e32 v15, vcc, 0, v3, vcc
	v_cmp_gt_i16_sdwa s[60:61], v7, v18 src0_sel:BYTE_0 src1_sel:DWORD
	s_mov_b64 vcc, 0
                                        ; implicit-def: $sgpr84_sgpr85
                                        ; implicit-def: $sgpr86_sgpr87
                                        ; implicit-def: $vgpr66
	s_and_saveexec_b64 s[62:63], s[60:61]
	s_xor_b64 s[92:93], exec, s[62:63]
	s_cbranch_execnz .LBB94_2681
; %bb.2563:                             ;   in Loop: Header=BB94_17 Depth=1
	s_andn2_saveexec_b64 s[78:79], s[92:93]
	s_cbranch_execnz .LBB94_2740
.LBB94_2564:                            ;   in Loop: Header=BB94_17 Depth=1
	s_or_b64 exec, exec, s[78:79]
	s_mov_b64 s[66:67], 0
	s_and_saveexec_b64 s[92:93], vcc
	s_cbranch_execnz .LBB94_2781
	s_branch .LBB94_2886
.LBB94_2565:                            ;   in Loop: Header=BB94_17 Depth=1
	s_movk_i32 vcc_lo, 0x80
	v_cmp_eq_u16_e32 vcc, vcc_lo, v14
	s_mov_b64 s[74:75], -1
                                        ; implicit-def: $sgpr80
	s_and_saveexec_b64 s[78:79], vcc
; %bb.2566:                             ;   in Loop: Header=BB94_17 Depth=1
	s_mov_b32 s80, 0x7f800001
	s_xor_b64 s[74:75], exec, -1
; %bb.2567:                             ;   in Loop: Header=BB94_17 Depth=1
	s_or_b64 exec, exec, s[78:79]
	s_and_b64 s[74:75], s[74:75], exec
	s_or_saveexec_b64 s[76:77], s[76:77]
	v_mov_b32_e32 v64, s80
	s_xor_b64 exec, exec, s[76:77]
	s_cbranch_execz .LBB94_1484
.LBB94_2568:                            ;   in Loop: Header=BB94_17 Depth=1
	v_cmp_ne_u16_e32 vcc, 0, v14
	s_andn2_b64 s[74:75], s[74:75], exec
	s_and_b64 vcc, vcc, exec
	v_mov_b32_e32 v64, 0
	s_or_b64 s[74:75], s[74:75], vcc
	s_or_b64 exec, exec, s[76:77]
	s_and_saveexec_b64 s[76:77], s[74:75]
	s_cbranch_execnz .LBB94_1485
	s_branch .LBB94_1486
.LBB94_2569:                            ;   in Loop: Header=BB94_17 Depth=1
	s_movk_i32 vcc_lo, 0x80
	v_cmp_eq_u16_e32 vcc, vcc_lo, v14
	s_mov_b64 s[74:75], -1
                                        ; implicit-def: $sgpr80
	s_and_saveexec_b64 s[78:79], vcc
; %bb.2570:                             ;   in Loop: Header=BB94_17 Depth=1
	s_mov_b32 s80, 0x7f800001
	s_xor_b64 s[74:75], exec, -1
; %bb.2571:                             ;   in Loop: Header=BB94_17 Depth=1
	s_or_b64 exec, exec, s[78:79]
	s_and_b64 s[74:75], s[74:75], exec
	s_or_saveexec_b64 s[76:77], s[76:77]
	v_mov_b32_e32 v66, s80
	s_xor_b64 exec, exec, s[76:77]
	s_cbranch_execz .LBB94_1584
.LBB94_2572:                            ;   in Loop: Header=BB94_17 Depth=1
	v_cmp_ne_u16_e32 vcc, 0, v14
	s_andn2_b64 s[74:75], s[74:75], exec
	s_and_b64 vcc, vcc, exec
	v_mov_b32_e32 v66, 0
	s_or_b64 s[74:75], s[74:75], vcc
	s_or_b64 exec, exec, s[76:77]
	s_and_saveexec_b64 s[76:77], s[74:75]
	s_cbranch_execnz .LBB94_1585
	s_branch .LBB94_1586
.LBB94_2573:                            ;   in Loop: Header=BB94_17 Depth=1
	s_movk_i32 vcc_lo, 0x80
	v_cmp_eq_u16_e32 vcc, vcc_lo, v14
	s_mov_b64 s[78:79], -1
                                        ; implicit-def: $sgpr84
	s_and_saveexec_b64 s[82:83], vcc
; %bb.2574:                             ;   in Loop: Header=BB94_17 Depth=1
	s_mov_b32 s84, 0x7f800001
	s_xor_b64 s[78:79], exec, -1
; %bb.2575:                             ;   in Loop: Header=BB94_17 Depth=1
	s_or_b64 exec, exec, s[82:83]
	s_and_b64 s[78:79], s[78:79], exec
	s_or_saveexec_b64 s[80:81], s[80:81]
	v_mov_b32_e32 v64, s84
	s_xor_b64 exec, exec, s[80:81]
	s_cbranch_execz .LBB94_1700
.LBB94_2576:                            ;   in Loop: Header=BB94_17 Depth=1
	v_cmp_ne_u16_e32 vcc, 0, v14
	s_andn2_b64 s[78:79], s[78:79], exec
	s_and_b64 vcc, vcc, exec
	v_mov_b32_e32 v64, 0
	s_or_b64 s[78:79], s[78:79], vcc
	s_or_b64 exec, exec, s[80:81]
	s_and_saveexec_b64 s[80:81], s[78:79]
	s_cbranch_execnz .LBB94_1701
	s_branch .LBB94_1702
.LBB94_2577:                            ;   in Loop: Header=BB94_17 Depth=1
	s_movk_i32 vcc_lo, 0x80
	v_cmp_eq_u16_e32 vcc, vcc_lo, v14
	s_mov_b64 s[78:79], -1
                                        ; implicit-def: $sgpr84
	s_and_saveexec_b64 s[82:83], vcc
; %bb.2578:                             ;   in Loop: Header=BB94_17 Depth=1
	s_mov_b32 s84, 0x7f800001
	s_xor_b64 s[78:79], exec, -1
; %bb.2579:                             ;   in Loop: Header=BB94_17 Depth=1
	s_or_b64 exec, exec, s[82:83]
	s_and_b64 s[78:79], s[78:79], exec
	s_or_saveexec_b64 s[80:81], s[80:81]
	v_mov_b32_e32 v66, s84
	s_xor_b64 exec, exec, s[80:81]
	s_cbranch_execz .LBB94_1800
.LBB94_2580:                            ;   in Loop: Header=BB94_17 Depth=1
	v_cmp_ne_u16_e32 vcc, 0, v14
	s_andn2_b64 s[78:79], s[78:79], exec
	s_and_b64 vcc, vcc, exec
	v_mov_b32_e32 v66, 0
	s_or_b64 s[78:79], s[78:79], vcc
	s_or_b64 exec, exec, s[80:81]
	s_and_saveexec_b64 s[80:81], s[78:79]
	s_cbranch_execnz .LBB94_1801
	s_branch .LBB94_1802
.LBB94_2581:                            ;   in Loop: Header=BB94_17 Depth=1
	v_cmp_gt_i16_sdwa vcc, v8, v19 src0_sel:BYTE_0 src1_sel:DWORD
	s_mov_b64 s[74:75], 0
                                        ; implicit-def: $sgpr94_sgpr95
                                        ; implicit-def: $sgpr96_sgpr97
                                        ; implicit-def: $vgpr65
	s_and_saveexec_b64 s[60:61], vcc
	s_xor_b64 s[90:91], exec, s[60:61]
	s_cbranch_execz .LBB94_2613
; %bb.2582:                             ;   in Loop: Header=BB94_17 Depth=1
	v_cmp_gt_i16_sdwa vcc, v8, v20 src0_sel:BYTE_0 src1_sel:DWORD
                                        ; implicit-def: $sgpr72_sgpr73
                                        ; implicit-def: $sgpr96_sgpr97
                                        ; implicit-def: $vgpr65
	s_and_saveexec_b64 s[60:61], vcc
	s_xor_b64 s[94:95], exec, s[60:61]
	s_cbranch_execz .LBB94_2598
; %bb.2583:                             ;   in Loop: Header=BB94_17 Depth=1
	v_cmp_gt_i16_sdwa s[60:61], v8, v21 src0_sel:BYTE_0 src1_sel:DWORD
                                        ; implicit-def: $vcc
                                        ; implicit-def: $sgpr96_sgpr97
                                        ; implicit-def: $vgpr65
	s_and_saveexec_b64 s[62:63], s[60:61]
	s_xor_b64 s[72:73], exec, s[62:63]
	s_cbranch_execz .LBB94_2593
; %bb.2584:                             ;   in Loop: Header=BB94_17 Depth=1
	v_cmp_gt_i16_sdwa vcc, v8, v22 src0_sel:BYTE_0 src1_sel:DWORD
                                        ; implicit-def: $sgpr96_sgpr97
                                        ; implicit-def: $sgpr74_sgpr75
                                        ; implicit-def: $vgpr65
	s_and_saveexec_b64 s[60:61], vcc
	s_xor_b64 vcc, exec, s[60:61]
	s_cbranch_execz .LBB94_2588
; %bb.2585:                             ;   in Loop: Header=BB94_17 Depth=1
	v_cmp_eq_u16_sdwa s[62:63], v8, v23 src0_sel:BYTE_0 src1_sel:DWORD
	s_mov_b64 s[74:75], 0
                                        ; implicit-def: $vgpr65
	s_and_saveexec_b64 s[60:61], s[62:63]
	s_cbranch_execz .LBB94_2587
; %bb.2586:                             ;   in Loop: Header=BB94_17 Depth=1
	flat_load_dword v14, v[14:15]
	s_mov_b64 s[66:67], exec
	s_waitcnt vmcnt(0) lgkmcnt(0)
	v_lshlrev_b32_e32 v65, 16, v14
.LBB94_2587:                            ;   in Loop: Header=BB94_17 Depth=1
	s_or_b64 exec, exec, s[60:61]
	s_mov_b64 s[96:97], -1
	s_and_b64 s[92:93], s[66:67], exec
                                        ; implicit-def: $vgpr14_vgpr15
.LBB94_2588:                            ;   in Loop: Header=BB94_17 Depth=1
	s_andn2_saveexec_b64 s[66:67], vcc
	s_cbranch_execz .LBB94_2592
; %bb.2589:                             ;   in Loop: Header=BB94_17 Depth=1
	v_cmp_eq_u16_sdwa s[60:61], v8, v24 src0_sel:BYTE_0 src1_sel:DWORD
	s_mov_b64 vcc, s[92:93]
                                        ; implicit-def: $vgpr65
	s_and_saveexec_b64 s[68:69], s[60:61]
	s_cbranch_execz .LBB94_2591
; %bb.2590:                             ;   in Loop: Header=BB94_17 Depth=1
	flat_load_ubyte v14, v[14:15]
	s_movk_i32 vcc_lo, 0xff
	s_waitcnt vmcnt(0) lgkmcnt(0)
	v_lshlrev_b32_e32 v15, 23, v14
	v_cmp_ne_u32_e32 vcc, vcc_lo, v14
	v_cndmask_b32_e32 v15, v25, v15, vcc
	v_cmp_ne_u32_e32 vcc, 0, v14
	v_cndmask_b32_e32 v65, v26, v15, vcc
	s_or_b64 vcc, s[92:93], exec
.LBB94_2591:                            ;   in Loop: Header=BB94_17 Depth=1
	s_or_b64 exec, exec, s[68:69]
	s_andn2_b64 s[60:61], s[92:93], exec
	s_and_b64 vcc, vcc, exec
	s_or_b64 s[96:97], s[96:97], exec
	s_andn2_b64 s[74:75], s[74:75], exec
	s_or_b64 s[92:93], s[60:61], vcc
.LBB94_2592:                            ;   in Loop: Header=BB94_17 Depth=1
	s_or_b64 exec, exec, s[66:67]
	s_and_b64 s[96:97], s[96:97], exec
	s_and_b64 vcc, s[74:75], exec
	s_and_b64 s[74:75], s[92:93], exec
                                        ; implicit-def: $vgpr14_vgpr15
.LBB94_2593:                            ;   in Loop: Header=BB94_17 Depth=1
	s_andn2_saveexec_b64 s[66:67], s[72:73]
	s_cbranch_execz .LBB94_2597
; %bb.2594:                             ;   in Loop: Header=BB94_17 Depth=1
	v_cmp_eq_u16_sdwa s[60:61], v8, v27 src0_sel:BYTE_0 src1_sel:DWORD
	s_mov_b64 s[70:71], s[74:75]
                                        ; implicit-def: $vgpr65
	s_and_saveexec_b64 s[68:69], s[60:61]
	s_cbranch_execz .LBB94_2596
; %bb.2595:                             ;   in Loop: Header=BB94_17 Depth=1
	flat_load_dwordx2 v[14:15], v[14:15]
	s_or_b64 s[70:71], s[74:75], exec
	s_waitcnt vmcnt(0) lgkmcnt(0)
	v_ffbh_u32_e32 v65, v15
	v_min_u32_e32 v65, 32, v65
	v_lshlrev_b64 v[14:15], v65, v[14:15]
	v_min_u32_e32 v14, 1, v14
	v_or_b32_e32 v14, v15, v14
	v_cvt_f32_u32_e32 v14, v14
	v_sub_u32_e32 v15, 32, v65
	v_ldexp_f32 v65, v14, v15
.LBB94_2596:                            ;   in Loop: Header=BB94_17 Depth=1
	s_or_b64 exec, exec, s[68:69]
	s_andn2_b64 s[60:61], s[74:75], exec
	s_and_b64 s[62:63], s[70:71], exec
	s_or_b64 s[96:97], s[96:97], exec
	s_andn2_b64 vcc, vcc, exec
	s_or_b64 s[74:75], s[60:61], s[62:63]
.LBB94_2597:                            ;   in Loop: Header=BB94_17 Depth=1
	s_or_b64 exec, exec, s[66:67]
	s_and_b64 s[96:97], s[96:97], exec
	s_and_b64 s[72:73], vcc, exec
	s_and_b64 s[92:93], s[74:75], exec
                                        ; implicit-def: $vgpr14_vgpr15
.LBB94_2598:                            ;   in Loop: Header=BB94_17 Depth=1
	s_andn2_saveexec_b64 s[94:95], s[94:95]
	s_cbranch_execz .LBB94_2612
; %bb.2599:                             ;   in Loop: Header=BB94_17 Depth=1
	v_cmp_gt_i16_sdwa vcc, v8, v28 src0_sel:BYTE_0 src1_sel:DWORD
                                        ; implicit-def: $vgpr65
	s_and_saveexec_b64 s[60:61], vcc
	s_xor_b64 vcc, exec, s[60:61]
	s_cbranch_execz .LBB94_2605
; %bb.2600:                             ;   in Loop: Header=BB94_17 Depth=1
	v_cmp_gt_i16_sdwa s[60:61], v8, v29 src0_sel:BYTE_0 src1_sel:DWORD
                                        ; implicit-def: $vgpr65
	s_and_saveexec_b64 s[62:63], s[60:61]
	s_xor_b64 s[60:61], exec, s[62:63]
	s_cbranch_execz .LBB94_2602
; %bb.2601:                             ;   in Loop: Header=BB94_17 Depth=1
	flat_load_dword v14, v[14:15]
	s_waitcnt vmcnt(0) lgkmcnt(0)
	v_cvt_f32_u32_e32 v65, v14
                                        ; implicit-def: $vgpr14_vgpr15
.LBB94_2602:                            ;   in Loop: Header=BB94_17 Depth=1
	s_andn2_saveexec_b64 s[60:61], s[60:61]
	s_cbranch_execz .LBB94_2604
; %bb.2603:                             ;   in Loop: Header=BB94_17 Depth=1
	flat_load_ushort v14, v[14:15]
	s_waitcnt vmcnt(0) lgkmcnt(0)
	v_cvt_f32_u32_e32 v65, v14
.LBB94_2604:                            ;   in Loop: Header=BB94_17 Depth=1
	s_or_b64 exec, exec, s[60:61]
                                        ; implicit-def: $vgpr14_vgpr15
.LBB94_2605:                            ;   in Loop: Header=BB94_17 Depth=1
	s_andn2_saveexec_b64 s[74:75], vcc
	s_cbranch_execz .LBB94_2611
; %bb.2606:                             ;   in Loop: Header=BB94_17 Depth=1
	flat_load_ubyte v14, v[14:15]
	s_movk_i32 vcc_lo, 0x7f
	s_mov_b64 s[66:67], 0
                                        ; implicit-def: $sgpr70
	s_waitcnt vmcnt(0) lgkmcnt(0)
	v_cmp_lt_i16_e32 vcc, vcc_lo, v14
	s_and_saveexec_b64 s[60:61], vcc
	s_xor_b64 s[68:69], exec, s[60:61]
	s_cbranch_execnz .LBB94_3478
; %bb.2607:                             ;   in Loop: Header=BB94_17 Depth=1
	s_or_saveexec_b64 s[68:69], s[68:69]
	v_mov_b32_e32 v65, s70
	s_xor_b64 exec, exec, s[68:69]
	s_cbranch_execnz .LBB94_3481
.LBB94_2608:                            ;   in Loop: Header=BB94_17 Depth=1
	s_or_b64 exec, exec, s[68:69]
	s_and_saveexec_b64 s[68:69], s[66:67]
	s_cbranch_execz .LBB94_2610
.LBB94_2609:                            ;   in Loop: Header=BB94_17 Depth=1
	v_lshlrev_b32_e32 v15, 24, v14
	v_and_b32_e32 v14, 0xffff, v14
	v_and_b32_e32 v65, 7, v14
	v_ffbh_u32_e32 v67, v65
	v_min_u32_e32 v67, 32, v67
	v_subrev_u32_e32 v68, 28, v67
	v_bfe_u32 v66, v14, 3, 4
	v_lshlrev_b32_e32 v14, v68, v14
	v_sub_u32_e32 v67, 29, v67
	v_and_b32_e32 v14, 7, v14
	v_cmp_eq_u32_e32 vcc, 0, v66
	v_cndmask_b32_e32 v66, v66, v67, vcc
	v_cndmask_b32_e32 v14, v65, v14, vcc
	v_lshlrev_b32_e32 v14, 20, v14
	v_and_b32_e32 v15, 0x80000000, v15
	v_lshl_add_u32 v65, v66, 23, v30
	v_or3_b32 v65, v15, v65, v14
.LBB94_2610:                            ;   in Loop: Header=BB94_17 Depth=1
	s_or_b64 exec, exec, s[68:69]
.LBB94_2611:                            ;   in Loop: Header=BB94_17 Depth=1
	s_or_b64 exec, exec, s[74:75]
	s_andn2_b64 s[96:97], s[96:97], exec
	s_andn2_b64 s[72:73], s[72:73], exec
	s_or_b64 s[92:93], s[92:93], exec
.LBB94_2612:                            ;   in Loop: Header=BB94_17 Depth=1
	s_or_b64 exec, exec, s[94:95]
	s_and_b64 s[96:97], s[96:97], exec
	s_and_b64 s[94:95], s[72:73], exec
	;; [unrolled: 1-line block ×3, first 2 shown]
                                        ; implicit-def: $vgpr14_vgpr15
.LBB94_2613:                            ;   in Loop: Header=BB94_17 Depth=1
	s_andn2_saveexec_b64 s[90:91], s[90:91]
	s_cbranch_execz .LBB94_2639
; %bb.2614:                             ;   in Loop: Header=BB94_17 Depth=1
	v_cmp_gt_i16_sdwa vcc, v8, v31 src0_sel:BYTE_0 src1_sel:DWORD
	s_mov_b64 s[92:93], s[74:75]
                                        ; implicit-def: $vgpr65
	s_and_saveexec_b64 s[60:61], vcc
	s_xor_b64 s[72:73], exec, s[60:61]
	s_cbranch_execz .LBB94_2628
; %bb.2615:                             ;   in Loop: Header=BB94_17 Depth=1
	v_cmp_gt_i16_sdwa vcc, v8, v32 src0_sel:BYTE_0 src1_sel:DWORD
                                        ; implicit-def: $vgpr65
	s_and_saveexec_b64 s[60:61], vcc
	s_xor_b64 s[62:63], exec, s[60:61]
	s_cbranch_execz .LBB94_2625
; %bb.2616:                             ;   in Loop: Header=BB94_17 Depth=1
	v_cmp_gt_i16_sdwa vcc, v8, v33 src0_sel:BYTE_0 src1_sel:DWORD
                                        ; implicit-def: $vgpr65
	s_and_saveexec_b64 s[60:61], vcc
	s_xor_b64 s[92:93], exec, s[60:61]
	s_cbranch_execz .LBB94_2622
; %bb.2617:                             ;   in Loop: Header=BB94_17 Depth=1
	flat_load_ubyte v14, v[14:15]
	s_movk_i32 vcc_lo, 0x7f
	s_mov_b64 s[66:67], 0
                                        ; implicit-def: $sgpr70
	s_waitcnt vmcnt(0) lgkmcnt(0)
	v_cmp_lt_i16_e32 vcc, vcc_lo, v14
	s_and_saveexec_b64 s[60:61], vcc
	s_xor_b64 s[68:69], exec, s[60:61]
	s_cbranch_execnz .LBB94_3586
; %bb.2618:                             ;   in Loop: Header=BB94_17 Depth=1
	s_or_saveexec_b64 s[68:69], s[68:69]
	v_mov_b32_e32 v65, s70
	s_xor_b64 exec, exec, s[68:69]
	s_cbranch_execnz .LBB94_3589
.LBB94_2619:                            ;   in Loop: Header=BB94_17 Depth=1
	s_or_b64 exec, exec, s[68:69]
	s_and_saveexec_b64 s[68:69], s[66:67]
	s_cbranch_execz .LBB94_2621
.LBB94_2620:                            ;   in Loop: Header=BB94_17 Depth=1
	v_lshlrev_b32_e32 v15, 24, v14
	v_and_b32_e32 v14, 0xffff, v14
	v_and_b32_e32 v65, 3, v14
	v_ffbh_u32_e32 v67, v65
	v_min_u32_e32 v67, 32, v67
	v_subrev_u32_e32 v68, 29, v67
	v_bfe_u32 v66, v14, 2, 5
	v_lshlrev_b32_e32 v14, v68, v14
	v_sub_u32_e32 v67, 30, v67
	v_and_b32_e32 v14, 3, v14
	v_cmp_eq_u32_e32 vcc, 0, v66
	v_cndmask_b32_e32 v66, v66, v67, vcc
	v_cndmask_b32_e32 v14, v65, v14, vcc
	v_lshlrev_b32_e32 v14, 21, v14
	v_and_b32_e32 v15, 0x80000000, v15
	v_lshl_add_u32 v65, v66, 23, v34
	v_or3_b32 v65, v15, v65, v14
.LBB94_2621:                            ;   in Loop: Header=BB94_17 Depth=1
	s_or_b64 exec, exec, s[68:69]
                                        ; implicit-def: $vgpr14_vgpr15
.LBB94_2622:                            ;   in Loop: Header=BB94_17 Depth=1
	s_andn2_saveexec_b64 s[66:67], s[92:93]
	s_cbranch_execz .LBB94_2624
; %bb.2623:                             ;   in Loop: Header=BB94_17 Depth=1
	flat_load_ubyte v14, v[14:15]
	s_mov_b32 vcc_lo, 0x7f800000
	s_waitcnt vmcnt(0) lgkmcnt(0)
	v_lshlrev_b32_e32 v14, 24, v14
	v_and_b32_e32 v15, 0x7f000000, v14
	v_ffbh_u32_e32 v65, v15
	v_min_u32_e32 v65, 32, v65
	v_sub_u32_e64 v65, v65, 4 clamp
	v_lshlrev_b32_e32 v67, v65, v15
	v_lshlrev_b32_e32 v65, 23, v65
	v_lshrrev_b32_e32 v67, 4, v67
	v_add_u32_e32 v66, 0x1000000, v15
	v_sub_u32_e32 v65, v67, v65
	v_ashrrev_i32_e32 v66, 8, v66
	v_add_u32_e32 v65, 0x3c000000, v65
	v_and_or_b32 v65, v66, vcc_lo, v65
	v_cmp_ne_u32_e32 vcc, 0, v15
	v_cndmask_b32_e32 v15, 0, v65, vcc
	s_brev_b32 vcc_lo, 1
	v_and_or_b32 v65, v14, vcc_lo, v15
.LBB94_2624:                            ;   in Loop: Header=BB94_17 Depth=1
	s_or_b64 exec, exec, s[66:67]
                                        ; implicit-def: $vgpr14_vgpr15
.LBB94_2625:                            ;   in Loop: Header=BB94_17 Depth=1
	s_andn2_saveexec_b64 s[66:67], s[62:63]
	s_cbranch_execz .LBB94_2627
; %bb.2626:                             ;   in Loop: Header=BB94_17 Depth=1
	flat_load_ubyte v14, v[14:15]
	s_movk_i32 vcc_lo, 0x7f00
	s_waitcnt vmcnt(0) lgkmcnt(0)
	v_lshlrev_b16_e32 v15, 8, v14
	v_lshlrev_b32_e32 v14, 25, v14
	v_lshrrev_b32_e32 v65, 4, v14
	v_and_or_b32 v66, v15, vcc_lo, 0.5
	v_or_b32_e32 v65, 0x70000000, v65
	s_brev_b32 vcc_lo, 16
	v_add_f32_e32 v66, -0.5, v66
	v_mul_f32_e32 v65, 0x7800000, v65
	v_cmp_gt_u32_e32 vcc, vcc_lo, v14
	v_cndmask_b32_e32 v14, v65, v66, vcc
	v_bfe_i32 v15, v15, 0, 16
	s_brev_b32 vcc_lo, 1
	v_and_or_b32 v65, v15, vcc_lo, v14
.LBB94_2627:                            ;   in Loop: Header=BB94_17 Depth=1
	s_or_b64 exec, exec, s[66:67]
	s_or_b64 s[92:93], s[74:75], exec
                                        ; implicit-def: $vgpr14_vgpr15
.LBB94_2628:                            ;   in Loop: Header=BB94_17 Depth=1
	s_or_saveexec_b64 s[72:73], s[72:73]
                                        ; implicit-def: $vcc
                                        ; implicit-def: $sgpr68_sgpr69
	s_xor_b64 exec, exec, s[72:73]
	s_cbranch_execz .LBB94_2638
; %bb.2629:                             ;   in Loop: Header=BB94_17 Depth=1
	v_cmp_gt_i16_sdwa vcc, v8, v35 src0_sel:BYTE_0 src1_sel:DWORD
	s_mov_b64 s[66:67], s[92:93]
                                        ; implicit-def: $sgpr68_sgpr69
                                        ; implicit-def: $sgpr76_sgpr77
                                        ; implicit-def: $vgpr65
	s_and_saveexec_b64 s[60:61], vcc
	s_xor_b64 vcc, exec, s[60:61]
	s_cbranch_execz .LBB94_2633
; %bb.2630:                             ;   in Loop: Header=BB94_17 Depth=1
	v_cmp_eq_u16_sdwa s[62:63], v8, v36 src0_sel:BYTE_0 src1_sel:DWORD
	s_mov_b64 s[66:67], s[92:93]
                                        ; implicit-def: $vgpr65
	s_and_saveexec_b64 s[60:61], s[62:63]
	s_cbranch_execz .LBB94_2632
; %bb.2631:                             ;   in Loop: Header=BB94_17 Depth=1
	flat_load_ushort v14, v[14:15]
	s_or_b64 s[66:67], s[92:93], exec
	s_waitcnt vmcnt(0) lgkmcnt(0)
	v_lshlrev_b32_e32 v65, 16, v14
.LBB94_2632:                            ;   in Loop: Header=BB94_17 Depth=1
	s_or_b64 exec, exec, s[60:61]
	s_andn2_b64 s[60:61], s[92:93], exec
	s_and_b64 s[62:63], s[66:67], exec
	s_mov_b64 s[76:77], 0
	s_mov_b64 s[68:69], -1
	s_or_b64 s[66:67], s[60:61], s[62:63]
                                        ; implicit-def: $vgpr14_vgpr15
.LBB94_2633:                            ;   in Loop: Header=BB94_17 Depth=1
	s_andn2_saveexec_b64 s[70:71], vcc
	s_cbranch_execz .LBB94_2637
; %bb.2634:                             ;   in Loop: Header=BB94_17 Depth=1
	v_cmp_eq_u16_sdwa s[62:63], v8, v37 src0_sel:BYTE_0 src1_sel:DWORD
	s_mov_b64 vcc, s[66:67]
                                        ; implicit-def: $vgpr65
	s_and_saveexec_b64 s[60:61], s[62:63]
	s_cbranch_execz .LBB94_2636
; %bb.2635:                             ;   in Loop: Header=BB94_17 Depth=1
	flat_load_ubyte v14, v[14:15]
	s_waitcnt vmcnt(0) lgkmcnt(0)
	v_cmp_ne_u16_e32 vcc, 0, v14
	v_cndmask_b32_e64 v65, 0, 1.0, vcc
	s_or_b64 vcc, s[66:67], exec
.LBB94_2636:                            ;   in Loop: Header=BB94_17 Depth=1
	s_or_b64 exec, exec, s[60:61]
	s_andn2_b64 s[60:61], s[66:67], exec
	s_and_b64 vcc, vcc, exec
	s_or_b64 s[68:69], s[68:69], exec
	s_andn2_b64 s[76:77], s[76:77], exec
	s_or_b64 s[66:67], s[60:61], vcc
.LBB94_2637:                            ;   in Loop: Header=BB94_17 Depth=1
	s_or_b64 exec, exec, s[70:71]
	s_andn2_b64 s[60:61], s[92:93], exec
	s_and_b64 s[62:63], s[66:67], exec
	s_and_b64 s[68:69], s[68:69], exec
	s_and_b64 vcc, s[76:77], exec
	s_or_b64 s[92:93], s[60:61], s[62:63]
.LBB94_2638:                            ;   in Loop: Header=BB94_17 Depth=1
	s_or_b64 exec, exec, s[72:73]
	s_andn2_b64 s[60:61], s[96:97], exec
	s_and_b64 s[62:63], s[68:69], exec
	s_or_b64 s[96:97], s[60:61], s[62:63]
	s_andn2_b64 s[60:61], s[94:95], exec
	s_and_b64 vcc, vcc, exec
	s_or_b64 s[94:95], s[60:61], vcc
	s_andn2_b64 vcc, s[74:75], exec
	s_and_b64 s[60:61], s[92:93], exec
	s_or_b64 s[74:75], vcc, s[60:61]
.LBB94_2639:                            ;   in Loop: Header=BB94_17 Depth=1
	s_or_b64 exec, exec, s[90:91]
	s_and_b64 s[90:91], s[96:97], exec
	s_and_b64 vcc, s[94:95], exec
	s_and_b64 s[92:93], s[74:75], exec
                                        ; implicit-def: $vgpr14_vgpr15
	s_andn2_saveexec_b64 s[88:89], s[88:89]
	s_cbranch_execz .LBB94_2556
.LBB94_2640:                            ;   in Loop: Header=BB94_17 Depth=1
	v_cmp_gt_i16_sdwa s[60:61], v8, v38 src0_sel:BYTE_0 src1_sel:DWORD
                                        ; implicit-def: $vgpr65
	s_and_saveexec_b64 s[62:63], s[60:61]
	s_xor_b64 s[72:73], exec, s[62:63]
	s_cbranch_execz .LBB94_2662
; %bb.2641:                             ;   in Loop: Header=BB94_17 Depth=1
	v_cmp_gt_i16_sdwa s[60:61], v8, v39 src0_sel:BYTE_0 src1_sel:DWORD
                                        ; implicit-def: $vgpr65
	s_and_saveexec_b64 s[62:63], s[60:61]
	s_xor_b64 s[66:67], exec, s[62:63]
	s_cbranch_execz .LBB94_2651
; %bb.2642:                             ;   in Loop: Header=BB94_17 Depth=1
	;; [unrolled: 6-line block ×4, first 2 shown]
	flat_load_dwordx2 v[14:15], v[14:15]
	s_waitcnt vmcnt(0) lgkmcnt(0)
	v_cvt_f32_f64_e32 v65, v[14:15]
                                        ; implicit-def: $vgpr14_vgpr15
.LBB94_2645:                            ;   in Loop: Header=BB94_17 Depth=1
	s_andn2_saveexec_b64 s[60:61], s[60:61]
	s_cbranch_execz .LBB94_2647
; %bb.2646:                             ;   in Loop: Header=BB94_17 Depth=1
	flat_load_dword v65, v[14:15]
.LBB94_2647:                            ;   in Loop: Header=BB94_17 Depth=1
	s_or_b64 exec, exec, s[60:61]
                                        ; implicit-def: $vgpr14_vgpr15
.LBB94_2648:                            ;   in Loop: Header=BB94_17 Depth=1
	s_andn2_saveexec_b64 s[60:61], s[68:69]
	s_cbranch_execz .LBB94_2650
; %bb.2649:                             ;   in Loop: Header=BB94_17 Depth=1
	flat_load_dword v14, v[14:15]
	s_waitcnt vmcnt(0) lgkmcnt(0)
	v_cvt_f32_f16_e32 v65, v14
.LBB94_2650:                            ;   in Loop: Header=BB94_17 Depth=1
	s_or_b64 exec, exec, s[60:61]
                                        ; implicit-def: $vgpr14_vgpr15
.LBB94_2651:                            ;   in Loop: Header=BB94_17 Depth=1
	s_andn2_saveexec_b64 s[66:67], s[66:67]
	s_cbranch_execz .LBB94_2661
; %bb.2652:                             ;   in Loop: Header=BB94_17 Depth=1
	v_cmp_gt_i16_sdwa s[60:61], v8, v50 src0_sel:BYTE_0 src1_sel:DWORD
                                        ; implicit-def: $vgpr65
	s_and_saveexec_b64 s[62:63], s[60:61]
	s_xor_b64 s[68:69], exec, s[62:63]
	s_cbranch_execz .LBB94_2658
; %bb.2653:                             ;   in Loop: Header=BB94_17 Depth=1
	v_cmp_gt_i16_sdwa s[60:61], v8, v51 src0_sel:BYTE_0 src1_sel:DWORD
                                        ; implicit-def: $vgpr65
	s_and_saveexec_b64 s[62:63], s[60:61]
	s_xor_b64 s[60:61], exec, s[62:63]
	s_cbranch_execz .LBB94_2655
; %bb.2654:                             ;   in Loop: Header=BB94_17 Depth=1
	flat_load_dwordx2 v[14:15], v[14:15]
	s_waitcnt vmcnt(0) lgkmcnt(0)
	v_cvt_f32_f64_e32 v65, v[14:15]
                                        ; implicit-def: $vgpr14_vgpr15
.LBB94_2655:                            ;   in Loop: Header=BB94_17 Depth=1
	s_andn2_saveexec_b64 s[60:61], s[60:61]
	s_cbranch_execz .LBB94_2657
; %bb.2656:                             ;   in Loop: Header=BB94_17 Depth=1
	s_waitcnt vmcnt(0) lgkmcnt(0)
	flat_load_dword v65, v[14:15]
.LBB94_2657:                            ;   in Loop: Header=BB94_17 Depth=1
	s_or_b64 exec, exec, s[60:61]
                                        ; implicit-def: $vgpr14_vgpr15
.LBB94_2658:                            ;   in Loop: Header=BB94_17 Depth=1
	s_andn2_saveexec_b64 s[60:61], s[68:69]
	s_cbranch_execz .LBB94_2660
; %bb.2659:                             ;   in Loop: Header=BB94_17 Depth=1
	flat_load_ushort v14, v[14:15]
	s_waitcnt vmcnt(0) lgkmcnt(0)
	v_cvt_f32_f16_e32 v65, v14
.LBB94_2660:                            ;   in Loop: Header=BB94_17 Depth=1
	s_or_b64 exec, exec, s[60:61]
.LBB94_2661:                            ;   in Loop: Header=BB94_17 Depth=1
	s_or_b64 exec, exec, s[66:67]
                                        ; implicit-def: $vgpr14_vgpr15
.LBB94_2662:                            ;   in Loop: Header=BB94_17 Depth=1
	s_andn2_saveexec_b64 s[72:73], s[72:73]
	s_cbranch_execz .LBB94_2680
; %bb.2663:                             ;   in Loop: Header=BB94_17 Depth=1
	v_cmp_gt_i16_sdwa s[60:61], v8, v52 src0_sel:BYTE_0 src1_sel:DWORD
                                        ; implicit-def: $vgpr65
	s_and_saveexec_b64 s[62:63], s[60:61]
	s_xor_b64 s[74:75], exec, s[62:63]
	s_cbranch_execz .LBB94_2673
; %bb.2664:                             ;   in Loop: Header=BB94_17 Depth=1
	v_cmp_gt_i16_sdwa s[60:61], v8, v53 src0_sel:BYTE_0 src1_sel:DWORD
                                        ; implicit-def: $vgpr65
	s_and_saveexec_b64 s[62:63], s[60:61]
	s_xor_b64 s[66:67], exec, s[62:63]
	;; [unrolled: 6-line block ×3, first 2 shown]
	s_cbranch_execz .LBB94_2667
; %bb.2666:                             ;   in Loop: Header=BB94_17 Depth=1
	flat_load_dwordx2 v[14:15], v[14:15]
	s_waitcnt vmcnt(0) lgkmcnt(0)
	v_xor_b32_e32 v66, v14, v15
	v_ffbh_i32_e32 v65, v15
	v_ashrrev_i32_e32 v66, 31, v66
	v_add_u32_e32 v65, -1, v65
	v_add_u32_e32 v66, 32, v66
	v_min_u32_e32 v65, v65, v66
	v_lshlrev_b64 v[14:15], v65, v[14:15]
	v_min_u32_e32 v14, 1, v14
	v_or_b32_e32 v14, v15, v14
	v_cvt_f32_i32_e32 v14, v14
	v_sub_u32_e32 v15, 32, v65
	v_ldexp_f32 v65, v14, v15
                                        ; implicit-def: $vgpr14_vgpr15
.LBB94_2667:                            ;   in Loop: Header=BB94_17 Depth=1
	s_andn2_saveexec_b64 s[60:61], s[68:69]
	s_cbranch_execz .LBB94_2669
; %bb.2668:                             ;   in Loop: Header=BB94_17 Depth=1
	flat_load_dword v14, v[14:15]
	s_waitcnt vmcnt(0) lgkmcnt(0)
	v_cvt_f32_i32_e32 v65, v14
.LBB94_2669:                            ;   in Loop: Header=BB94_17 Depth=1
	s_or_b64 exec, exec, s[60:61]
                                        ; implicit-def: $vgpr14_vgpr15
.LBB94_2670:                            ;   in Loop: Header=BB94_17 Depth=1
	s_andn2_saveexec_b64 s[60:61], s[66:67]
	s_cbranch_execz .LBB94_2672
; %bb.2671:                             ;   in Loop: Header=BB94_17 Depth=1
	flat_load_sshort v14, v[14:15]
	s_waitcnt vmcnt(0) lgkmcnt(0)
	v_cvt_f32_i32_e32 v65, v14
.LBB94_2672:                            ;   in Loop: Header=BB94_17 Depth=1
	s_or_b64 exec, exec, s[60:61]
                                        ; implicit-def: $vgpr14_vgpr15
.LBB94_2673:                            ;   in Loop: Header=BB94_17 Depth=1
	s_andn2_saveexec_b64 s[66:67], s[74:75]
	s_cbranch_execz .LBB94_2679
; %bb.2674:                             ;   in Loop: Header=BB94_17 Depth=1
	v_cmp_gt_i16_sdwa s[60:61], v8, v16 src0_sel:BYTE_0 src1_sel:DWORD
                                        ; implicit-def: $vgpr65
	s_and_saveexec_b64 s[62:63], s[60:61]
	s_xor_b64 s[60:61], exec, s[62:63]
	s_cbranch_execz .LBB94_2676
; %bb.2675:                             ;   in Loop: Header=BB94_17 Depth=1
	flat_load_sbyte v14, v[14:15]
	s_waitcnt vmcnt(0) lgkmcnt(0)
	v_cvt_f32_i32_e32 v65, v14
                                        ; implicit-def: $vgpr14_vgpr15
.LBB94_2676:                            ;   in Loop: Header=BB94_17 Depth=1
	s_andn2_saveexec_b64 s[60:61], s[60:61]
	s_cbranch_execz .LBB94_2678
; %bb.2677:                             ;   in Loop: Header=BB94_17 Depth=1
	flat_load_ubyte v14, v[14:15]
	s_waitcnt vmcnt(0) lgkmcnt(0)
	v_cvt_f32_ubyte0_e32 v65, v14
.LBB94_2678:                            ;   in Loop: Header=BB94_17 Depth=1
	s_or_b64 exec, exec, s[60:61]
.LBB94_2679:                            ;   in Loop: Header=BB94_17 Depth=1
	s_or_b64 exec, exec, s[66:67]
.LBB94_2680:                            ;   in Loop: Header=BB94_17 Depth=1
	s_or_b64 exec, exec, s[72:73]
	s_andn2_b64 s[90:91], s[90:91], exec
	s_andn2_b64 vcc, vcc, exec
	s_or_b64 s[92:93], s[92:93], exec
	s_or_b64 exec, exec, s[88:89]
	s_mov_b64 s[66:67], 0
	s_and_saveexec_b64 s[68:69], s[92:93]
	s_cbranch_execnz .LBB94_2557
	s_branch .LBB94_2558
.LBB94_2681:                            ;   in Loop: Header=BB94_17 Depth=1
	v_cmp_gt_i16_sdwa vcc, v7, v19 src0_sel:BYTE_0 src1_sel:DWORD
	s_mov_b64 s[94:95], 0
                                        ; implicit-def: $sgpr78_sgpr79
                                        ; implicit-def: $sgpr80_sgpr81
                                        ; implicit-def: $vgpr66
	s_and_saveexec_b64 s[60:61], vcc
	s_xor_b64 s[84:85], exec, s[60:61]
	s_cbranch_execz .LBB94_2713
; %bb.2682:                             ;   in Loop: Header=BB94_17 Depth=1
	v_cmp_gt_i16_sdwa vcc, v7, v20 src0_sel:BYTE_0 src1_sel:DWORD
	s_mov_b64 s[86:87], 0
                                        ; implicit-def: $sgpr72_sgpr73
                                        ; implicit-def: $sgpr80_sgpr81
                                        ; implicit-def: $vgpr66
	s_and_saveexec_b64 s[60:61], vcc
	s_xor_b64 s[78:79], exec, s[60:61]
	s_cbranch_execz .LBB94_2698
; %bb.2683:                             ;   in Loop: Header=BB94_17 Depth=1
	v_cmp_gt_i16_sdwa s[60:61], v7, v21 src0_sel:BYTE_0 src1_sel:DWORD
	s_mov_b64 s[74:75], 0
                                        ; implicit-def: $vcc
                                        ; implicit-def: $sgpr86_sgpr87
                                        ; implicit-def: $vgpr66
	s_and_saveexec_b64 s[62:63], s[60:61]
	s_xor_b64 s[72:73], exec, s[62:63]
	s_cbranch_execz .LBB94_2693
; %bb.2684:                             ;   in Loop: Header=BB94_17 Depth=1
	v_cmp_gt_i16_sdwa vcc, v7, v22 src0_sel:BYTE_0 src1_sel:DWORD
	s_mov_b64 s[80:81], 0
                                        ; implicit-def: $sgpr74_sgpr75
                                        ; implicit-def: $sgpr94_sgpr95
                                        ; implicit-def: $vgpr66
	s_and_saveexec_b64 s[60:61], vcc
	s_xor_b64 vcc, exec, s[60:61]
	s_cbranch_execz .LBB94_2688
; %bb.2685:                             ;   in Loop: Header=BB94_17 Depth=1
	v_cmp_eq_u16_sdwa s[62:63], v7, v23 src0_sel:BYTE_0 src1_sel:DWORD
	s_mov_b64 s[74:75], 0
	s_mov_b64 s[66:67], 0
                                        ; implicit-def: $vgpr66
	s_and_saveexec_b64 s[60:61], s[62:63]
	s_cbranch_execz .LBB94_2687
; %bb.2686:                             ;   in Loop: Header=BB94_17 Depth=1
	flat_load_dword v14, v[14:15]
	s_mov_b64 s[66:67], exec
	s_waitcnt vmcnt(0) lgkmcnt(0)
	v_lshlrev_b32_e32 v66, 16, v14
.LBB94_2687:                            ;   in Loop: Header=BB94_17 Depth=1
	s_or_b64 exec, exec, s[60:61]
	s_mov_b64 s[94:95], -1
	s_and_b64 s[80:81], s[66:67], exec
                                        ; implicit-def: $vgpr14_vgpr15
.LBB94_2688:                            ;   in Loop: Header=BB94_17 Depth=1
	s_andn2_saveexec_b64 s[66:67], vcc
	s_cbranch_execz .LBB94_2692
; %bb.2689:                             ;   in Loop: Header=BB94_17 Depth=1
	v_cmp_eq_u16_sdwa s[60:61], v7, v24 src0_sel:BYTE_0 src1_sel:DWORD
	s_mov_b64 vcc, s[80:81]
                                        ; implicit-def: $vgpr66
	s_and_saveexec_b64 s[68:69], s[60:61]
	s_cbranch_execz .LBB94_2691
; %bb.2690:                             ;   in Loop: Header=BB94_17 Depth=1
	flat_load_ubyte v14, v[14:15]
	s_movk_i32 vcc_lo, 0xff
	s_waitcnt vmcnt(0) lgkmcnt(0)
	v_lshlrev_b32_e32 v15, 23, v14
	v_cmp_ne_u32_e32 vcc, vcc_lo, v14
	v_cndmask_b32_e32 v15, v25, v15, vcc
	v_cmp_ne_u32_e32 vcc, 0, v14
	v_cndmask_b32_e32 v66, v26, v15, vcc
	s_or_b64 vcc, s[80:81], exec
.LBB94_2691:                            ;   in Loop: Header=BB94_17 Depth=1
	s_or_b64 exec, exec, s[68:69]
	s_andn2_b64 s[60:61], s[80:81], exec
	s_and_b64 vcc, vcc, exec
	s_andn2_b64 s[74:75], s[74:75], exec
	s_or_b64 s[94:95], s[94:95], exec
	s_or_b64 s[80:81], s[60:61], vcc
.LBB94_2692:                            ;   in Loop: Header=BB94_17 Depth=1
	s_or_b64 exec, exec, s[66:67]
	s_and_b64 s[86:87], s[74:75], exec
	s_and_b64 vcc, s[94:95], exec
	s_and_b64 s[74:75], s[80:81], exec
                                        ; implicit-def: $vgpr14_vgpr15
.LBB94_2693:                            ;   in Loop: Header=BB94_17 Depth=1
	s_andn2_saveexec_b64 s[66:67], s[72:73]
	s_cbranch_execz .LBB94_2697
; %bb.2694:                             ;   in Loop: Header=BB94_17 Depth=1
	v_cmp_eq_u16_sdwa s[60:61], v7, v27 src0_sel:BYTE_0 src1_sel:DWORD
	s_mov_b64 s[70:71], s[74:75]
                                        ; implicit-def: $vgpr66
	s_and_saveexec_b64 s[68:69], s[60:61]
	s_cbranch_execz .LBB94_2696
; %bb.2695:                             ;   in Loop: Header=BB94_17 Depth=1
	flat_load_dwordx2 v[14:15], v[14:15]
	s_or_b64 s[70:71], s[74:75], exec
	s_waitcnt vmcnt(0) lgkmcnt(0)
	v_ffbh_u32_e32 v64, v15
	v_min_u32_e32 v64, 32, v64
	v_lshlrev_b64 v[14:15], v64, v[14:15]
	v_min_u32_e32 v14, 1, v14
	v_or_b32_e32 v14, v15, v14
	v_cvt_f32_u32_e32 v14, v14
	v_sub_u32_e32 v15, 32, v64
	v_ldexp_f32 v66, v14, v15
.LBB94_2696:                            ;   in Loop: Header=BB94_17 Depth=1
	s_or_b64 exec, exec, s[68:69]
	s_andn2_b64 s[60:61], s[74:75], exec
	s_and_b64 s[62:63], s[70:71], exec
	s_andn2_b64 s[86:87], s[86:87], exec
	s_or_b64 vcc, vcc, exec
	s_or_b64 s[74:75], s[60:61], s[62:63]
.LBB94_2697:                            ;   in Loop: Header=BB94_17 Depth=1
	s_or_b64 exec, exec, s[66:67]
	s_and_b64 s[80:81], s[86:87], exec
	s_and_b64 s[72:73], vcc, exec
	s_and_b64 s[86:87], s[74:75], exec
                                        ; implicit-def: $vgpr14_vgpr15
.LBB94_2698:                            ;   in Loop: Header=BB94_17 Depth=1
	s_andn2_saveexec_b64 s[78:79], s[78:79]
	s_cbranch_execz .LBB94_2712
; %bb.2699:                             ;   in Loop: Header=BB94_17 Depth=1
	v_cmp_gt_i16_sdwa vcc, v7, v28 src0_sel:BYTE_0 src1_sel:DWORD
                                        ; implicit-def: $vgpr66
	s_and_saveexec_b64 s[60:61], vcc
	s_xor_b64 vcc, exec, s[60:61]
	s_cbranch_execz .LBB94_2705
; %bb.2700:                             ;   in Loop: Header=BB94_17 Depth=1
	v_cmp_gt_i16_sdwa s[60:61], v7, v29 src0_sel:BYTE_0 src1_sel:DWORD
                                        ; implicit-def: $vgpr66
	s_and_saveexec_b64 s[62:63], s[60:61]
	s_xor_b64 s[60:61], exec, s[62:63]
	s_cbranch_execz .LBB94_2702
; %bb.2701:                             ;   in Loop: Header=BB94_17 Depth=1
	flat_load_dword v14, v[14:15]
	s_waitcnt vmcnt(0) lgkmcnt(0)
	v_cvt_f32_u32_e32 v66, v14
                                        ; implicit-def: $vgpr14_vgpr15
.LBB94_2702:                            ;   in Loop: Header=BB94_17 Depth=1
	s_andn2_saveexec_b64 s[60:61], s[60:61]
	s_cbranch_execz .LBB94_2704
; %bb.2703:                             ;   in Loop: Header=BB94_17 Depth=1
	flat_load_ushort v14, v[14:15]
	s_waitcnt vmcnt(0) lgkmcnt(0)
	v_cvt_f32_u32_e32 v66, v14
.LBB94_2704:                            ;   in Loop: Header=BB94_17 Depth=1
	s_or_b64 exec, exec, s[60:61]
                                        ; implicit-def: $vgpr14_vgpr15
.LBB94_2705:                            ;   in Loop: Header=BB94_17 Depth=1
	s_andn2_saveexec_b64 s[74:75], vcc
	s_cbranch_execz .LBB94_2711
; %bb.2706:                             ;   in Loop: Header=BB94_17 Depth=1
	flat_load_ubyte v14, v[14:15]
	s_movk_i32 vcc_lo, 0x7f
	s_mov_b64 s[66:67], 0
                                        ; implicit-def: $sgpr70
	s_waitcnt vmcnt(0) lgkmcnt(0)
	v_cmp_lt_i16_e32 vcc, vcc_lo, v14
	s_and_saveexec_b64 s[60:61], vcc
	s_xor_b64 s[68:69], exec, s[60:61]
	s_cbranch_execnz .LBB94_3482
; %bb.2707:                             ;   in Loop: Header=BB94_17 Depth=1
	s_or_saveexec_b64 s[68:69], s[68:69]
	v_mov_b32_e32 v66, s70
	s_xor_b64 exec, exec, s[68:69]
	s_cbranch_execnz .LBB94_3485
.LBB94_2708:                            ;   in Loop: Header=BB94_17 Depth=1
	s_or_b64 exec, exec, s[68:69]
	s_and_saveexec_b64 s[68:69], s[66:67]
	s_cbranch_execz .LBB94_2710
.LBB94_2709:                            ;   in Loop: Header=BB94_17 Depth=1
	v_lshlrev_b32_e32 v15, 24, v14
	v_and_b32_e32 v14, 0xffff, v14
	v_and_b32_e32 v64, 7, v14
	v_ffbh_u32_e32 v67, v64
	v_min_u32_e32 v67, 32, v67
	v_subrev_u32_e32 v68, 28, v67
	v_bfe_u32 v66, v14, 3, 4
	v_lshlrev_b32_e32 v14, v68, v14
	v_sub_u32_e32 v67, 29, v67
	v_and_b32_e32 v14, 7, v14
	v_cmp_eq_u32_e32 vcc, 0, v66
	v_cndmask_b32_e32 v66, v66, v67, vcc
	v_cndmask_b32_e32 v14, v64, v14, vcc
	v_lshlrev_b32_e32 v14, 20, v14
	v_and_b32_e32 v15, 0x80000000, v15
	v_lshl_add_u32 v64, v66, 23, v30
	v_or3_b32 v66, v15, v64, v14
.LBB94_2710:                            ;   in Loop: Header=BB94_17 Depth=1
	s_or_b64 exec, exec, s[68:69]
.LBB94_2711:                            ;   in Loop: Header=BB94_17 Depth=1
	s_or_b64 exec, exec, s[74:75]
	s_andn2_b64 s[80:81], s[80:81], exec
	s_andn2_b64 s[72:73], s[72:73], exec
	s_or_b64 s[86:87], s[86:87], exec
.LBB94_2712:                            ;   in Loop: Header=BB94_17 Depth=1
	s_or_b64 exec, exec, s[78:79]
	s_and_b64 s[80:81], s[80:81], exec
	s_and_b64 s[78:79], s[72:73], exec
	s_and_b64 s[94:95], s[86:87], exec
                                        ; implicit-def: $vgpr14_vgpr15
.LBB94_2713:                            ;   in Loop: Header=BB94_17 Depth=1
	s_andn2_saveexec_b64 s[84:85], s[84:85]
	s_cbranch_execz .LBB94_2739
; %bb.2714:                             ;   in Loop: Header=BB94_17 Depth=1
	v_cmp_gt_i16_sdwa vcc, v7, v31 src0_sel:BYTE_0 src1_sel:DWORD
	s_mov_b64 s[74:75], s[94:95]
                                        ; implicit-def: $vgpr66
	s_and_saveexec_b64 s[60:61], vcc
	s_xor_b64 s[72:73], exec, s[60:61]
	s_cbranch_execz .LBB94_2728
; %bb.2715:                             ;   in Loop: Header=BB94_17 Depth=1
	v_cmp_gt_i16_sdwa vcc, v7, v32 src0_sel:BYTE_0 src1_sel:DWORD
                                        ; implicit-def: $vgpr66
	s_and_saveexec_b64 s[60:61], vcc
	s_xor_b64 s[86:87], exec, s[60:61]
	s_cbranch_execz .LBB94_2725
; %bb.2716:                             ;   in Loop: Header=BB94_17 Depth=1
	v_cmp_gt_i16_sdwa vcc, v7, v33 src0_sel:BYTE_0 src1_sel:DWORD
                                        ; implicit-def: $vgpr66
	s_and_saveexec_b64 s[60:61], vcc
	s_xor_b64 s[74:75], exec, s[60:61]
	s_cbranch_execz .LBB94_2722
; %bb.2717:                             ;   in Loop: Header=BB94_17 Depth=1
	flat_load_ubyte v14, v[14:15]
	s_movk_i32 vcc_lo, 0x7f
	s_mov_b64 s[66:67], 0
                                        ; implicit-def: $sgpr70
	s_waitcnt vmcnt(0) lgkmcnt(0)
	v_cmp_lt_i16_e32 vcc, vcc_lo, v14
	s_and_saveexec_b64 s[60:61], vcc
	s_xor_b64 s[68:69], exec, s[60:61]
	s_cbranch_execnz .LBB94_3590
; %bb.2718:                             ;   in Loop: Header=BB94_17 Depth=1
	s_or_saveexec_b64 s[68:69], s[68:69]
	v_mov_b32_e32 v66, s70
	s_xor_b64 exec, exec, s[68:69]
	s_cbranch_execnz .LBB94_3593
.LBB94_2719:                            ;   in Loop: Header=BB94_17 Depth=1
	s_or_b64 exec, exec, s[68:69]
	s_and_saveexec_b64 s[68:69], s[66:67]
	s_cbranch_execz .LBB94_2721
.LBB94_2720:                            ;   in Loop: Header=BB94_17 Depth=1
	v_lshlrev_b32_e32 v15, 24, v14
	v_and_b32_e32 v14, 0xffff, v14
	v_and_b32_e32 v64, 3, v14
	v_ffbh_u32_e32 v67, v64
	v_min_u32_e32 v67, 32, v67
	v_subrev_u32_e32 v68, 29, v67
	v_bfe_u32 v66, v14, 2, 5
	v_lshlrev_b32_e32 v14, v68, v14
	v_sub_u32_e32 v67, 30, v67
	v_and_b32_e32 v14, 3, v14
	v_cmp_eq_u32_e32 vcc, 0, v66
	v_cndmask_b32_e32 v66, v66, v67, vcc
	v_cndmask_b32_e32 v14, v64, v14, vcc
	v_lshlrev_b32_e32 v14, 21, v14
	v_and_b32_e32 v15, 0x80000000, v15
	v_lshl_add_u32 v64, v66, 23, v34
	v_or3_b32 v66, v15, v64, v14
.LBB94_2721:                            ;   in Loop: Header=BB94_17 Depth=1
	s_or_b64 exec, exec, s[68:69]
                                        ; implicit-def: $vgpr14_vgpr15
.LBB94_2722:                            ;   in Loop: Header=BB94_17 Depth=1
	s_andn2_saveexec_b64 s[66:67], s[74:75]
	s_cbranch_execz .LBB94_2724
; %bb.2723:                             ;   in Loop: Header=BB94_17 Depth=1
	flat_load_ubyte v14, v[14:15]
	s_mov_b32 vcc_lo, 0x7f800000
	s_waitcnt vmcnt(0) lgkmcnt(0)
	v_lshlrev_b32_e32 v14, 24, v14
	v_and_b32_e32 v15, 0x7f000000, v14
	v_ffbh_u32_e32 v64, v15
	v_min_u32_e32 v64, 32, v64
	v_sub_u32_e64 v64, v64, 4 clamp
	v_lshlrev_b32_e32 v67, v64, v15
	v_lshlrev_b32_e32 v64, 23, v64
	v_lshrrev_b32_e32 v67, 4, v67
	v_add_u32_e32 v66, 0x1000000, v15
	v_sub_u32_e32 v64, v67, v64
	v_ashrrev_i32_e32 v66, 8, v66
	v_add_u32_e32 v64, 0x3c000000, v64
	v_and_or_b32 v64, v66, vcc_lo, v64
	v_cmp_ne_u32_e32 vcc, 0, v15
	v_cndmask_b32_e32 v15, 0, v64, vcc
	s_brev_b32 vcc_lo, 1
	v_and_or_b32 v66, v14, vcc_lo, v15
.LBB94_2724:                            ;   in Loop: Header=BB94_17 Depth=1
	s_or_b64 exec, exec, s[66:67]
                                        ; implicit-def: $vgpr14_vgpr15
.LBB94_2725:                            ;   in Loop: Header=BB94_17 Depth=1
	s_andn2_saveexec_b64 s[66:67], s[86:87]
	s_cbranch_execz .LBB94_2727
; %bb.2726:                             ;   in Loop: Header=BB94_17 Depth=1
	flat_load_ubyte v14, v[14:15]
	s_movk_i32 vcc_lo, 0x7f00
	s_waitcnt vmcnt(0) lgkmcnt(0)
	v_lshlrev_b16_e32 v15, 8, v14
	v_lshlrev_b32_e32 v14, 25, v14
	v_lshrrev_b32_e32 v64, 4, v14
	v_and_or_b32 v66, v15, vcc_lo, 0.5
	v_or_b32_e32 v64, 0x70000000, v64
	s_brev_b32 vcc_lo, 16
	v_add_f32_e32 v66, -0.5, v66
	v_mul_f32_e32 v64, 0x7800000, v64
	v_cmp_gt_u32_e32 vcc, vcc_lo, v14
	v_cndmask_b32_e32 v14, v64, v66, vcc
	v_bfe_i32 v15, v15, 0, 16
	s_brev_b32 vcc_lo, 1
	v_and_or_b32 v66, v15, vcc_lo, v14
.LBB94_2727:                            ;   in Loop: Header=BB94_17 Depth=1
	s_or_b64 exec, exec, s[66:67]
	s_or_b64 s[74:75], s[94:95], exec
                                        ; implicit-def: $vgpr14_vgpr15
.LBB94_2728:                            ;   in Loop: Header=BB94_17 Depth=1
	s_or_saveexec_b64 s[72:73], s[72:73]
                                        ; implicit-def: $vcc
                                        ; implicit-def: $sgpr68_sgpr69
	s_xor_b64 exec, exec, s[72:73]
	s_cbranch_execz .LBB94_2738
; %bb.2729:                             ;   in Loop: Header=BB94_17 Depth=1
	v_cmp_gt_i16_sdwa vcc, v7, v35 src0_sel:BYTE_0 src1_sel:DWORD
	s_mov_b64 s[66:67], s[74:75]
                                        ; implicit-def: $sgpr68_sgpr69
                                        ; implicit-def: $sgpr76_sgpr77
                                        ; implicit-def: $vgpr66
	s_and_saveexec_b64 s[60:61], vcc
	s_xor_b64 vcc, exec, s[60:61]
	s_cbranch_execz .LBB94_2733
; %bb.2730:                             ;   in Loop: Header=BB94_17 Depth=1
	v_cmp_eq_u16_sdwa s[62:63], v7, v36 src0_sel:BYTE_0 src1_sel:DWORD
	s_mov_b64 s[66:67], s[74:75]
                                        ; implicit-def: $vgpr66
	s_and_saveexec_b64 s[60:61], s[62:63]
	s_cbranch_execz .LBB94_2732
; %bb.2731:                             ;   in Loop: Header=BB94_17 Depth=1
	flat_load_ushort v14, v[14:15]
	s_or_b64 s[66:67], s[74:75], exec
	s_waitcnt vmcnt(0) lgkmcnt(0)
	v_lshlrev_b32_e32 v66, 16, v14
.LBB94_2732:                            ;   in Loop: Header=BB94_17 Depth=1
	s_or_b64 exec, exec, s[60:61]
	s_andn2_b64 s[60:61], s[74:75], exec
	s_and_b64 s[62:63], s[66:67], exec
	s_mov_b64 s[76:77], -1
	s_mov_b64 s[68:69], 0
	s_or_b64 s[66:67], s[60:61], s[62:63]
                                        ; implicit-def: $vgpr14_vgpr15
.LBB94_2733:                            ;   in Loop: Header=BB94_17 Depth=1
	s_andn2_saveexec_b64 s[70:71], vcc
	s_cbranch_execz .LBB94_2737
; %bb.2734:                             ;   in Loop: Header=BB94_17 Depth=1
	v_cmp_eq_u16_sdwa s[62:63], v7, v37 src0_sel:BYTE_0 src1_sel:DWORD
	s_mov_b64 vcc, s[66:67]
                                        ; implicit-def: $vgpr66
	s_and_saveexec_b64 s[60:61], s[62:63]
	s_cbranch_execz .LBB94_2736
; %bb.2735:                             ;   in Loop: Header=BB94_17 Depth=1
	flat_load_ubyte v14, v[14:15]
	s_waitcnt vmcnt(0) lgkmcnt(0)
	v_cmp_ne_u16_e32 vcc, 0, v14
	v_cndmask_b32_e64 v66, 0, 1.0, vcc
	s_or_b64 vcc, s[66:67], exec
.LBB94_2736:                            ;   in Loop: Header=BB94_17 Depth=1
	s_or_b64 exec, exec, s[60:61]
	s_andn2_b64 s[60:61], s[66:67], exec
	s_and_b64 vcc, vcc, exec
	s_andn2_b64 s[68:69], s[68:69], exec
	s_or_b64 s[76:77], s[76:77], exec
	s_or_b64 s[66:67], s[60:61], vcc
.LBB94_2737:                            ;   in Loop: Header=BB94_17 Depth=1
	s_or_b64 exec, exec, s[70:71]
	s_andn2_b64 s[60:61], s[74:75], exec
	s_and_b64 s[62:63], s[66:67], exec
	s_and_b64 s[68:69], s[68:69], exec
	s_and_b64 vcc, s[76:77], exec
	s_or_b64 s[74:75], s[60:61], s[62:63]
.LBB94_2738:                            ;   in Loop: Header=BB94_17 Depth=1
	s_or_b64 exec, exec, s[72:73]
	s_andn2_b64 s[60:61], s[80:81], exec
	s_and_b64 s[62:63], s[68:69], exec
	s_or_b64 s[80:81], s[60:61], s[62:63]
	s_andn2_b64 s[60:61], s[78:79], exec
	s_and_b64 vcc, vcc, exec
	s_or_b64 s[78:79], s[60:61], vcc
	s_andn2_b64 vcc, s[94:95], exec
	s_and_b64 s[60:61], s[74:75], exec
	s_or_b64 s[94:95], vcc, s[60:61]
.LBB94_2739:                            ;   in Loop: Header=BB94_17 Depth=1
	s_or_b64 exec, exec, s[84:85]
	s_and_b64 s[86:87], s[80:81], exec
	s_and_b64 s[84:85], s[78:79], exec
	s_and_b64 vcc, s[94:95], exec
                                        ; implicit-def: $vgpr14_vgpr15
	s_andn2_saveexec_b64 s[78:79], s[92:93]
	s_cbranch_execz .LBB94_2564
.LBB94_2740:                            ;   in Loop: Header=BB94_17 Depth=1
	v_cmp_gt_i16_sdwa s[60:61], v7, v38 src0_sel:BYTE_0 src1_sel:DWORD
                                        ; implicit-def: $vgpr66
	s_and_saveexec_b64 s[62:63], s[60:61]
	s_xor_b64 s[72:73], exec, s[62:63]
	s_cbranch_execz .LBB94_2762
; %bb.2741:                             ;   in Loop: Header=BB94_17 Depth=1
	v_cmp_gt_i16_sdwa s[60:61], v7, v39 src0_sel:BYTE_0 src1_sel:DWORD
                                        ; implicit-def: $vgpr66
	s_and_saveexec_b64 s[62:63], s[60:61]
	s_xor_b64 s[66:67], exec, s[62:63]
	s_cbranch_execz .LBB94_2751
; %bb.2742:                             ;   in Loop: Header=BB94_17 Depth=1
	v_cmp_gt_i16_sdwa s[60:61], v7, v48 src0_sel:BYTE_0 src1_sel:DWORD
                                        ; implicit-def: $vgpr66
	s_and_saveexec_b64 s[62:63], s[60:61]
	s_xor_b64 s[68:69], exec, s[62:63]
	s_cbranch_execz .LBB94_2748
; %bb.2743:                             ;   in Loop: Header=BB94_17 Depth=1
	v_cmp_gt_i16_sdwa s[60:61], v7, v49 src0_sel:BYTE_0 src1_sel:DWORD
                                        ; implicit-def: $vgpr66
	s_and_saveexec_b64 s[62:63], s[60:61]
	s_xor_b64 s[60:61], exec, s[62:63]
	s_cbranch_execz .LBB94_2745
; %bb.2744:                             ;   in Loop: Header=BB94_17 Depth=1
	flat_load_dwordx2 v[14:15], v[14:15]
	s_waitcnt vmcnt(0) lgkmcnt(0)
	v_cvt_f32_f64_e32 v66, v[14:15]
                                        ; implicit-def: $vgpr14_vgpr15
.LBB94_2745:                            ;   in Loop: Header=BB94_17 Depth=1
	s_andn2_saveexec_b64 s[60:61], s[60:61]
	s_cbranch_execz .LBB94_2747
; %bb.2746:                             ;   in Loop: Header=BB94_17 Depth=1
	flat_load_dword v66, v[14:15]
.LBB94_2747:                            ;   in Loop: Header=BB94_17 Depth=1
	s_or_b64 exec, exec, s[60:61]
                                        ; implicit-def: $vgpr14_vgpr15
.LBB94_2748:                            ;   in Loop: Header=BB94_17 Depth=1
	s_andn2_saveexec_b64 s[60:61], s[68:69]
	s_cbranch_execz .LBB94_2750
; %bb.2749:                             ;   in Loop: Header=BB94_17 Depth=1
	flat_load_dword v14, v[14:15]
	s_waitcnt vmcnt(0) lgkmcnt(0)
	v_cvt_f32_f16_e32 v66, v14
.LBB94_2750:                            ;   in Loop: Header=BB94_17 Depth=1
	s_or_b64 exec, exec, s[60:61]
                                        ; implicit-def: $vgpr14_vgpr15
.LBB94_2751:                            ;   in Loop: Header=BB94_17 Depth=1
	s_andn2_saveexec_b64 s[66:67], s[66:67]
	s_cbranch_execz .LBB94_2761
; %bb.2752:                             ;   in Loop: Header=BB94_17 Depth=1
	v_cmp_gt_i16_sdwa s[60:61], v7, v50 src0_sel:BYTE_0 src1_sel:DWORD
                                        ; implicit-def: $vgpr66
	s_and_saveexec_b64 s[62:63], s[60:61]
	s_xor_b64 s[68:69], exec, s[62:63]
	s_cbranch_execz .LBB94_2758
; %bb.2753:                             ;   in Loop: Header=BB94_17 Depth=1
	v_cmp_gt_i16_sdwa s[60:61], v7, v51 src0_sel:BYTE_0 src1_sel:DWORD
                                        ; implicit-def: $vgpr66
	s_and_saveexec_b64 s[62:63], s[60:61]
	s_xor_b64 s[60:61], exec, s[62:63]
	s_cbranch_execz .LBB94_2755
; %bb.2754:                             ;   in Loop: Header=BB94_17 Depth=1
	flat_load_dwordx2 v[14:15], v[14:15]
	s_waitcnt vmcnt(0) lgkmcnt(0)
	v_cvt_f32_f64_e32 v66, v[14:15]
                                        ; implicit-def: $vgpr14_vgpr15
.LBB94_2755:                            ;   in Loop: Header=BB94_17 Depth=1
	s_andn2_saveexec_b64 s[60:61], s[60:61]
	s_cbranch_execz .LBB94_2757
; %bb.2756:                             ;   in Loop: Header=BB94_17 Depth=1
	s_waitcnt vmcnt(0) lgkmcnt(0)
	flat_load_dword v66, v[14:15]
.LBB94_2757:                            ;   in Loop: Header=BB94_17 Depth=1
	s_or_b64 exec, exec, s[60:61]
                                        ; implicit-def: $vgpr14_vgpr15
.LBB94_2758:                            ;   in Loop: Header=BB94_17 Depth=1
	s_andn2_saveexec_b64 s[60:61], s[68:69]
	s_cbranch_execz .LBB94_2760
; %bb.2759:                             ;   in Loop: Header=BB94_17 Depth=1
	flat_load_ushort v14, v[14:15]
	s_waitcnt vmcnt(0) lgkmcnt(0)
	v_cvt_f32_f16_e32 v66, v14
.LBB94_2760:                            ;   in Loop: Header=BB94_17 Depth=1
	s_or_b64 exec, exec, s[60:61]
.LBB94_2761:                            ;   in Loop: Header=BB94_17 Depth=1
	s_or_b64 exec, exec, s[66:67]
                                        ; implicit-def: $vgpr14_vgpr15
.LBB94_2762:                            ;   in Loop: Header=BB94_17 Depth=1
	s_andn2_saveexec_b64 s[72:73], s[72:73]
	s_cbranch_execz .LBB94_2780
; %bb.2763:                             ;   in Loop: Header=BB94_17 Depth=1
	v_cmp_gt_i16_sdwa s[60:61], v7, v52 src0_sel:BYTE_0 src1_sel:DWORD
                                        ; implicit-def: $vgpr66
	s_and_saveexec_b64 s[62:63], s[60:61]
	s_xor_b64 s[74:75], exec, s[62:63]
	s_cbranch_execz .LBB94_2773
; %bb.2764:                             ;   in Loop: Header=BB94_17 Depth=1
	v_cmp_gt_i16_sdwa s[60:61], v7, v53 src0_sel:BYTE_0 src1_sel:DWORD
                                        ; implicit-def: $vgpr66
	s_and_saveexec_b64 s[62:63], s[60:61]
	s_xor_b64 s[66:67], exec, s[62:63]
	;; [unrolled: 6-line block ×3, first 2 shown]
	s_cbranch_execz .LBB94_2767
; %bb.2766:                             ;   in Loop: Header=BB94_17 Depth=1
	flat_load_dwordx2 v[14:15], v[14:15]
	s_waitcnt vmcnt(0) lgkmcnt(0)
	v_xor_b32_e32 v66, v14, v15
	v_ffbh_i32_e32 v64, v15
	v_ashrrev_i32_e32 v66, 31, v66
	v_add_u32_e32 v64, -1, v64
	v_add_u32_e32 v66, 32, v66
	v_min_u32_e32 v64, v64, v66
	v_lshlrev_b64 v[14:15], v64, v[14:15]
	v_min_u32_e32 v14, 1, v14
	v_or_b32_e32 v14, v15, v14
	v_cvt_f32_i32_e32 v14, v14
	v_sub_u32_e32 v15, 32, v64
	v_ldexp_f32 v66, v14, v15
                                        ; implicit-def: $vgpr14_vgpr15
.LBB94_2767:                            ;   in Loop: Header=BB94_17 Depth=1
	s_andn2_saveexec_b64 s[60:61], s[68:69]
	s_cbranch_execz .LBB94_2769
; %bb.2768:                             ;   in Loop: Header=BB94_17 Depth=1
	flat_load_dword v14, v[14:15]
	s_waitcnt vmcnt(0) lgkmcnt(0)
	v_cvt_f32_i32_e32 v66, v14
.LBB94_2769:                            ;   in Loop: Header=BB94_17 Depth=1
	s_or_b64 exec, exec, s[60:61]
                                        ; implicit-def: $vgpr14_vgpr15
.LBB94_2770:                            ;   in Loop: Header=BB94_17 Depth=1
	s_andn2_saveexec_b64 s[60:61], s[66:67]
	s_cbranch_execz .LBB94_2772
; %bb.2771:                             ;   in Loop: Header=BB94_17 Depth=1
	flat_load_sshort v14, v[14:15]
	s_waitcnt vmcnt(0) lgkmcnt(0)
	v_cvt_f32_i32_e32 v66, v14
.LBB94_2772:                            ;   in Loop: Header=BB94_17 Depth=1
	s_or_b64 exec, exec, s[60:61]
                                        ; implicit-def: $vgpr14_vgpr15
.LBB94_2773:                            ;   in Loop: Header=BB94_17 Depth=1
	s_andn2_saveexec_b64 s[66:67], s[74:75]
	s_cbranch_execz .LBB94_2779
; %bb.2774:                             ;   in Loop: Header=BB94_17 Depth=1
	v_cmp_gt_i16_sdwa s[60:61], v7, v16 src0_sel:BYTE_0 src1_sel:DWORD
                                        ; implicit-def: $vgpr66
	s_and_saveexec_b64 s[62:63], s[60:61]
	s_xor_b64 s[60:61], exec, s[62:63]
	s_cbranch_execz .LBB94_2776
; %bb.2775:                             ;   in Loop: Header=BB94_17 Depth=1
	flat_load_sbyte v14, v[14:15]
	s_waitcnt vmcnt(0) lgkmcnt(0)
	v_cvt_f32_i32_e32 v66, v14
                                        ; implicit-def: $vgpr14_vgpr15
.LBB94_2776:                            ;   in Loop: Header=BB94_17 Depth=1
	s_andn2_saveexec_b64 s[60:61], s[60:61]
	s_cbranch_execz .LBB94_2778
; %bb.2777:                             ;   in Loop: Header=BB94_17 Depth=1
	flat_load_ubyte v14, v[14:15]
	s_waitcnt vmcnt(0) lgkmcnt(0)
	v_cvt_f32_ubyte0_e32 v66, v14
.LBB94_2778:                            ;   in Loop: Header=BB94_17 Depth=1
	s_or_b64 exec, exec, s[60:61]
.LBB94_2779:                            ;   in Loop: Header=BB94_17 Depth=1
	s_or_b64 exec, exec, s[66:67]
.LBB94_2780:                            ;   in Loop: Header=BB94_17 Depth=1
	s_or_b64 exec, exec, s[72:73]
	s_andn2_b64 s[86:87], s[86:87], exec
	s_andn2_b64 s[84:85], s[84:85], exec
	s_or_b64 vcc, vcc, exec
	s_or_b64 exec, exec, s[78:79]
	s_mov_b64 s[66:67], 0
	s_and_saveexec_b64 s[92:93], vcc
	s_cbranch_execz .LBB94_2886
.LBB94_2781:                            ;   in Loop: Header=BB94_17 Depth=1
	v_mul_lo_u32 v14, v65, v10
	v_readlane_b32 s60, v44, 0
	v_add_co_u32_e32 v14, vcc, v4, v14
	v_add_u32_e32 v64, s60, v17
	v_addc_co_u32_e32 v15, vcc, 0, v5, vcc
	v_cmp_gt_i16_sdwa s[60:61], v8, v18 src0_sel:BYTE_0 src1_sel:DWORD
	s_mov_b64 s[78:79], 0
	s_waitcnt vmcnt(0) lgkmcnt(0)
	buffer_store_dword v66, v64, s[0:3], 0 offen offset:100
                                        ; implicit-def: $vcc
                                        ; implicit-def: $sgpr96_sgpr97
                                        ; implicit-def: $vgpr65
	s_and_saveexec_b64 s[62:63], s[60:61]
	s_xor_b64 s[62:63], exec, s[62:63]
	v_writelane_b32 v44, s62, 24
	v_writelane_b32 v44, s63, 25
	s_cbranch_execz .LBB94_2841
; %bb.2782:                             ;   in Loop: Header=BB94_17 Depth=1
	v_cmp_gt_i16_sdwa vcc, v8, v19 src0_sel:BYTE_0 src1_sel:DWORD
                                        ; implicit-def: $sgpr80_sgpr81
                                        ; implicit-def: $sgpr96_sgpr97
                                        ; implicit-def: $vgpr65
	s_and_saveexec_b64 s[60:61], vcc
	s_xor_b64 s[76:77], exec, s[60:61]
	s_cbranch_execz .LBB94_2814
; %bb.2783:                             ;   in Loop: Header=BB94_17 Depth=1
	v_cmp_gt_i16_sdwa vcc, v8, v20 src0_sel:BYTE_0 src1_sel:DWORD
                                        ; implicit-def: $sgpr72_sgpr73
                                        ; implicit-def: $sgpr94_sgpr95
                                        ; implicit-def: $vgpr65
	s_and_saveexec_b64 s[60:61], vcc
	s_xor_b64 s[80:81], exec, s[60:61]
	s_cbranch_execz .LBB94_2799
; %bb.2784:                             ;   in Loop: Header=BB94_17 Depth=1
	v_cmp_gt_i16_sdwa s[60:61], v8, v21 src0_sel:BYTE_0 src1_sel:DWORD
	s_mov_b64 s[74:75], 0
                                        ; implicit-def: $vcc
                                        ; implicit-def: $sgpr94_sgpr95
                                        ; implicit-def: $vgpr65
	s_and_saveexec_b64 s[62:63], s[60:61]
	s_xor_b64 s[72:73], exec, s[62:63]
	s_cbranch_execz .LBB94_2794
; %bb.2785:                             ;   in Loop: Header=BB94_17 Depth=1
	v_cmp_gt_i16_sdwa vcc, v8, v22 src0_sel:BYTE_0 src1_sel:DWORD
                                        ; implicit-def: $sgpr94_sgpr95
                                        ; implicit-def: $sgpr74_sgpr75
                                        ; implicit-def: $vgpr65
	s_and_saveexec_b64 s[60:61], vcc
	s_xor_b64 vcc, exec, s[60:61]
	s_cbranch_execz .LBB94_2789
; %bb.2786:                             ;   in Loop: Header=BB94_17 Depth=1
	v_cmp_eq_u16_sdwa s[62:63], v8, v23 src0_sel:BYTE_0 src1_sel:DWORD
	s_mov_b64 s[74:75], 0
                                        ; implicit-def: $vgpr65
	s_and_saveexec_b64 s[60:61], s[62:63]
	s_cbranch_execz .LBB94_2788
; %bb.2787:                             ;   in Loop: Header=BB94_17 Depth=1
	flat_load_dword v14, v[14:15]
	s_mov_b64 s[66:67], exec
	s_waitcnt vmcnt(0) lgkmcnt(0)
	v_lshlrev_b32_e32 v65, 16, v14
.LBB94_2788:                            ;   in Loop: Header=BB94_17 Depth=1
	s_or_b64 exec, exec, s[60:61]
	s_mov_b64 s[94:95], -1
	s_and_b64 s[78:79], s[66:67], exec
                                        ; implicit-def: $vgpr14_vgpr15
.LBB94_2789:                            ;   in Loop: Header=BB94_17 Depth=1
	s_andn2_saveexec_b64 s[66:67], vcc
	s_cbranch_execz .LBB94_2793
; %bb.2790:                             ;   in Loop: Header=BB94_17 Depth=1
	v_cmp_eq_u16_sdwa s[60:61], v8, v24 src0_sel:BYTE_0 src1_sel:DWORD
	s_mov_b64 vcc, s[78:79]
                                        ; implicit-def: $vgpr65
	s_and_saveexec_b64 s[68:69], s[60:61]
	s_cbranch_execz .LBB94_2792
; %bb.2791:                             ;   in Loop: Header=BB94_17 Depth=1
	flat_load_ubyte v14, v[14:15]
	s_movk_i32 vcc_lo, 0xff
	s_waitcnt vmcnt(0) lgkmcnt(0)
	v_lshlrev_b32_e32 v15, 23, v14
	v_cmp_ne_u32_e32 vcc, vcc_lo, v14
	v_cndmask_b32_e32 v15, v25, v15, vcc
	v_cmp_ne_u32_e32 vcc, 0, v14
	v_cndmask_b32_e32 v65, v26, v15, vcc
	s_or_b64 vcc, s[78:79], exec
.LBB94_2792:                            ;   in Loop: Header=BB94_17 Depth=1
	s_or_b64 exec, exec, s[68:69]
	s_andn2_b64 s[60:61], s[78:79], exec
	s_and_b64 vcc, vcc, exec
	s_or_b64 s[94:95], s[94:95], exec
	s_andn2_b64 s[74:75], s[74:75], exec
	s_or_b64 s[78:79], s[60:61], vcc
.LBB94_2793:                            ;   in Loop: Header=BB94_17 Depth=1
	s_or_b64 exec, exec, s[66:67]
	s_and_b64 s[94:95], s[94:95], exec
	s_and_b64 vcc, s[74:75], exec
	s_and_b64 s[74:75], s[78:79], exec
                                        ; implicit-def: $vgpr14_vgpr15
.LBB94_2794:                            ;   in Loop: Header=BB94_17 Depth=1
	s_andn2_saveexec_b64 s[66:67], s[72:73]
	s_cbranch_execz .LBB94_2798
; %bb.2795:                             ;   in Loop: Header=BB94_17 Depth=1
	v_cmp_eq_u16_sdwa s[60:61], v8, v27 src0_sel:BYTE_0 src1_sel:DWORD
	s_mov_b64 s[70:71], s[74:75]
                                        ; implicit-def: $vgpr65
	s_and_saveexec_b64 s[68:69], s[60:61]
	s_cbranch_execz .LBB94_2797
; %bb.2796:                             ;   in Loop: Header=BB94_17 Depth=1
	flat_load_dwordx2 v[14:15], v[14:15]
	s_or_b64 s[70:71], s[74:75], exec
	s_waitcnt vmcnt(0) lgkmcnt(0)
	v_ffbh_u32_e32 v65, v15
	v_min_u32_e32 v65, 32, v65
	v_lshlrev_b64 v[14:15], v65, v[14:15]
	v_min_u32_e32 v14, 1, v14
	v_or_b32_e32 v14, v15, v14
	v_cvt_f32_u32_e32 v14, v14
	v_sub_u32_e32 v15, 32, v65
	v_ldexp_f32 v65, v14, v15
.LBB94_2797:                            ;   in Loop: Header=BB94_17 Depth=1
	s_or_b64 exec, exec, s[68:69]
	s_andn2_b64 s[60:61], s[74:75], exec
	s_and_b64 s[62:63], s[70:71], exec
	s_or_b64 s[94:95], s[94:95], exec
	s_andn2_b64 vcc, vcc, exec
	s_or_b64 s[74:75], s[60:61], s[62:63]
.LBB94_2798:                            ;   in Loop: Header=BB94_17 Depth=1
	s_or_b64 exec, exec, s[66:67]
	s_and_b64 s[94:95], s[94:95], exec
	s_and_b64 s[72:73], vcc, exec
	s_and_b64 s[78:79], s[74:75], exec
                                        ; implicit-def: $vgpr14_vgpr15
.LBB94_2799:                            ;   in Loop: Header=BB94_17 Depth=1
	s_andn2_saveexec_b64 s[80:81], s[80:81]
	s_cbranch_execz .LBB94_2813
; %bb.2800:                             ;   in Loop: Header=BB94_17 Depth=1
	v_cmp_gt_i16_sdwa vcc, v8, v28 src0_sel:BYTE_0 src1_sel:DWORD
                                        ; implicit-def: $vgpr65
	s_and_saveexec_b64 s[60:61], vcc
	s_xor_b64 vcc, exec, s[60:61]
	s_cbranch_execz .LBB94_2806
; %bb.2801:                             ;   in Loop: Header=BB94_17 Depth=1
	v_cmp_gt_i16_sdwa s[60:61], v8, v29 src0_sel:BYTE_0 src1_sel:DWORD
                                        ; implicit-def: $vgpr65
	s_and_saveexec_b64 s[62:63], s[60:61]
	s_xor_b64 s[60:61], exec, s[62:63]
	s_cbranch_execz .LBB94_2803
; %bb.2802:                             ;   in Loop: Header=BB94_17 Depth=1
	flat_load_dword v14, v[14:15]
	s_waitcnt vmcnt(0) lgkmcnt(0)
	v_cvt_f32_u32_e32 v65, v14
                                        ; implicit-def: $vgpr14_vgpr15
.LBB94_2803:                            ;   in Loop: Header=BB94_17 Depth=1
	s_andn2_saveexec_b64 s[60:61], s[60:61]
	s_cbranch_execz .LBB94_2805
; %bb.2804:                             ;   in Loop: Header=BB94_17 Depth=1
	flat_load_ushort v14, v[14:15]
	s_waitcnt vmcnt(0) lgkmcnt(0)
	v_cvt_f32_u32_e32 v65, v14
.LBB94_2805:                            ;   in Loop: Header=BB94_17 Depth=1
	s_or_b64 exec, exec, s[60:61]
                                        ; implicit-def: $vgpr14_vgpr15
.LBB94_2806:                            ;   in Loop: Header=BB94_17 Depth=1
	s_andn2_saveexec_b64 s[74:75], vcc
	s_cbranch_execz .LBB94_2812
; %bb.2807:                             ;   in Loop: Header=BB94_17 Depth=1
	flat_load_ubyte v14, v[14:15]
	s_movk_i32 vcc_lo, 0x7f
	s_mov_b64 s[66:67], 0
                                        ; implicit-def: $sgpr70
	s_waitcnt vmcnt(0) lgkmcnt(0)
	v_cmp_lt_i16_e32 vcc, vcc_lo, v14
	s_and_saveexec_b64 s[60:61], vcc
	s_xor_b64 s[68:69], exec, s[60:61]
	s_cbranch_execnz .LBB94_3594
; %bb.2808:                             ;   in Loop: Header=BB94_17 Depth=1
	s_or_saveexec_b64 s[68:69], s[68:69]
	v_mov_b32_e32 v65, s70
	s_xor_b64 exec, exec, s[68:69]
	s_cbranch_execnz .LBB94_3597
.LBB94_2809:                            ;   in Loop: Header=BB94_17 Depth=1
	s_or_b64 exec, exec, s[68:69]
	s_and_saveexec_b64 s[68:69], s[66:67]
	s_cbranch_execz .LBB94_2811
.LBB94_2810:                            ;   in Loop: Header=BB94_17 Depth=1
	v_lshlrev_b32_e32 v15, 24, v14
	v_and_b32_e32 v14, 0xffff, v14
	v_and_b32_e32 v65, 7, v14
	v_ffbh_u32_e32 v67, v65
	v_min_u32_e32 v67, 32, v67
	v_subrev_u32_e32 v68, 28, v67
	v_bfe_u32 v66, v14, 3, 4
	v_lshlrev_b32_e32 v14, v68, v14
	v_sub_u32_e32 v67, 29, v67
	v_and_b32_e32 v14, 7, v14
	v_cmp_eq_u32_e32 vcc, 0, v66
	v_cndmask_b32_e32 v66, v66, v67, vcc
	v_cndmask_b32_e32 v14, v65, v14, vcc
	v_lshlrev_b32_e32 v14, 20, v14
	v_and_b32_e32 v15, 0x80000000, v15
	v_lshl_add_u32 v65, v66, 23, v30
	v_or3_b32 v65, v15, v65, v14
.LBB94_2811:                            ;   in Loop: Header=BB94_17 Depth=1
	s_or_b64 exec, exec, s[68:69]
.LBB94_2812:                            ;   in Loop: Header=BB94_17 Depth=1
	s_or_b64 exec, exec, s[74:75]
	s_andn2_b64 s[94:95], s[94:95], exec
	s_andn2_b64 s[72:73], s[72:73], exec
	s_or_b64 s[78:79], s[78:79], exec
.LBB94_2813:                            ;   in Loop: Header=BB94_17 Depth=1
	s_or_b64 exec, exec, s[80:81]
	s_and_b64 s[96:97], s[94:95], exec
	s_and_b64 s[80:81], s[72:73], exec
	;; [unrolled: 1-line block ×3, first 2 shown]
                                        ; implicit-def: $vgpr14_vgpr15
.LBB94_2814:                            ;   in Loop: Header=BB94_17 Depth=1
	s_andn2_saveexec_b64 s[94:95], s[76:77]
	s_cbranch_execz .LBB94_2840
; %bb.2815:                             ;   in Loop: Header=BB94_17 Depth=1
	v_cmp_gt_i16_sdwa vcc, v8, v31 src0_sel:BYTE_0 src1_sel:DWORD
	s_mov_b64 s[74:75], s[78:79]
                                        ; implicit-def: $vgpr65
	s_and_saveexec_b64 s[60:61], vcc
	s_xor_b64 s[72:73], exec, s[60:61]
	s_cbranch_execz .LBB94_2829
; %bb.2816:                             ;   in Loop: Header=BB94_17 Depth=1
	v_cmp_gt_i16_sdwa vcc, v8, v32 src0_sel:BYTE_0 src1_sel:DWORD
                                        ; implicit-def: $vgpr65
	s_and_saveexec_b64 s[60:61], vcc
	s_xor_b64 s[62:63], exec, s[60:61]
	s_cbranch_execz .LBB94_2826
; %bb.2817:                             ;   in Loop: Header=BB94_17 Depth=1
	v_cmp_gt_i16_sdwa vcc, v8, v33 src0_sel:BYTE_0 src1_sel:DWORD
                                        ; implicit-def: $vgpr65
	s_and_saveexec_b64 s[60:61], vcc
	s_xor_b64 s[74:75], exec, s[60:61]
	s_cbranch_execz .LBB94_2823
; %bb.2818:                             ;   in Loop: Header=BB94_17 Depth=1
	flat_load_ubyte v14, v[14:15]
	s_movk_i32 vcc_lo, 0x7f
	s_mov_b64 s[66:67], 0
                                        ; implicit-def: $sgpr70
	s_waitcnt vmcnt(0) lgkmcnt(0)
	v_cmp_lt_i16_e32 vcc, vcc_lo, v14
	s_and_saveexec_b64 s[60:61], vcc
	s_xor_b64 s[68:69], exec, s[60:61]
	s_cbranch_execnz .LBB94_3602
; %bb.2819:                             ;   in Loop: Header=BB94_17 Depth=1
	s_or_saveexec_b64 s[68:69], s[68:69]
	v_mov_b32_e32 v65, s70
	s_xor_b64 exec, exec, s[68:69]
	s_cbranch_execnz .LBB94_3605
.LBB94_2820:                            ;   in Loop: Header=BB94_17 Depth=1
	s_or_b64 exec, exec, s[68:69]
	s_and_saveexec_b64 s[68:69], s[66:67]
	s_cbranch_execz .LBB94_2822
.LBB94_2821:                            ;   in Loop: Header=BB94_17 Depth=1
	v_lshlrev_b32_e32 v15, 24, v14
	v_and_b32_e32 v14, 0xffff, v14
	v_and_b32_e32 v65, 3, v14
	v_ffbh_u32_e32 v67, v65
	v_min_u32_e32 v67, 32, v67
	v_subrev_u32_e32 v68, 29, v67
	v_bfe_u32 v66, v14, 2, 5
	v_lshlrev_b32_e32 v14, v68, v14
	v_sub_u32_e32 v67, 30, v67
	v_and_b32_e32 v14, 3, v14
	v_cmp_eq_u32_e32 vcc, 0, v66
	v_cndmask_b32_e32 v66, v66, v67, vcc
	v_cndmask_b32_e32 v14, v65, v14, vcc
	v_lshlrev_b32_e32 v14, 21, v14
	v_and_b32_e32 v15, 0x80000000, v15
	v_lshl_add_u32 v65, v66, 23, v34
	v_or3_b32 v65, v15, v65, v14
.LBB94_2822:                            ;   in Loop: Header=BB94_17 Depth=1
	s_or_b64 exec, exec, s[68:69]
                                        ; implicit-def: $vgpr14_vgpr15
.LBB94_2823:                            ;   in Loop: Header=BB94_17 Depth=1
	s_andn2_saveexec_b64 s[66:67], s[74:75]
	s_cbranch_execz .LBB94_2825
; %bb.2824:                             ;   in Loop: Header=BB94_17 Depth=1
	flat_load_ubyte v14, v[14:15]
	s_mov_b32 vcc_lo, 0x7f800000
	s_waitcnt vmcnt(0) lgkmcnt(0)
	v_lshlrev_b32_e32 v14, 24, v14
	v_and_b32_e32 v15, 0x7f000000, v14
	v_ffbh_u32_e32 v65, v15
	v_min_u32_e32 v65, 32, v65
	v_sub_u32_e64 v65, v65, 4 clamp
	v_lshlrev_b32_e32 v67, v65, v15
	v_lshlrev_b32_e32 v65, 23, v65
	v_lshrrev_b32_e32 v67, 4, v67
	v_add_u32_e32 v66, 0x1000000, v15
	v_sub_u32_e32 v65, v67, v65
	v_ashrrev_i32_e32 v66, 8, v66
	v_add_u32_e32 v65, 0x3c000000, v65
	v_and_or_b32 v65, v66, vcc_lo, v65
	v_cmp_ne_u32_e32 vcc, 0, v15
	v_cndmask_b32_e32 v15, 0, v65, vcc
	s_brev_b32 vcc_lo, 1
	v_and_or_b32 v65, v14, vcc_lo, v15
.LBB94_2825:                            ;   in Loop: Header=BB94_17 Depth=1
	s_or_b64 exec, exec, s[66:67]
                                        ; implicit-def: $vgpr14_vgpr15
.LBB94_2826:                            ;   in Loop: Header=BB94_17 Depth=1
	s_andn2_saveexec_b64 s[66:67], s[62:63]
	s_cbranch_execz .LBB94_2828
; %bb.2827:                             ;   in Loop: Header=BB94_17 Depth=1
	flat_load_ubyte v14, v[14:15]
	s_movk_i32 vcc_lo, 0x7f00
	s_waitcnt vmcnt(0) lgkmcnt(0)
	v_lshlrev_b16_e32 v15, 8, v14
	v_lshlrev_b32_e32 v14, 25, v14
	v_lshrrev_b32_e32 v65, 4, v14
	v_and_or_b32 v66, v15, vcc_lo, 0.5
	v_or_b32_e32 v65, 0x70000000, v65
	s_brev_b32 vcc_lo, 16
	v_add_f32_e32 v66, -0.5, v66
	v_mul_f32_e32 v65, 0x7800000, v65
	v_cmp_gt_u32_e32 vcc, vcc_lo, v14
	v_cndmask_b32_e32 v14, v65, v66, vcc
	v_bfe_i32 v15, v15, 0, 16
	s_brev_b32 vcc_lo, 1
	v_and_or_b32 v65, v15, vcc_lo, v14
.LBB94_2828:                            ;   in Loop: Header=BB94_17 Depth=1
	s_or_b64 exec, exec, s[66:67]
	s_or_b64 s[74:75], s[78:79], exec
                                        ; implicit-def: $vgpr14_vgpr15
.LBB94_2829:                            ;   in Loop: Header=BB94_17 Depth=1
	s_or_saveexec_b64 s[72:73], s[72:73]
                                        ; implicit-def: $vcc
                                        ; implicit-def: $sgpr68_sgpr69
	s_xor_b64 exec, exec, s[72:73]
	s_cbranch_execz .LBB94_2839
; %bb.2830:                             ;   in Loop: Header=BB94_17 Depth=1
	v_cmp_gt_i16_sdwa vcc, v8, v35 src0_sel:BYTE_0 src1_sel:DWORD
	s_mov_b64 s[66:67], s[74:75]
                                        ; implicit-def: $sgpr68_sgpr69
                                        ; implicit-def: $sgpr76_sgpr77
                                        ; implicit-def: $vgpr65
	s_and_saveexec_b64 s[60:61], vcc
	s_xor_b64 vcc, exec, s[60:61]
	s_cbranch_execz .LBB94_2834
; %bb.2831:                             ;   in Loop: Header=BB94_17 Depth=1
	v_cmp_eq_u16_sdwa s[62:63], v8, v36 src0_sel:BYTE_0 src1_sel:DWORD
	s_mov_b64 s[66:67], s[74:75]
                                        ; implicit-def: $vgpr65
	s_and_saveexec_b64 s[60:61], s[62:63]
	s_cbranch_execz .LBB94_2833
; %bb.2832:                             ;   in Loop: Header=BB94_17 Depth=1
	flat_load_ushort v14, v[14:15]
	s_or_b64 s[66:67], s[74:75], exec
	s_waitcnt vmcnt(0) lgkmcnt(0)
	v_lshlrev_b32_e32 v65, 16, v14
.LBB94_2833:                            ;   in Loop: Header=BB94_17 Depth=1
	s_or_b64 exec, exec, s[60:61]
	s_andn2_b64 s[60:61], s[74:75], exec
	s_and_b64 s[62:63], s[66:67], exec
	s_mov_b64 s[76:77], 0
	s_mov_b64 s[68:69], -1
	s_or_b64 s[66:67], s[60:61], s[62:63]
                                        ; implicit-def: $vgpr14_vgpr15
.LBB94_2834:                            ;   in Loop: Header=BB94_17 Depth=1
	s_andn2_saveexec_b64 s[70:71], vcc
	s_cbranch_execz .LBB94_2838
; %bb.2835:                             ;   in Loop: Header=BB94_17 Depth=1
	v_cmp_eq_u16_sdwa s[62:63], v8, v37 src0_sel:BYTE_0 src1_sel:DWORD
	s_mov_b64 vcc, s[66:67]
                                        ; implicit-def: $vgpr65
	s_and_saveexec_b64 s[60:61], s[62:63]
	s_cbranch_execz .LBB94_2837
; %bb.2836:                             ;   in Loop: Header=BB94_17 Depth=1
	flat_load_ubyte v14, v[14:15]
	s_waitcnt vmcnt(0) lgkmcnt(0)
	v_cmp_ne_u16_e32 vcc, 0, v14
	v_cndmask_b32_e64 v65, 0, 1.0, vcc
	s_or_b64 vcc, s[66:67], exec
.LBB94_2837:                            ;   in Loop: Header=BB94_17 Depth=1
	s_or_b64 exec, exec, s[60:61]
	s_andn2_b64 s[60:61], s[66:67], exec
	s_and_b64 vcc, vcc, exec
	s_or_b64 s[68:69], s[68:69], exec
	s_andn2_b64 s[76:77], s[76:77], exec
	s_or_b64 s[66:67], s[60:61], vcc
.LBB94_2838:                            ;   in Loop: Header=BB94_17 Depth=1
	s_or_b64 exec, exec, s[70:71]
	s_andn2_b64 s[60:61], s[74:75], exec
	s_and_b64 s[62:63], s[66:67], exec
	s_and_b64 s[68:69], s[68:69], exec
	s_and_b64 vcc, s[76:77], exec
	s_or_b64 s[74:75], s[60:61], s[62:63]
.LBB94_2839:                            ;   in Loop: Header=BB94_17 Depth=1
	s_or_b64 exec, exec, s[72:73]
	s_andn2_b64 s[60:61], s[96:97], exec
	s_and_b64 s[62:63], s[68:69], exec
	s_or_b64 s[96:97], s[60:61], s[62:63]
	s_andn2_b64 s[60:61], s[80:81], exec
	s_and_b64 vcc, vcc, exec
	s_or_b64 s[80:81], s[60:61], vcc
	s_andn2_b64 vcc, s[78:79], exec
	s_and_b64 s[60:61], s[74:75], exec
	s_or_b64 s[78:79], vcc, s[60:61]
.LBB94_2840:                            ;   in Loop: Header=BB94_17 Depth=1
	s_or_b64 exec, exec, s[94:95]
	s_and_b64 s[96:97], s[96:97], exec
	s_and_b64 vcc, s[80:81], exec
	s_and_b64 s[78:79], s[78:79], exec
                                        ; implicit-def: $vgpr14_vgpr15
.LBB94_2841:                            ;   in Loop: Header=BB94_17 Depth=1
	v_readlane_b32 s60, v44, 24
	v_readlane_b32 s61, v44, 25
	s_andn2_saveexec_b64 s[80:81], s[60:61]
	s_cbranch_execz .LBB94_2883
; %bb.2842:                             ;   in Loop: Header=BB94_17 Depth=1
	v_cmp_gt_i16_sdwa s[60:61], v8, v38 src0_sel:BYTE_0 src1_sel:DWORD
                                        ; implicit-def: $vgpr65
	s_and_saveexec_b64 s[62:63], s[60:61]
	s_xor_b64 s[72:73], exec, s[62:63]
	s_cbranch_execz .LBB94_2864
; %bb.2843:                             ;   in Loop: Header=BB94_17 Depth=1
	v_cmp_gt_i16_sdwa s[60:61], v8, v39 src0_sel:BYTE_0 src1_sel:DWORD
                                        ; implicit-def: $vgpr65
	s_and_saveexec_b64 s[62:63], s[60:61]
	s_xor_b64 s[66:67], exec, s[62:63]
	;; [unrolled: 6-line block ×4, first 2 shown]
	s_cbranch_execz .LBB94_2847
; %bb.2846:                             ;   in Loop: Header=BB94_17 Depth=1
	flat_load_dwordx2 v[14:15], v[14:15]
	s_waitcnt vmcnt(0) lgkmcnt(0)
	v_cvt_f32_f64_e32 v65, v[14:15]
                                        ; implicit-def: $vgpr14_vgpr15
.LBB94_2847:                            ;   in Loop: Header=BB94_17 Depth=1
	s_andn2_saveexec_b64 s[60:61], s[60:61]
	s_cbranch_execz .LBB94_2849
; %bb.2848:                             ;   in Loop: Header=BB94_17 Depth=1
	flat_load_dword v65, v[14:15]
.LBB94_2849:                            ;   in Loop: Header=BB94_17 Depth=1
	s_or_b64 exec, exec, s[60:61]
                                        ; implicit-def: $vgpr14_vgpr15
.LBB94_2850:                            ;   in Loop: Header=BB94_17 Depth=1
	s_andn2_saveexec_b64 s[60:61], s[68:69]
	s_cbranch_execz .LBB94_2852
; %bb.2851:                             ;   in Loop: Header=BB94_17 Depth=1
	flat_load_dword v14, v[14:15]
	s_waitcnt vmcnt(0) lgkmcnt(0)
	v_cvt_f32_f16_e32 v65, v14
.LBB94_2852:                            ;   in Loop: Header=BB94_17 Depth=1
	s_or_b64 exec, exec, s[60:61]
                                        ; implicit-def: $vgpr14_vgpr15
.LBB94_2853:                            ;   in Loop: Header=BB94_17 Depth=1
	s_andn2_saveexec_b64 s[66:67], s[66:67]
	s_cbranch_execz .LBB94_2863
; %bb.2854:                             ;   in Loop: Header=BB94_17 Depth=1
	v_cmp_gt_i16_sdwa s[60:61], v8, v50 src0_sel:BYTE_0 src1_sel:DWORD
                                        ; implicit-def: $vgpr65
	s_and_saveexec_b64 s[62:63], s[60:61]
	s_xor_b64 s[68:69], exec, s[62:63]
	s_cbranch_execz .LBB94_2860
; %bb.2855:                             ;   in Loop: Header=BB94_17 Depth=1
	v_cmp_gt_i16_sdwa s[60:61], v8, v51 src0_sel:BYTE_0 src1_sel:DWORD
                                        ; implicit-def: $vgpr65
	s_and_saveexec_b64 s[62:63], s[60:61]
	s_xor_b64 s[60:61], exec, s[62:63]
	s_cbranch_execz .LBB94_2857
; %bb.2856:                             ;   in Loop: Header=BB94_17 Depth=1
	flat_load_dwordx2 v[14:15], v[14:15]
	s_waitcnt vmcnt(0) lgkmcnt(0)
	v_cvt_f32_f64_e32 v65, v[14:15]
                                        ; implicit-def: $vgpr14_vgpr15
.LBB94_2857:                            ;   in Loop: Header=BB94_17 Depth=1
	s_andn2_saveexec_b64 s[60:61], s[60:61]
	s_cbranch_execz .LBB94_2859
; %bb.2858:                             ;   in Loop: Header=BB94_17 Depth=1
	s_waitcnt vmcnt(0) lgkmcnt(0)
	flat_load_dword v65, v[14:15]
.LBB94_2859:                            ;   in Loop: Header=BB94_17 Depth=1
	s_or_b64 exec, exec, s[60:61]
                                        ; implicit-def: $vgpr14_vgpr15
.LBB94_2860:                            ;   in Loop: Header=BB94_17 Depth=1
	s_andn2_saveexec_b64 s[60:61], s[68:69]
	s_cbranch_execz .LBB94_2862
; %bb.2861:                             ;   in Loop: Header=BB94_17 Depth=1
	flat_load_ushort v14, v[14:15]
	s_waitcnt vmcnt(0) lgkmcnt(0)
	v_cvt_f32_f16_e32 v65, v14
.LBB94_2862:                            ;   in Loop: Header=BB94_17 Depth=1
	s_or_b64 exec, exec, s[60:61]
.LBB94_2863:                            ;   in Loop: Header=BB94_17 Depth=1
	s_or_b64 exec, exec, s[66:67]
                                        ; implicit-def: $vgpr14_vgpr15
.LBB94_2864:                            ;   in Loop: Header=BB94_17 Depth=1
	s_andn2_saveexec_b64 s[72:73], s[72:73]
	s_cbranch_execz .LBB94_2882
; %bb.2865:                             ;   in Loop: Header=BB94_17 Depth=1
	v_cmp_gt_i16_sdwa s[60:61], v8, v52 src0_sel:BYTE_0 src1_sel:DWORD
                                        ; implicit-def: $vgpr65
	s_and_saveexec_b64 s[62:63], s[60:61]
	s_xor_b64 s[74:75], exec, s[62:63]
	s_cbranch_execz .LBB94_2875
; %bb.2866:                             ;   in Loop: Header=BB94_17 Depth=1
	v_cmp_gt_i16_sdwa s[60:61], v8, v53 src0_sel:BYTE_0 src1_sel:DWORD
                                        ; implicit-def: $vgpr65
	s_and_saveexec_b64 s[62:63], s[60:61]
	s_xor_b64 s[66:67], exec, s[62:63]
	s_cbranch_execz .LBB94_2872
; %bb.2867:                             ;   in Loop: Header=BB94_17 Depth=1
	v_cmp_gt_i16_sdwa s[60:61], v8, v54 src0_sel:BYTE_0 src1_sel:DWORD
                                        ; implicit-def: $vgpr65
	s_and_saveexec_b64 s[62:63], s[60:61]
	s_xor_b64 s[68:69], exec, s[62:63]
	s_cbranch_execz .LBB94_2869
; %bb.2868:                             ;   in Loop: Header=BB94_17 Depth=1
	flat_load_dwordx2 v[14:15], v[14:15]
	s_waitcnt vmcnt(0) lgkmcnt(0)
	v_xor_b32_e32 v66, v14, v15
	v_ffbh_i32_e32 v65, v15
	v_ashrrev_i32_e32 v66, 31, v66
	v_add_u32_e32 v65, -1, v65
	v_add_u32_e32 v66, 32, v66
	v_min_u32_e32 v65, v65, v66
	v_lshlrev_b64 v[14:15], v65, v[14:15]
	v_min_u32_e32 v14, 1, v14
	v_or_b32_e32 v14, v15, v14
	v_cvt_f32_i32_e32 v14, v14
	v_sub_u32_e32 v15, 32, v65
	v_ldexp_f32 v65, v14, v15
                                        ; implicit-def: $vgpr14_vgpr15
.LBB94_2869:                            ;   in Loop: Header=BB94_17 Depth=1
	s_andn2_saveexec_b64 s[60:61], s[68:69]
	s_cbranch_execz .LBB94_2871
; %bb.2870:                             ;   in Loop: Header=BB94_17 Depth=1
	flat_load_dword v14, v[14:15]
	s_waitcnt vmcnt(0) lgkmcnt(0)
	v_cvt_f32_i32_e32 v65, v14
.LBB94_2871:                            ;   in Loop: Header=BB94_17 Depth=1
	s_or_b64 exec, exec, s[60:61]
                                        ; implicit-def: $vgpr14_vgpr15
.LBB94_2872:                            ;   in Loop: Header=BB94_17 Depth=1
	s_andn2_saveexec_b64 s[60:61], s[66:67]
	s_cbranch_execz .LBB94_2874
; %bb.2873:                             ;   in Loop: Header=BB94_17 Depth=1
	flat_load_sshort v14, v[14:15]
	s_waitcnt vmcnt(0) lgkmcnt(0)
	v_cvt_f32_i32_e32 v65, v14
.LBB94_2874:                            ;   in Loop: Header=BB94_17 Depth=1
	s_or_b64 exec, exec, s[60:61]
                                        ; implicit-def: $vgpr14_vgpr15
.LBB94_2875:                            ;   in Loop: Header=BB94_17 Depth=1
	s_andn2_saveexec_b64 s[66:67], s[74:75]
	s_cbranch_execz .LBB94_2881
; %bb.2876:                             ;   in Loop: Header=BB94_17 Depth=1
	v_cmp_gt_i16_sdwa s[60:61], v8, v16 src0_sel:BYTE_0 src1_sel:DWORD
                                        ; implicit-def: $vgpr65
	s_and_saveexec_b64 s[62:63], s[60:61]
	s_xor_b64 s[60:61], exec, s[62:63]
	s_cbranch_execz .LBB94_2878
; %bb.2877:                             ;   in Loop: Header=BB94_17 Depth=1
	flat_load_sbyte v14, v[14:15]
	s_waitcnt vmcnt(0) lgkmcnt(0)
	v_cvt_f32_i32_e32 v65, v14
                                        ; implicit-def: $vgpr14_vgpr15
.LBB94_2878:                            ;   in Loop: Header=BB94_17 Depth=1
	s_andn2_saveexec_b64 s[60:61], s[60:61]
	s_cbranch_execz .LBB94_2880
; %bb.2879:                             ;   in Loop: Header=BB94_17 Depth=1
	flat_load_ubyte v14, v[14:15]
	s_waitcnt vmcnt(0) lgkmcnt(0)
	v_cvt_f32_ubyte0_e32 v65, v14
.LBB94_2880:                            ;   in Loop: Header=BB94_17 Depth=1
	s_or_b64 exec, exec, s[60:61]
.LBB94_2881:                            ;   in Loop: Header=BB94_17 Depth=1
	s_or_b64 exec, exec, s[66:67]
.LBB94_2882:                            ;   in Loop: Header=BB94_17 Depth=1
	s_or_b64 exec, exec, s[72:73]
	s_andn2_b64 s[96:97], s[96:97], exec
	s_andn2_b64 vcc, vcc, exec
	s_or_b64 s[78:79], s[78:79], exec
.LBB94_2883:                            ;   in Loop: Header=BB94_17 Depth=1
	s_or_b64 exec, exec, s[80:81]
	s_mov_b64 s[66:67], 0
	s_and_saveexec_b64 s[68:69], s[78:79]
	s_cbranch_execz .LBB94_2885
; %bb.2884:                             ;   in Loop: Header=BB94_17 Depth=1
	s_mov_b64 s[66:67], exec
	v_add_u32_e32 v55, 0x200, v55
	s_andn2_b64 s[96:97], s[96:97], exec
	s_andn2_b64 vcc, vcc, exec
	s_waitcnt vmcnt(0) lgkmcnt(0)
	buffer_store_dword v65, v64, s[0:3], 0 offen offset:96
.LBB94_2885:                            ;   in Loop: Header=BB94_17 Depth=1
	s_or_b64 exec, exec, s[68:69]
	s_andn2_b64 s[60:61], s[86:87], exec
	s_and_b64 s[62:63], s[96:97], exec
	s_or_b64 s[86:87], s[60:61], s[62:63]
	s_andn2_b64 s[60:61], s[84:85], exec
	s_and_b64 vcc, vcc, exec
	s_or_b64 s[84:85], s[60:61], vcc
	s_and_b64 s[66:67], s[66:67], exec
.LBB94_2886:                            ;   in Loop: Header=BB94_17 Depth=1
	s_or_b64 exec, exec, s[92:93]
	s_and_b64 vcc, s[86:87], exec
	v_writelane_b32 v44, vcc_lo, 22
	v_writelane_b32 v44, vcc_hi, 23
	s_and_b64 s[62:63], s[84:85], exec
	s_orn2_b64 s[66:67], s[66:67], exec
.LBB94_2887:                            ;   in Loop: Header=BB94_17 Depth=1
	s_or_b64 exec, exec, s[88:89]
	s_and_saveexec_b64 s[88:89], s[66:67]
	s_cbranch_execz .LBB94_4
; %bb.2888:                             ;   in Loop: Header=BB94_17 Depth=1
	v_writelane_b32 v44, s62, 26
	v_cmp_lt_i32_e32 vcc, v55, v6
	s_mov_b64 s[96:97], -1
	s_mov_b64 s[66:67], -1
                                        ; implicit-def: $sgpr60_sgpr61
	v_writelane_b32 v44, s63, 27
                                        ; kill: killed $sgpr60_sgpr61
                                        ; implicit-def: $sgpr60_sgpr61
                                        ; kill: killed $sgpr60_sgpr61
	s_and_saveexec_b64 s[90:91], vcc
	s_cbranch_execz .LBB94_3114
; %bb.2889:                             ;   in Loop: Header=BB94_17 Depth=1
	v_readlane_b32 vcc_lo, v44, 1
	s_waitcnt vmcnt(0) lgkmcnt(0)
	v_add_u32_e32 v65, vcc_lo, v55
	v_mul_lo_u32 v14, v65, v9
	v_add_co_u32_e32 v14, vcc, v2, v14
	v_addc_co_u32_e32 v15, vcc, 0, v3, vcc
	v_cmp_gt_i16_sdwa s[60:61], v7, v18 src0_sel:BYTE_0 src1_sel:DWORD
	s_mov_b64 vcc, 0
                                        ; implicit-def: $sgpr94_sgpr95
                                        ; implicit-def: $sgpr92_sgpr93
                                        ; implicit-def: $vgpr66
	s_and_saveexec_b64 s[62:63], s[60:61]
	s_xor_b64 s[84:85], exec, s[62:63]
	s_cbranch_execnz .LBB94_2908
; %bb.2890:                             ;   in Loop: Header=BB94_17 Depth=1
	s_andn2_saveexec_b64 s[78:79], s[84:85]
	s_cbranch_execnz .LBB94_2967
.LBB94_2891:                            ;   in Loop: Header=BB94_17 Depth=1
	s_or_b64 exec, exec, s[78:79]
	s_mov_b64 s[66:67], 0
	s_and_saveexec_b64 s[84:85], vcc
	s_cbranch_execnz .LBB94_3008
	s_branch .LBB94_3113
.LBB94_2892:                            ;   in Loop: Header=BB94_17 Depth=1
	s_movk_i32 vcc_lo, 0x80
	v_cmp_eq_u16_e32 vcc, vcc_lo, v14
	s_mov_b64 s[80:81], -1
                                        ; implicit-def: $sgpr86
	s_and_saveexec_b64 s[84:85], vcc
; %bb.2893:                             ;   in Loop: Header=BB94_17 Depth=1
	s_mov_b32 s86, 0x7f800001
	s_xor_b64 s[80:81], exec, -1
; %bb.2894:                             ;   in Loop: Header=BB94_17 Depth=1
	s_or_b64 exec, exec, s[84:85]
	s_and_b64 s[80:81], s[80:81], exec
	s_or_saveexec_b64 s[82:83], s[82:83]
	v_mov_b32_e32 v64, s86
	s_xor_b64 exec, exec, s[82:83]
	s_cbranch_execz .LBB94_1711
.LBB94_2895:                            ;   in Loop: Header=BB94_17 Depth=1
	v_cmp_ne_u16_e32 vcc, 0, v14
	s_andn2_b64 s[80:81], s[80:81], exec
	s_and_b64 vcc, vcc, exec
	v_mov_b32_e32 v64, 0
	s_or_b64 s[80:81], s[80:81], vcc
	s_or_b64 exec, exec, s[82:83]
	s_and_saveexec_b64 s[82:83], s[80:81]
	s_cbranch_execnz .LBB94_1712
	s_branch .LBB94_1713
.LBB94_2896:                            ;   in Loop: Header=BB94_17 Depth=1
	s_movk_i32 vcc_lo, 0x80
	v_cmp_eq_u16_e32 vcc, vcc_lo, v14
	s_mov_b64 s[80:81], -1
                                        ; implicit-def: $sgpr86
	s_and_saveexec_b64 s[84:85], vcc
; %bb.2897:                             ;   in Loop: Header=BB94_17 Depth=1
	s_mov_b32 s86, 0x7f800001
	s_xor_b64 s[80:81], exec, -1
; %bb.2898:                             ;   in Loop: Header=BB94_17 Depth=1
	s_or_b64 exec, exec, s[84:85]
	s_and_b64 s[80:81], s[80:81], exec
	s_or_saveexec_b64 s[82:83], s[82:83]
	v_mov_b32_e32 v66, s86
	s_xor_b64 exec, exec, s[82:83]
	s_cbranch_execz .LBB94_1811
.LBB94_2899:                            ;   in Loop: Header=BB94_17 Depth=1
	v_cmp_ne_u16_e32 vcc, 0, v14
	s_andn2_b64 s[80:81], s[80:81], exec
	s_and_b64 vcc, vcc, exec
	v_mov_b32_e32 v66, 0
	s_or_b64 s[80:81], s[80:81], vcc
	s_or_b64 exec, exec, s[82:83]
	s_and_saveexec_b64 s[82:83], s[80:81]
	s_cbranch_execnz .LBB94_1812
	s_branch .LBB94_1813
.LBB94_2900:                            ;   in Loop: Header=BB94_17 Depth=1
	s_movk_i32 vcc_lo, 0x80
	v_cmp_eq_u16_e32 vcc, vcc_lo, v14
	s_mov_b64 s[84:85], -1
                                        ; implicit-def: $sgpr90
	s_and_saveexec_b64 s[88:89], vcc
; %bb.2901:                             ;   in Loop: Header=BB94_17 Depth=1
	s_mov_b32 s90, 0x7f800001
	s_xor_b64 s[84:85], exec, -1
; %bb.2902:                             ;   in Loop: Header=BB94_17 Depth=1
	s_or_b64 exec, exec, s[88:89]
	s_and_b64 s[84:85], s[84:85], exec
	s_or_saveexec_b64 s[86:87], s[86:87]
	v_mov_b32_e32 v64, s90
	s_xor_b64 exec, exec, s[86:87]
	s_cbranch_execz .LBB94_1927
.LBB94_2903:                            ;   in Loop: Header=BB94_17 Depth=1
	v_cmp_ne_u16_e32 vcc, 0, v14
	s_andn2_b64 s[84:85], s[84:85], exec
	s_and_b64 vcc, vcc, exec
	v_mov_b32_e32 v64, 0
	s_or_b64 s[84:85], s[84:85], vcc
	s_or_b64 exec, exec, s[86:87]
	s_and_saveexec_b64 s[86:87], s[84:85]
	s_cbranch_execnz .LBB94_1928
	s_branch .LBB94_1929
.LBB94_2904:                            ;   in Loop: Header=BB94_17 Depth=1
	s_movk_i32 vcc_lo, 0x80
	v_cmp_eq_u16_e32 vcc, vcc_lo, v14
	s_mov_b64 s[84:85], -1
                                        ; implicit-def: $sgpr88
	s_and_saveexec_b64 s[60:61], vcc
; %bb.2905:                             ;   in Loop: Header=BB94_17 Depth=1
	s_mov_b32 s88, 0x7f800001
	s_xor_b64 s[84:85], exec, -1
; %bb.2906:                             ;   in Loop: Header=BB94_17 Depth=1
	s_or_b64 exec, exec, s[60:61]
	s_and_b64 s[84:85], s[84:85], exec
	s_or_saveexec_b64 s[86:87], s[86:87]
	v_mov_b32_e32 v66, s88
	s_xor_b64 exec, exec, s[86:87]
	s_cbranch_execz .LBB94_2027
.LBB94_2907:                            ;   in Loop: Header=BB94_17 Depth=1
	v_cmp_ne_u16_e32 vcc, 0, v14
	s_andn2_b64 s[60:61], s[84:85], exec
	s_and_b64 vcc, vcc, exec
	v_mov_b32_e32 v66, 0
	s_or_b64 s[84:85], s[60:61], vcc
	s_or_b64 exec, exec, s[86:87]
	s_and_saveexec_b64 s[86:87], s[84:85]
	s_cbranch_execnz .LBB94_2028
	s_branch .LBB94_2029
.LBB94_2908:                            ;   in Loop: Header=BB94_17 Depth=1
	v_cmp_gt_i16_sdwa vcc, v7, v19 src0_sel:BYTE_0 src1_sel:DWORD
	s_mov_b64 s[78:79], 0
                                        ; implicit-def: $sgpr80_sgpr81
                                        ; implicit-def: $sgpr94_sgpr95
                                        ; implicit-def: $vgpr66
	s_and_saveexec_b64 s[60:61], vcc
	s_xor_b64 s[92:93], exec, s[60:61]
	s_cbranch_execz .LBB94_2940
; %bb.2909:                             ;   in Loop: Header=BB94_17 Depth=1
	v_cmp_gt_i16_sdwa vcc, v7, v20 src0_sel:BYTE_0 src1_sel:DWORD
                                        ; implicit-def: $sgpr72_sgpr73
                                        ; implicit-def: $sgpr86_sgpr87
                                        ; implicit-def: $vgpr66
	s_and_saveexec_b64 s[60:61], vcc
	s_xor_b64 s[80:81], exec, s[60:61]
	s_cbranch_execz .LBB94_2925
; %bb.2910:                             ;   in Loop: Header=BB94_17 Depth=1
	v_cmp_gt_i16_sdwa s[60:61], v7, v21 src0_sel:BYTE_0 src1_sel:DWORD
	s_mov_b64 s[74:75], 0
                                        ; implicit-def: $vcc
                                        ; implicit-def: $sgpr86_sgpr87
                                        ; implicit-def: $vgpr66
	s_and_saveexec_b64 s[62:63], s[60:61]
	s_xor_b64 s[72:73], exec, s[62:63]
	s_cbranch_execz .LBB94_2920
; %bb.2911:                             ;   in Loop: Header=BB94_17 Depth=1
	v_cmp_gt_i16_sdwa vcc, v7, v22 src0_sel:BYTE_0 src1_sel:DWORD
                                        ; implicit-def: $sgpr74_sgpr75
                                        ; implicit-def: $sgpr94_sgpr95
                                        ; implicit-def: $vgpr66
	s_and_saveexec_b64 s[60:61], vcc
	s_xor_b64 vcc, exec, s[60:61]
	s_cbranch_execz .LBB94_2915
; %bb.2912:                             ;   in Loop: Header=BB94_17 Depth=1
	v_cmp_eq_u16_sdwa s[62:63], v7, v23 src0_sel:BYTE_0 src1_sel:DWORD
	s_mov_b64 s[74:75], 0
	s_mov_b64 s[66:67], 0
                                        ; implicit-def: $vgpr66
	s_and_saveexec_b64 s[60:61], s[62:63]
	s_cbranch_execz .LBB94_2914
; %bb.2913:                             ;   in Loop: Header=BB94_17 Depth=1
	flat_load_dword v14, v[14:15]
	s_mov_b64 s[66:67], exec
	s_waitcnt vmcnt(0) lgkmcnt(0)
	v_lshlrev_b32_e32 v66, 16, v14
.LBB94_2914:                            ;   in Loop: Header=BB94_17 Depth=1
	s_or_b64 exec, exec, s[60:61]
	s_mov_b64 s[94:95], -1
	s_and_b64 s[78:79], s[66:67], exec
                                        ; implicit-def: $vgpr14_vgpr15
.LBB94_2915:                            ;   in Loop: Header=BB94_17 Depth=1
	s_andn2_saveexec_b64 s[66:67], vcc
	s_cbranch_execz .LBB94_2919
; %bb.2916:                             ;   in Loop: Header=BB94_17 Depth=1
	v_cmp_eq_u16_sdwa s[60:61], v7, v24 src0_sel:BYTE_0 src1_sel:DWORD
	s_mov_b64 vcc, s[78:79]
                                        ; implicit-def: $vgpr66
	s_and_saveexec_b64 s[68:69], s[60:61]
	s_cbranch_execz .LBB94_2918
; %bb.2917:                             ;   in Loop: Header=BB94_17 Depth=1
	flat_load_ubyte v14, v[14:15]
	s_movk_i32 vcc_lo, 0xff
	s_waitcnt vmcnt(0) lgkmcnt(0)
	v_lshlrev_b32_e32 v15, 23, v14
	v_cmp_ne_u32_e32 vcc, vcc_lo, v14
	v_cndmask_b32_e32 v15, v25, v15, vcc
	v_cmp_ne_u32_e32 vcc, 0, v14
	v_cndmask_b32_e32 v66, v26, v15, vcc
	s_or_b64 vcc, s[78:79], exec
.LBB94_2918:                            ;   in Loop: Header=BB94_17 Depth=1
	s_or_b64 exec, exec, s[68:69]
	s_andn2_b64 s[60:61], s[78:79], exec
	s_and_b64 vcc, vcc, exec
	s_andn2_b64 s[74:75], s[74:75], exec
	s_or_b64 s[94:95], s[94:95], exec
	s_or_b64 s[78:79], s[60:61], vcc
.LBB94_2919:                            ;   in Loop: Header=BB94_17 Depth=1
	s_or_b64 exec, exec, s[66:67]
	s_and_b64 s[86:87], s[74:75], exec
	s_and_b64 vcc, s[94:95], exec
	s_and_b64 s[74:75], s[78:79], exec
                                        ; implicit-def: $vgpr14_vgpr15
.LBB94_2920:                            ;   in Loop: Header=BB94_17 Depth=1
	s_andn2_saveexec_b64 s[66:67], s[72:73]
	s_cbranch_execz .LBB94_2924
; %bb.2921:                             ;   in Loop: Header=BB94_17 Depth=1
	v_cmp_eq_u16_sdwa s[60:61], v7, v27 src0_sel:BYTE_0 src1_sel:DWORD
	s_mov_b64 s[70:71], s[74:75]
                                        ; implicit-def: $vgpr66
	s_and_saveexec_b64 s[68:69], s[60:61]
	s_cbranch_execz .LBB94_2923
; %bb.2922:                             ;   in Loop: Header=BB94_17 Depth=1
	flat_load_dwordx2 v[14:15], v[14:15]
	s_or_b64 s[70:71], s[74:75], exec
	s_waitcnt vmcnt(0) lgkmcnt(0)
	v_ffbh_u32_e32 v64, v15
	v_min_u32_e32 v64, 32, v64
	v_lshlrev_b64 v[14:15], v64, v[14:15]
	v_min_u32_e32 v14, 1, v14
	v_or_b32_e32 v14, v15, v14
	v_cvt_f32_u32_e32 v14, v14
	v_sub_u32_e32 v15, 32, v64
	v_ldexp_f32 v66, v14, v15
.LBB94_2923:                            ;   in Loop: Header=BB94_17 Depth=1
	s_or_b64 exec, exec, s[68:69]
	s_andn2_b64 s[60:61], s[74:75], exec
	s_and_b64 s[62:63], s[70:71], exec
	s_andn2_b64 s[86:87], s[86:87], exec
	s_or_b64 vcc, vcc, exec
	s_or_b64 s[74:75], s[60:61], s[62:63]
.LBB94_2924:                            ;   in Loop: Header=BB94_17 Depth=1
	s_or_b64 exec, exec, s[66:67]
	s_and_b64 s[86:87], s[86:87], exec
	s_and_b64 s[72:73], vcc, exec
	s_and_b64 s[78:79], s[74:75], exec
                                        ; implicit-def: $vgpr14_vgpr15
.LBB94_2925:                            ;   in Loop: Header=BB94_17 Depth=1
	s_andn2_saveexec_b64 s[80:81], s[80:81]
	s_cbranch_execz .LBB94_2939
; %bb.2926:                             ;   in Loop: Header=BB94_17 Depth=1
	v_cmp_gt_i16_sdwa vcc, v7, v28 src0_sel:BYTE_0 src1_sel:DWORD
                                        ; implicit-def: $vgpr66
	s_and_saveexec_b64 s[60:61], vcc
	s_xor_b64 vcc, exec, s[60:61]
	s_cbranch_execz .LBB94_2932
; %bb.2927:                             ;   in Loop: Header=BB94_17 Depth=1
	v_cmp_gt_i16_sdwa s[60:61], v7, v29 src0_sel:BYTE_0 src1_sel:DWORD
                                        ; implicit-def: $vgpr66
	s_and_saveexec_b64 s[62:63], s[60:61]
	s_xor_b64 s[60:61], exec, s[62:63]
	s_cbranch_execz .LBB94_2929
; %bb.2928:                             ;   in Loop: Header=BB94_17 Depth=1
	flat_load_dword v14, v[14:15]
	s_waitcnt vmcnt(0) lgkmcnt(0)
	v_cvt_f32_u32_e32 v66, v14
                                        ; implicit-def: $vgpr14_vgpr15
.LBB94_2929:                            ;   in Loop: Header=BB94_17 Depth=1
	s_andn2_saveexec_b64 s[60:61], s[60:61]
	s_cbranch_execz .LBB94_2931
; %bb.2930:                             ;   in Loop: Header=BB94_17 Depth=1
	flat_load_ushort v14, v[14:15]
	s_waitcnt vmcnt(0) lgkmcnt(0)
	v_cvt_f32_u32_e32 v66, v14
.LBB94_2931:                            ;   in Loop: Header=BB94_17 Depth=1
	s_or_b64 exec, exec, s[60:61]
                                        ; implicit-def: $vgpr14_vgpr15
.LBB94_2932:                            ;   in Loop: Header=BB94_17 Depth=1
	s_andn2_saveexec_b64 s[74:75], vcc
	s_cbranch_execz .LBB94_2938
; %bb.2933:                             ;   in Loop: Header=BB94_17 Depth=1
	flat_load_ubyte v14, v[14:15]
	s_movk_i32 vcc_lo, 0x7f
	s_mov_b64 s[66:67], 0
                                        ; implicit-def: $sgpr70
	s_waitcnt vmcnt(0) lgkmcnt(0)
	v_cmp_lt_i16_e32 vcc, vcc_lo, v14
	s_and_saveexec_b64 s[60:61], vcc
	s_xor_b64 s[68:69], exec, s[60:61]
	s_cbranch_execnz .LBB94_3598
; %bb.2934:                             ;   in Loop: Header=BB94_17 Depth=1
	s_or_saveexec_b64 s[68:69], s[68:69]
	v_mov_b32_e32 v66, s70
	s_xor_b64 exec, exec, s[68:69]
	s_cbranch_execnz .LBB94_3601
.LBB94_2935:                            ;   in Loop: Header=BB94_17 Depth=1
	s_or_b64 exec, exec, s[68:69]
	s_and_saveexec_b64 s[68:69], s[66:67]
	s_cbranch_execz .LBB94_2937
.LBB94_2936:                            ;   in Loop: Header=BB94_17 Depth=1
	v_lshlrev_b32_e32 v15, 24, v14
	v_and_b32_e32 v14, 0xffff, v14
	v_and_b32_e32 v64, 7, v14
	v_ffbh_u32_e32 v67, v64
	v_min_u32_e32 v67, 32, v67
	v_subrev_u32_e32 v68, 28, v67
	v_bfe_u32 v66, v14, 3, 4
	v_lshlrev_b32_e32 v14, v68, v14
	v_sub_u32_e32 v67, 29, v67
	v_and_b32_e32 v14, 7, v14
	v_cmp_eq_u32_e32 vcc, 0, v66
	v_cndmask_b32_e32 v66, v66, v67, vcc
	v_cndmask_b32_e32 v14, v64, v14, vcc
	v_lshlrev_b32_e32 v14, 20, v14
	v_and_b32_e32 v15, 0x80000000, v15
	v_lshl_add_u32 v64, v66, 23, v30
	v_or3_b32 v66, v15, v64, v14
.LBB94_2937:                            ;   in Loop: Header=BB94_17 Depth=1
	s_or_b64 exec, exec, s[68:69]
.LBB94_2938:                            ;   in Loop: Header=BB94_17 Depth=1
	s_or_b64 exec, exec, s[74:75]
	s_andn2_b64 s[86:87], s[86:87], exec
	s_andn2_b64 s[72:73], s[72:73], exec
	s_or_b64 s[78:79], s[78:79], exec
.LBB94_2939:                            ;   in Loop: Header=BB94_17 Depth=1
	s_or_b64 exec, exec, s[80:81]
	s_and_b64 s[94:95], s[86:87], exec
	s_and_b64 s[80:81], s[72:73], exec
	;; [unrolled: 1-line block ×3, first 2 shown]
                                        ; implicit-def: $vgpr14_vgpr15
.LBB94_2940:                            ;   in Loop: Header=BB94_17 Depth=1
	s_andn2_saveexec_b64 s[86:87], s[92:93]
	s_cbranch_execz .LBB94_2966
; %bb.2941:                             ;   in Loop: Header=BB94_17 Depth=1
	v_cmp_gt_i16_sdwa vcc, v7, v31 src0_sel:BYTE_0 src1_sel:DWORD
	s_mov_b64 s[74:75], s[78:79]
                                        ; implicit-def: $vgpr66
	s_and_saveexec_b64 s[60:61], vcc
	s_xor_b64 s[72:73], exec, s[60:61]
	s_cbranch_execz .LBB94_2955
; %bb.2942:                             ;   in Loop: Header=BB94_17 Depth=1
	v_cmp_gt_i16_sdwa vcc, v7, v32 src0_sel:BYTE_0 src1_sel:DWORD
                                        ; implicit-def: $vgpr66
	s_and_saveexec_b64 s[60:61], vcc
	s_xor_b64 s[92:93], exec, s[60:61]
	s_cbranch_execz .LBB94_2952
; %bb.2943:                             ;   in Loop: Header=BB94_17 Depth=1
	v_cmp_gt_i16_sdwa vcc, v7, v33 src0_sel:BYTE_0 src1_sel:DWORD
                                        ; implicit-def: $vgpr66
	s_and_saveexec_b64 s[60:61], vcc
	s_xor_b64 s[74:75], exec, s[60:61]
	s_cbranch_execz .LBB94_2949
; %bb.2944:                             ;   in Loop: Header=BB94_17 Depth=1
	flat_load_ubyte v14, v[14:15]
	s_movk_i32 vcc_lo, 0x7f
	s_mov_b64 s[66:67], 0
                                        ; implicit-def: $sgpr70
	s_waitcnt vmcnt(0) lgkmcnt(0)
	v_cmp_lt_i16_e32 vcc, vcc_lo, v14
	s_and_saveexec_b64 s[60:61], vcc
	s_xor_b64 s[68:69], exec, s[60:61]
	s_cbranch_execnz .LBB94_3606
; %bb.2945:                             ;   in Loop: Header=BB94_17 Depth=1
	s_or_saveexec_b64 s[68:69], s[68:69]
	v_mov_b32_e32 v66, s70
	s_xor_b64 exec, exec, s[68:69]
	s_cbranch_execnz .LBB94_3609
.LBB94_2946:                            ;   in Loop: Header=BB94_17 Depth=1
	s_or_b64 exec, exec, s[68:69]
	s_and_saveexec_b64 s[68:69], s[66:67]
	s_cbranch_execz .LBB94_2948
.LBB94_2947:                            ;   in Loop: Header=BB94_17 Depth=1
	v_lshlrev_b32_e32 v15, 24, v14
	v_and_b32_e32 v14, 0xffff, v14
	v_and_b32_e32 v64, 3, v14
	v_ffbh_u32_e32 v67, v64
	v_min_u32_e32 v67, 32, v67
	v_subrev_u32_e32 v68, 29, v67
	v_bfe_u32 v66, v14, 2, 5
	v_lshlrev_b32_e32 v14, v68, v14
	v_sub_u32_e32 v67, 30, v67
	v_and_b32_e32 v14, 3, v14
	v_cmp_eq_u32_e32 vcc, 0, v66
	v_cndmask_b32_e32 v66, v66, v67, vcc
	v_cndmask_b32_e32 v14, v64, v14, vcc
	v_lshlrev_b32_e32 v14, 21, v14
	v_and_b32_e32 v15, 0x80000000, v15
	v_lshl_add_u32 v64, v66, 23, v34
	v_or3_b32 v66, v15, v64, v14
.LBB94_2948:                            ;   in Loop: Header=BB94_17 Depth=1
	s_or_b64 exec, exec, s[68:69]
                                        ; implicit-def: $vgpr14_vgpr15
.LBB94_2949:                            ;   in Loop: Header=BB94_17 Depth=1
	s_andn2_saveexec_b64 s[66:67], s[74:75]
	s_cbranch_execz .LBB94_2951
; %bb.2950:                             ;   in Loop: Header=BB94_17 Depth=1
	flat_load_ubyte v14, v[14:15]
	s_mov_b32 vcc_lo, 0x7f800000
	s_waitcnt vmcnt(0) lgkmcnt(0)
	v_lshlrev_b32_e32 v14, 24, v14
	v_and_b32_e32 v15, 0x7f000000, v14
	v_ffbh_u32_e32 v64, v15
	v_min_u32_e32 v64, 32, v64
	v_sub_u32_e64 v64, v64, 4 clamp
	v_lshlrev_b32_e32 v67, v64, v15
	v_lshlrev_b32_e32 v64, 23, v64
	v_lshrrev_b32_e32 v67, 4, v67
	v_add_u32_e32 v66, 0x1000000, v15
	v_sub_u32_e32 v64, v67, v64
	v_ashrrev_i32_e32 v66, 8, v66
	v_add_u32_e32 v64, 0x3c000000, v64
	v_and_or_b32 v64, v66, vcc_lo, v64
	v_cmp_ne_u32_e32 vcc, 0, v15
	v_cndmask_b32_e32 v15, 0, v64, vcc
	s_brev_b32 vcc_lo, 1
	v_and_or_b32 v66, v14, vcc_lo, v15
.LBB94_2951:                            ;   in Loop: Header=BB94_17 Depth=1
	s_or_b64 exec, exec, s[66:67]
                                        ; implicit-def: $vgpr14_vgpr15
.LBB94_2952:                            ;   in Loop: Header=BB94_17 Depth=1
	s_andn2_saveexec_b64 s[66:67], s[92:93]
	s_cbranch_execz .LBB94_2954
; %bb.2953:                             ;   in Loop: Header=BB94_17 Depth=1
	flat_load_ubyte v14, v[14:15]
	s_movk_i32 vcc_lo, 0x7f00
	s_waitcnt vmcnt(0) lgkmcnt(0)
	v_lshlrev_b16_e32 v15, 8, v14
	v_lshlrev_b32_e32 v14, 25, v14
	v_lshrrev_b32_e32 v64, 4, v14
	v_and_or_b32 v66, v15, vcc_lo, 0.5
	v_or_b32_e32 v64, 0x70000000, v64
	s_brev_b32 vcc_lo, 16
	v_add_f32_e32 v66, -0.5, v66
	v_mul_f32_e32 v64, 0x7800000, v64
	v_cmp_gt_u32_e32 vcc, vcc_lo, v14
	v_cndmask_b32_e32 v14, v64, v66, vcc
	v_bfe_i32 v15, v15, 0, 16
	s_brev_b32 vcc_lo, 1
	v_and_or_b32 v66, v15, vcc_lo, v14
.LBB94_2954:                            ;   in Loop: Header=BB94_17 Depth=1
	s_or_b64 exec, exec, s[66:67]
	s_or_b64 s[74:75], s[78:79], exec
                                        ; implicit-def: $vgpr14_vgpr15
.LBB94_2955:                            ;   in Loop: Header=BB94_17 Depth=1
	s_or_saveexec_b64 s[72:73], s[72:73]
                                        ; implicit-def: $vcc
                                        ; implicit-def: $sgpr68_sgpr69
	s_xor_b64 exec, exec, s[72:73]
	s_cbranch_execz .LBB94_2965
; %bb.2956:                             ;   in Loop: Header=BB94_17 Depth=1
	v_cmp_gt_i16_sdwa vcc, v7, v35 src0_sel:BYTE_0 src1_sel:DWORD
	s_mov_b64 s[66:67], s[74:75]
                                        ; implicit-def: $sgpr68_sgpr69
                                        ; implicit-def: $sgpr76_sgpr77
                                        ; implicit-def: $vgpr66
	s_and_saveexec_b64 s[60:61], vcc
	s_xor_b64 vcc, exec, s[60:61]
	s_cbranch_execz .LBB94_2960
; %bb.2957:                             ;   in Loop: Header=BB94_17 Depth=1
	v_cmp_eq_u16_sdwa s[62:63], v7, v36 src0_sel:BYTE_0 src1_sel:DWORD
	s_mov_b64 s[66:67], s[74:75]
                                        ; implicit-def: $vgpr66
	s_and_saveexec_b64 s[60:61], s[62:63]
	s_cbranch_execz .LBB94_2959
; %bb.2958:                             ;   in Loop: Header=BB94_17 Depth=1
	flat_load_ushort v14, v[14:15]
	s_or_b64 s[66:67], s[74:75], exec
	s_waitcnt vmcnt(0) lgkmcnt(0)
	v_lshlrev_b32_e32 v66, 16, v14
.LBB94_2959:                            ;   in Loop: Header=BB94_17 Depth=1
	s_or_b64 exec, exec, s[60:61]
	s_andn2_b64 s[60:61], s[74:75], exec
	s_and_b64 s[62:63], s[66:67], exec
	s_mov_b64 s[76:77], -1
	s_mov_b64 s[68:69], 0
	s_or_b64 s[66:67], s[60:61], s[62:63]
                                        ; implicit-def: $vgpr14_vgpr15
.LBB94_2960:                            ;   in Loop: Header=BB94_17 Depth=1
	s_andn2_saveexec_b64 s[70:71], vcc
	s_cbranch_execz .LBB94_2964
; %bb.2961:                             ;   in Loop: Header=BB94_17 Depth=1
	v_cmp_eq_u16_sdwa s[62:63], v7, v37 src0_sel:BYTE_0 src1_sel:DWORD
	s_mov_b64 vcc, s[66:67]
                                        ; implicit-def: $vgpr66
	s_and_saveexec_b64 s[60:61], s[62:63]
	s_cbranch_execz .LBB94_2963
; %bb.2962:                             ;   in Loop: Header=BB94_17 Depth=1
	flat_load_ubyte v14, v[14:15]
	s_waitcnt vmcnt(0) lgkmcnt(0)
	v_cmp_ne_u16_e32 vcc, 0, v14
	v_cndmask_b32_e64 v66, 0, 1.0, vcc
	s_or_b64 vcc, s[66:67], exec
.LBB94_2963:                            ;   in Loop: Header=BB94_17 Depth=1
	s_or_b64 exec, exec, s[60:61]
	s_andn2_b64 s[60:61], s[66:67], exec
	s_and_b64 vcc, vcc, exec
	s_andn2_b64 s[68:69], s[68:69], exec
	s_or_b64 s[76:77], s[76:77], exec
	s_or_b64 s[66:67], s[60:61], vcc
.LBB94_2964:                            ;   in Loop: Header=BB94_17 Depth=1
	s_or_b64 exec, exec, s[70:71]
	s_andn2_b64 s[60:61], s[74:75], exec
	s_and_b64 s[62:63], s[66:67], exec
	s_and_b64 s[68:69], s[68:69], exec
	s_and_b64 vcc, s[76:77], exec
	s_or_b64 s[74:75], s[60:61], s[62:63]
.LBB94_2965:                            ;   in Loop: Header=BB94_17 Depth=1
	s_or_b64 exec, exec, s[72:73]
	s_andn2_b64 s[60:61], s[94:95], exec
	s_and_b64 s[62:63], s[68:69], exec
	s_or_b64 s[94:95], s[60:61], s[62:63]
	s_andn2_b64 s[60:61], s[80:81], exec
	s_and_b64 vcc, vcc, exec
	s_or_b64 s[80:81], s[60:61], vcc
	s_andn2_b64 vcc, s[78:79], exec
	s_and_b64 s[60:61], s[74:75], exec
	s_or_b64 s[78:79], vcc, s[60:61]
.LBB94_2966:                            ;   in Loop: Header=BB94_17 Depth=1
	s_or_b64 exec, exec, s[86:87]
	s_and_b64 s[92:93], s[94:95], exec
	s_and_b64 s[94:95], s[80:81], exec
	s_and_b64 vcc, s[78:79], exec
                                        ; implicit-def: $vgpr14_vgpr15
	s_andn2_saveexec_b64 s[78:79], s[84:85]
	s_cbranch_execz .LBB94_2891
.LBB94_2967:                            ;   in Loop: Header=BB94_17 Depth=1
	v_cmp_gt_i16_sdwa s[60:61], v7, v38 src0_sel:BYTE_0 src1_sel:DWORD
                                        ; implicit-def: $vgpr66
	s_and_saveexec_b64 s[62:63], s[60:61]
	s_xor_b64 s[72:73], exec, s[62:63]
	s_cbranch_execz .LBB94_2989
; %bb.2968:                             ;   in Loop: Header=BB94_17 Depth=1
	v_cmp_gt_i16_sdwa s[60:61], v7, v39 src0_sel:BYTE_0 src1_sel:DWORD
                                        ; implicit-def: $vgpr66
	s_and_saveexec_b64 s[62:63], s[60:61]
	s_xor_b64 s[66:67], exec, s[62:63]
	s_cbranch_execz .LBB94_2978
; %bb.2969:                             ;   in Loop: Header=BB94_17 Depth=1
	;; [unrolled: 6-line block ×4, first 2 shown]
	flat_load_dwordx2 v[14:15], v[14:15]
	s_waitcnt vmcnt(0) lgkmcnt(0)
	v_cvt_f32_f64_e32 v66, v[14:15]
                                        ; implicit-def: $vgpr14_vgpr15
.LBB94_2972:                            ;   in Loop: Header=BB94_17 Depth=1
	s_andn2_saveexec_b64 s[60:61], s[60:61]
	s_cbranch_execz .LBB94_2974
; %bb.2973:                             ;   in Loop: Header=BB94_17 Depth=1
	flat_load_dword v66, v[14:15]
.LBB94_2974:                            ;   in Loop: Header=BB94_17 Depth=1
	s_or_b64 exec, exec, s[60:61]
                                        ; implicit-def: $vgpr14_vgpr15
.LBB94_2975:                            ;   in Loop: Header=BB94_17 Depth=1
	s_andn2_saveexec_b64 s[60:61], s[68:69]
	s_cbranch_execz .LBB94_2977
; %bb.2976:                             ;   in Loop: Header=BB94_17 Depth=1
	flat_load_dword v14, v[14:15]
	s_waitcnt vmcnt(0) lgkmcnt(0)
	v_cvt_f32_f16_e32 v66, v14
.LBB94_2977:                            ;   in Loop: Header=BB94_17 Depth=1
	s_or_b64 exec, exec, s[60:61]
                                        ; implicit-def: $vgpr14_vgpr15
.LBB94_2978:                            ;   in Loop: Header=BB94_17 Depth=1
	s_andn2_saveexec_b64 s[66:67], s[66:67]
	s_cbranch_execz .LBB94_2988
; %bb.2979:                             ;   in Loop: Header=BB94_17 Depth=1
	v_cmp_gt_i16_sdwa s[60:61], v7, v50 src0_sel:BYTE_0 src1_sel:DWORD
                                        ; implicit-def: $vgpr66
	s_and_saveexec_b64 s[62:63], s[60:61]
	s_xor_b64 s[68:69], exec, s[62:63]
	s_cbranch_execz .LBB94_2985
; %bb.2980:                             ;   in Loop: Header=BB94_17 Depth=1
	v_cmp_gt_i16_sdwa s[60:61], v7, v51 src0_sel:BYTE_0 src1_sel:DWORD
                                        ; implicit-def: $vgpr66
	s_and_saveexec_b64 s[62:63], s[60:61]
	s_xor_b64 s[60:61], exec, s[62:63]
	s_cbranch_execz .LBB94_2982
; %bb.2981:                             ;   in Loop: Header=BB94_17 Depth=1
	flat_load_dwordx2 v[14:15], v[14:15]
	s_waitcnt vmcnt(0) lgkmcnt(0)
	v_cvt_f32_f64_e32 v66, v[14:15]
                                        ; implicit-def: $vgpr14_vgpr15
.LBB94_2982:                            ;   in Loop: Header=BB94_17 Depth=1
	s_andn2_saveexec_b64 s[60:61], s[60:61]
	s_cbranch_execz .LBB94_2984
; %bb.2983:                             ;   in Loop: Header=BB94_17 Depth=1
	s_waitcnt vmcnt(0) lgkmcnt(0)
	flat_load_dword v66, v[14:15]
.LBB94_2984:                            ;   in Loop: Header=BB94_17 Depth=1
	s_or_b64 exec, exec, s[60:61]
                                        ; implicit-def: $vgpr14_vgpr15
.LBB94_2985:                            ;   in Loop: Header=BB94_17 Depth=1
	s_andn2_saveexec_b64 s[60:61], s[68:69]
	s_cbranch_execz .LBB94_2987
; %bb.2986:                             ;   in Loop: Header=BB94_17 Depth=1
	flat_load_ushort v14, v[14:15]
	s_waitcnt vmcnt(0) lgkmcnt(0)
	v_cvt_f32_f16_e32 v66, v14
.LBB94_2987:                            ;   in Loop: Header=BB94_17 Depth=1
	s_or_b64 exec, exec, s[60:61]
.LBB94_2988:                            ;   in Loop: Header=BB94_17 Depth=1
	s_or_b64 exec, exec, s[66:67]
                                        ; implicit-def: $vgpr14_vgpr15
.LBB94_2989:                            ;   in Loop: Header=BB94_17 Depth=1
	s_andn2_saveexec_b64 s[72:73], s[72:73]
	s_cbranch_execz .LBB94_3007
; %bb.2990:                             ;   in Loop: Header=BB94_17 Depth=1
	v_cmp_gt_i16_sdwa s[60:61], v7, v52 src0_sel:BYTE_0 src1_sel:DWORD
                                        ; implicit-def: $vgpr66
	s_and_saveexec_b64 s[62:63], s[60:61]
	s_xor_b64 s[74:75], exec, s[62:63]
	s_cbranch_execz .LBB94_3000
; %bb.2991:                             ;   in Loop: Header=BB94_17 Depth=1
	v_cmp_gt_i16_sdwa s[60:61], v7, v53 src0_sel:BYTE_0 src1_sel:DWORD
                                        ; implicit-def: $vgpr66
	s_and_saveexec_b64 s[62:63], s[60:61]
	s_xor_b64 s[66:67], exec, s[62:63]
	;; [unrolled: 6-line block ×3, first 2 shown]
	s_cbranch_execz .LBB94_2994
; %bb.2993:                             ;   in Loop: Header=BB94_17 Depth=1
	flat_load_dwordx2 v[14:15], v[14:15]
	s_waitcnt vmcnt(0) lgkmcnt(0)
	v_xor_b32_e32 v66, v14, v15
	v_ffbh_i32_e32 v64, v15
	v_ashrrev_i32_e32 v66, 31, v66
	v_add_u32_e32 v64, -1, v64
	v_add_u32_e32 v66, 32, v66
	v_min_u32_e32 v64, v64, v66
	v_lshlrev_b64 v[14:15], v64, v[14:15]
	v_min_u32_e32 v14, 1, v14
	v_or_b32_e32 v14, v15, v14
	v_cvt_f32_i32_e32 v14, v14
	v_sub_u32_e32 v15, 32, v64
	v_ldexp_f32 v66, v14, v15
                                        ; implicit-def: $vgpr14_vgpr15
.LBB94_2994:                            ;   in Loop: Header=BB94_17 Depth=1
	s_andn2_saveexec_b64 s[60:61], s[68:69]
	s_cbranch_execz .LBB94_2996
; %bb.2995:                             ;   in Loop: Header=BB94_17 Depth=1
	flat_load_dword v14, v[14:15]
	s_waitcnt vmcnt(0) lgkmcnt(0)
	v_cvt_f32_i32_e32 v66, v14
.LBB94_2996:                            ;   in Loop: Header=BB94_17 Depth=1
	s_or_b64 exec, exec, s[60:61]
                                        ; implicit-def: $vgpr14_vgpr15
.LBB94_2997:                            ;   in Loop: Header=BB94_17 Depth=1
	s_andn2_saveexec_b64 s[60:61], s[66:67]
	s_cbranch_execz .LBB94_2999
; %bb.2998:                             ;   in Loop: Header=BB94_17 Depth=1
	flat_load_sshort v14, v[14:15]
	s_waitcnt vmcnt(0) lgkmcnt(0)
	v_cvt_f32_i32_e32 v66, v14
.LBB94_2999:                            ;   in Loop: Header=BB94_17 Depth=1
	s_or_b64 exec, exec, s[60:61]
                                        ; implicit-def: $vgpr14_vgpr15
.LBB94_3000:                            ;   in Loop: Header=BB94_17 Depth=1
	s_andn2_saveexec_b64 s[66:67], s[74:75]
	s_cbranch_execz .LBB94_3006
; %bb.3001:                             ;   in Loop: Header=BB94_17 Depth=1
	v_cmp_gt_i16_sdwa s[60:61], v7, v16 src0_sel:BYTE_0 src1_sel:DWORD
                                        ; implicit-def: $vgpr66
	s_and_saveexec_b64 s[62:63], s[60:61]
	s_xor_b64 s[60:61], exec, s[62:63]
	s_cbranch_execz .LBB94_3003
; %bb.3002:                             ;   in Loop: Header=BB94_17 Depth=1
	flat_load_sbyte v14, v[14:15]
	s_waitcnt vmcnt(0) lgkmcnt(0)
	v_cvt_f32_i32_e32 v66, v14
                                        ; implicit-def: $vgpr14_vgpr15
.LBB94_3003:                            ;   in Loop: Header=BB94_17 Depth=1
	s_andn2_saveexec_b64 s[60:61], s[60:61]
	s_cbranch_execz .LBB94_3005
; %bb.3004:                             ;   in Loop: Header=BB94_17 Depth=1
	flat_load_ubyte v14, v[14:15]
	s_waitcnt vmcnt(0) lgkmcnt(0)
	v_cvt_f32_ubyte0_e32 v66, v14
.LBB94_3005:                            ;   in Loop: Header=BB94_17 Depth=1
	s_or_b64 exec, exec, s[60:61]
.LBB94_3006:                            ;   in Loop: Header=BB94_17 Depth=1
	s_or_b64 exec, exec, s[66:67]
.LBB94_3007:                            ;   in Loop: Header=BB94_17 Depth=1
	s_or_b64 exec, exec, s[72:73]
	s_andn2_b64 s[92:93], s[92:93], exec
	s_andn2_b64 s[94:95], s[94:95], exec
	s_or_b64 vcc, vcc, exec
	s_or_b64 exec, exec, s[78:79]
	s_mov_b64 s[66:67], 0
	s_and_saveexec_b64 s[84:85], vcc
	s_cbranch_execz .LBB94_3113
.LBB94_3008:                            ;   in Loop: Header=BB94_17 Depth=1
	v_mul_lo_u32 v14, v65, v10
	v_readlane_b32 s60, v44, 0
	v_add_co_u32_e32 v14, vcc, v4, v14
	v_add_u32_e32 v64, s60, v17
	v_addc_co_u32_e32 v15, vcc, 0, v5, vcc
	v_cmp_gt_i16_sdwa s[60:61], v8, v18 src0_sel:BYTE_0 src1_sel:DWORD
	s_mov_b64 s[78:79], 0
	s_waitcnt vmcnt(0) lgkmcnt(0)
	buffer_store_dword v66, v64, s[0:3], 0 offen offset:108
                                        ; implicit-def: $vcc
                                        ; implicit-def: $sgpr86_sgpr87
                                        ; implicit-def: $vgpr65
	s_and_saveexec_b64 s[62:63], s[60:61]
	s_xor_b64 s[62:63], exec, s[62:63]
	v_writelane_b32 v44, s62, 32
	v_writelane_b32 v44, s63, 33
	s_cbranch_execz .LBB94_3068
; %bb.3009:                             ;   in Loop: Header=BB94_17 Depth=1
	v_cmp_gt_i16_sdwa vcc, v8, v19 src0_sel:BYTE_0 src1_sel:DWORD
                                        ; implicit-def: $sgpr62_sgpr63
                                        ; implicit-def: $sgpr86_sgpr87
                                        ; implicit-def: $vgpr65
	s_and_saveexec_b64 s[60:61], vcc
	s_xor_b64 s[76:77], exec, s[60:61]
	s_cbranch_execz .LBB94_3041
; %bb.3010:                             ;   in Loop: Header=BB94_17 Depth=1
	v_cmp_gt_i16_sdwa vcc, v8, v20 src0_sel:BYTE_0 src1_sel:DWORD
                                        ; implicit-def: $sgpr72_sgpr73
                                        ; implicit-def: $sgpr86_sgpr87
                                        ; implicit-def: $vgpr65
	s_and_saveexec_b64 s[60:61], vcc
	s_xor_b64 s[80:81], exec, s[60:61]
	s_cbranch_execz .LBB94_3026
; %bb.3011:                             ;   in Loop: Header=BB94_17 Depth=1
	v_cmp_gt_i16_sdwa s[60:61], v8, v21 src0_sel:BYTE_0 src1_sel:DWORD
	s_mov_b64 s[74:75], 0
                                        ; implicit-def: $vcc
                                        ; implicit-def: $sgpr86_sgpr87
                                        ; implicit-def: $vgpr65
	s_and_saveexec_b64 s[62:63], s[60:61]
	s_xor_b64 s[72:73], exec, s[62:63]
	s_cbranch_execz .LBB94_3021
; %bb.3012:                             ;   in Loop: Header=BB94_17 Depth=1
	v_cmp_gt_i16_sdwa vcc, v8, v22 src0_sel:BYTE_0 src1_sel:DWORD
                                        ; implicit-def: $sgpr86_sgpr87
                                        ; implicit-def: $sgpr74_sgpr75
                                        ; implicit-def: $vgpr65
	s_and_saveexec_b64 s[60:61], vcc
	s_xor_b64 vcc, exec, s[60:61]
	s_cbranch_execz .LBB94_3016
; %bb.3013:                             ;   in Loop: Header=BB94_17 Depth=1
	v_cmp_eq_u16_sdwa s[62:63], v8, v23 src0_sel:BYTE_0 src1_sel:DWORD
	s_mov_b64 s[74:75], 0
                                        ; implicit-def: $vgpr65
	s_and_saveexec_b64 s[60:61], s[62:63]
	s_cbranch_execz .LBB94_3015
; %bb.3014:                             ;   in Loop: Header=BB94_17 Depth=1
	flat_load_dword v14, v[14:15]
	s_mov_b64 s[66:67], exec
	s_waitcnt vmcnt(0) lgkmcnt(0)
	v_lshlrev_b32_e32 v65, 16, v14
.LBB94_3015:                            ;   in Loop: Header=BB94_17 Depth=1
	s_or_b64 exec, exec, s[60:61]
	s_mov_b64 s[86:87], -1
	s_and_b64 s[78:79], s[66:67], exec
                                        ; implicit-def: $vgpr14_vgpr15
.LBB94_3016:                            ;   in Loop: Header=BB94_17 Depth=1
	s_andn2_saveexec_b64 s[66:67], vcc
	s_cbranch_execz .LBB94_3020
; %bb.3017:                             ;   in Loop: Header=BB94_17 Depth=1
	v_cmp_eq_u16_sdwa s[60:61], v8, v24 src0_sel:BYTE_0 src1_sel:DWORD
	s_mov_b64 vcc, s[78:79]
                                        ; implicit-def: $vgpr65
	s_and_saveexec_b64 s[68:69], s[60:61]
	s_cbranch_execz .LBB94_3019
; %bb.3018:                             ;   in Loop: Header=BB94_17 Depth=1
	flat_load_ubyte v14, v[14:15]
	s_movk_i32 vcc_lo, 0xff
	s_waitcnt vmcnt(0) lgkmcnt(0)
	v_lshlrev_b32_e32 v15, 23, v14
	v_cmp_ne_u32_e32 vcc, vcc_lo, v14
	v_cndmask_b32_e32 v15, v25, v15, vcc
	v_cmp_ne_u32_e32 vcc, 0, v14
	v_cndmask_b32_e32 v65, v26, v15, vcc
	s_or_b64 vcc, s[78:79], exec
.LBB94_3019:                            ;   in Loop: Header=BB94_17 Depth=1
	s_or_b64 exec, exec, s[68:69]
	s_andn2_b64 s[60:61], s[78:79], exec
	s_and_b64 vcc, vcc, exec
	s_or_b64 s[86:87], s[86:87], exec
	s_andn2_b64 s[74:75], s[74:75], exec
	s_or_b64 s[78:79], s[60:61], vcc
.LBB94_3020:                            ;   in Loop: Header=BB94_17 Depth=1
	s_or_b64 exec, exec, s[66:67]
	s_and_b64 s[86:87], s[86:87], exec
	s_and_b64 vcc, s[74:75], exec
	s_and_b64 s[74:75], s[78:79], exec
                                        ; implicit-def: $vgpr14_vgpr15
.LBB94_3021:                            ;   in Loop: Header=BB94_17 Depth=1
	s_andn2_saveexec_b64 s[66:67], s[72:73]
	s_cbranch_execz .LBB94_3025
; %bb.3022:                             ;   in Loop: Header=BB94_17 Depth=1
	v_cmp_eq_u16_sdwa s[60:61], v8, v27 src0_sel:BYTE_0 src1_sel:DWORD
	s_mov_b64 s[70:71], s[74:75]
                                        ; implicit-def: $vgpr65
	s_and_saveexec_b64 s[68:69], s[60:61]
	s_cbranch_execz .LBB94_3024
; %bb.3023:                             ;   in Loop: Header=BB94_17 Depth=1
	flat_load_dwordx2 v[14:15], v[14:15]
	s_or_b64 s[70:71], s[74:75], exec
	s_waitcnt vmcnt(0) lgkmcnt(0)
	v_ffbh_u32_e32 v65, v15
	v_min_u32_e32 v65, 32, v65
	v_lshlrev_b64 v[14:15], v65, v[14:15]
	v_min_u32_e32 v14, 1, v14
	v_or_b32_e32 v14, v15, v14
	v_cvt_f32_u32_e32 v14, v14
	v_sub_u32_e32 v15, 32, v65
	v_ldexp_f32 v65, v14, v15
.LBB94_3024:                            ;   in Loop: Header=BB94_17 Depth=1
	s_or_b64 exec, exec, s[68:69]
	s_andn2_b64 s[60:61], s[74:75], exec
	s_and_b64 s[62:63], s[70:71], exec
	s_or_b64 s[86:87], s[86:87], exec
	s_andn2_b64 vcc, vcc, exec
	s_or_b64 s[74:75], s[60:61], s[62:63]
.LBB94_3025:                            ;   in Loop: Header=BB94_17 Depth=1
	s_or_b64 exec, exec, s[66:67]
	s_and_b64 s[86:87], s[86:87], exec
	s_and_b64 s[72:73], vcc, exec
	s_and_b64 s[78:79], s[74:75], exec
                                        ; implicit-def: $vgpr14_vgpr15
.LBB94_3026:                            ;   in Loop: Header=BB94_17 Depth=1
	s_andn2_saveexec_b64 s[80:81], s[80:81]
	s_cbranch_execz .LBB94_3040
; %bb.3027:                             ;   in Loop: Header=BB94_17 Depth=1
	v_cmp_gt_i16_sdwa vcc, v8, v28 src0_sel:BYTE_0 src1_sel:DWORD
                                        ; implicit-def: $vgpr65
	s_and_saveexec_b64 s[60:61], vcc
	s_xor_b64 vcc, exec, s[60:61]
	s_cbranch_execz .LBB94_3033
; %bb.3028:                             ;   in Loop: Header=BB94_17 Depth=1
	v_cmp_gt_i16_sdwa s[60:61], v8, v29 src0_sel:BYTE_0 src1_sel:DWORD
                                        ; implicit-def: $vgpr65
	s_and_saveexec_b64 s[62:63], s[60:61]
	s_xor_b64 s[60:61], exec, s[62:63]
	s_cbranch_execz .LBB94_3030
; %bb.3029:                             ;   in Loop: Header=BB94_17 Depth=1
	flat_load_dword v14, v[14:15]
	s_waitcnt vmcnt(0) lgkmcnt(0)
	v_cvt_f32_u32_e32 v65, v14
                                        ; implicit-def: $vgpr14_vgpr15
.LBB94_3030:                            ;   in Loop: Header=BB94_17 Depth=1
	s_andn2_saveexec_b64 s[60:61], s[60:61]
	s_cbranch_execz .LBB94_3032
; %bb.3031:                             ;   in Loop: Header=BB94_17 Depth=1
	flat_load_ushort v14, v[14:15]
	s_waitcnt vmcnt(0) lgkmcnt(0)
	v_cvt_f32_u32_e32 v65, v14
.LBB94_3032:                            ;   in Loop: Header=BB94_17 Depth=1
	s_or_b64 exec, exec, s[60:61]
                                        ; implicit-def: $vgpr14_vgpr15
.LBB94_3033:                            ;   in Loop: Header=BB94_17 Depth=1
	s_andn2_saveexec_b64 s[74:75], vcc
	s_cbranch_execz .LBB94_3039
; %bb.3034:                             ;   in Loop: Header=BB94_17 Depth=1
	flat_load_ubyte v14, v[14:15]
	s_movk_i32 vcc_lo, 0x7f
	s_mov_b64 s[66:67], 0
                                        ; implicit-def: $sgpr70
	s_waitcnt vmcnt(0) lgkmcnt(0)
	v_cmp_lt_i16_e32 vcc, vcc_lo, v14
	s_and_saveexec_b64 s[60:61], vcc
	s_xor_b64 s[68:69], exec, s[60:61]
	s_cbranch_execnz .LBB94_3610
; %bb.3035:                             ;   in Loop: Header=BB94_17 Depth=1
	s_or_saveexec_b64 s[68:69], s[68:69]
	v_mov_b32_e32 v65, s70
	s_xor_b64 exec, exec, s[68:69]
	s_cbranch_execnz .LBB94_3613
.LBB94_3036:                            ;   in Loop: Header=BB94_17 Depth=1
	s_or_b64 exec, exec, s[68:69]
	s_and_saveexec_b64 s[68:69], s[66:67]
	s_cbranch_execz .LBB94_3038
.LBB94_3037:                            ;   in Loop: Header=BB94_17 Depth=1
	v_lshlrev_b32_e32 v15, 24, v14
	v_and_b32_e32 v14, 0xffff, v14
	v_and_b32_e32 v65, 7, v14
	v_ffbh_u32_e32 v67, v65
	v_min_u32_e32 v67, 32, v67
	v_subrev_u32_e32 v68, 28, v67
	v_bfe_u32 v66, v14, 3, 4
	v_lshlrev_b32_e32 v14, v68, v14
	v_sub_u32_e32 v67, 29, v67
	v_and_b32_e32 v14, 7, v14
	v_cmp_eq_u32_e32 vcc, 0, v66
	v_cndmask_b32_e32 v66, v66, v67, vcc
	v_cndmask_b32_e32 v14, v65, v14, vcc
	v_lshlrev_b32_e32 v14, 20, v14
	v_and_b32_e32 v15, 0x80000000, v15
	v_lshl_add_u32 v65, v66, 23, v30
	v_or3_b32 v65, v15, v65, v14
.LBB94_3038:                            ;   in Loop: Header=BB94_17 Depth=1
	s_or_b64 exec, exec, s[68:69]
.LBB94_3039:                            ;   in Loop: Header=BB94_17 Depth=1
	s_or_b64 exec, exec, s[74:75]
	s_andn2_b64 s[86:87], s[86:87], exec
	s_andn2_b64 s[72:73], s[72:73], exec
	s_or_b64 s[78:79], s[78:79], exec
.LBB94_3040:                            ;   in Loop: Header=BB94_17 Depth=1
	s_or_b64 exec, exec, s[80:81]
	s_and_b64 s[86:87], s[86:87], exec
	s_and_b64 s[62:63], s[72:73], exec
	;; [unrolled: 1-line block ×3, first 2 shown]
                                        ; implicit-def: $vgpr14_vgpr15
.LBB94_3041:                            ;   in Loop: Header=BB94_17 Depth=1
	s_andn2_saveexec_b64 s[80:81], s[76:77]
	s_cbranch_execz .LBB94_3067
; %bb.3042:                             ;   in Loop: Header=BB94_17 Depth=1
	v_writelane_b32 v44, s62, 34
	v_cmp_gt_i16_sdwa vcc, v8, v31 src0_sel:BYTE_0 src1_sel:DWORD
	s_mov_b64 s[74:75], s[78:79]
	v_writelane_b32 v44, s63, 35
                                        ; implicit-def: $vgpr65
	s_and_saveexec_b64 s[60:61], vcc
	s_xor_b64 s[72:73], exec, s[60:61]
	s_cbranch_execz .LBB94_3056
; %bb.3043:                             ;   in Loop: Header=BB94_17 Depth=1
	v_cmp_gt_i16_sdwa vcc, v8, v32 src0_sel:BYTE_0 src1_sel:DWORD
                                        ; implicit-def: $vgpr65
	s_and_saveexec_b64 s[60:61], vcc
	s_xor_b64 s[62:63], exec, s[60:61]
	s_cbranch_execz .LBB94_3053
; %bb.3044:                             ;   in Loop: Header=BB94_17 Depth=1
	v_cmp_gt_i16_sdwa vcc, v8, v33 src0_sel:BYTE_0 src1_sel:DWORD
                                        ; implicit-def: $vgpr65
	s_and_saveexec_b64 s[60:61], vcc
	s_xor_b64 s[74:75], exec, s[60:61]
	s_cbranch_execz .LBB94_3050
; %bb.3045:                             ;   in Loop: Header=BB94_17 Depth=1
	flat_load_ubyte v14, v[14:15]
	s_movk_i32 vcc_lo, 0x7f
	s_mov_b64 s[66:67], 0
                                        ; implicit-def: $sgpr70
	s_waitcnt vmcnt(0) lgkmcnt(0)
	v_cmp_lt_i16_e32 vcc, vcc_lo, v14
	s_and_saveexec_b64 s[60:61], vcc
	s_xor_b64 s[68:69], exec, s[60:61]
	s_cbranch_execnz .LBB94_3618
; %bb.3046:                             ;   in Loop: Header=BB94_17 Depth=1
	s_or_saveexec_b64 s[68:69], s[68:69]
	v_mov_b32_e32 v65, s70
	s_xor_b64 exec, exec, s[68:69]
	s_cbranch_execnz .LBB94_3621
.LBB94_3047:                            ;   in Loop: Header=BB94_17 Depth=1
	s_or_b64 exec, exec, s[68:69]
	s_and_saveexec_b64 s[68:69], s[66:67]
	s_cbranch_execz .LBB94_3049
.LBB94_3048:                            ;   in Loop: Header=BB94_17 Depth=1
	v_lshlrev_b32_e32 v15, 24, v14
	v_and_b32_e32 v14, 0xffff, v14
	v_and_b32_e32 v65, 3, v14
	v_ffbh_u32_e32 v67, v65
	v_min_u32_e32 v67, 32, v67
	v_subrev_u32_e32 v68, 29, v67
	v_bfe_u32 v66, v14, 2, 5
	v_lshlrev_b32_e32 v14, v68, v14
	v_sub_u32_e32 v67, 30, v67
	v_and_b32_e32 v14, 3, v14
	v_cmp_eq_u32_e32 vcc, 0, v66
	v_cndmask_b32_e32 v66, v66, v67, vcc
	v_cndmask_b32_e32 v14, v65, v14, vcc
	v_lshlrev_b32_e32 v14, 21, v14
	v_and_b32_e32 v15, 0x80000000, v15
	v_lshl_add_u32 v65, v66, 23, v34
	v_or3_b32 v65, v15, v65, v14
.LBB94_3049:                            ;   in Loop: Header=BB94_17 Depth=1
	s_or_b64 exec, exec, s[68:69]
                                        ; implicit-def: $vgpr14_vgpr15
.LBB94_3050:                            ;   in Loop: Header=BB94_17 Depth=1
	s_andn2_saveexec_b64 s[66:67], s[74:75]
	s_cbranch_execz .LBB94_3052
; %bb.3051:                             ;   in Loop: Header=BB94_17 Depth=1
	flat_load_ubyte v14, v[14:15]
	s_mov_b32 vcc_lo, 0x7f800000
	s_waitcnt vmcnt(0) lgkmcnt(0)
	v_lshlrev_b32_e32 v14, 24, v14
	v_and_b32_e32 v15, 0x7f000000, v14
	v_ffbh_u32_e32 v65, v15
	v_min_u32_e32 v65, 32, v65
	v_sub_u32_e64 v65, v65, 4 clamp
	v_lshlrev_b32_e32 v67, v65, v15
	v_lshlrev_b32_e32 v65, 23, v65
	v_lshrrev_b32_e32 v67, 4, v67
	v_add_u32_e32 v66, 0x1000000, v15
	v_sub_u32_e32 v65, v67, v65
	v_ashrrev_i32_e32 v66, 8, v66
	v_add_u32_e32 v65, 0x3c000000, v65
	v_and_or_b32 v65, v66, vcc_lo, v65
	v_cmp_ne_u32_e32 vcc, 0, v15
	v_cndmask_b32_e32 v15, 0, v65, vcc
	s_brev_b32 vcc_lo, 1
	v_and_or_b32 v65, v14, vcc_lo, v15
.LBB94_3052:                            ;   in Loop: Header=BB94_17 Depth=1
	s_or_b64 exec, exec, s[66:67]
                                        ; implicit-def: $vgpr14_vgpr15
.LBB94_3053:                            ;   in Loop: Header=BB94_17 Depth=1
	s_andn2_saveexec_b64 s[66:67], s[62:63]
	s_cbranch_execz .LBB94_3055
; %bb.3054:                             ;   in Loop: Header=BB94_17 Depth=1
	flat_load_ubyte v14, v[14:15]
	s_movk_i32 vcc_lo, 0x7f00
	s_waitcnt vmcnt(0) lgkmcnt(0)
	v_lshlrev_b16_e32 v15, 8, v14
	v_lshlrev_b32_e32 v14, 25, v14
	v_lshrrev_b32_e32 v65, 4, v14
	v_and_or_b32 v66, v15, vcc_lo, 0.5
	v_or_b32_e32 v65, 0x70000000, v65
	s_brev_b32 vcc_lo, 16
	v_add_f32_e32 v66, -0.5, v66
	v_mul_f32_e32 v65, 0x7800000, v65
	v_cmp_gt_u32_e32 vcc, vcc_lo, v14
	v_cndmask_b32_e32 v14, v65, v66, vcc
	v_bfe_i32 v15, v15, 0, 16
	s_brev_b32 vcc_lo, 1
	v_and_or_b32 v65, v15, vcc_lo, v14
.LBB94_3055:                            ;   in Loop: Header=BB94_17 Depth=1
	s_or_b64 exec, exec, s[66:67]
	s_or_b64 s[74:75], s[78:79], exec
                                        ; implicit-def: $vgpr14_vgpr15
.LBB94_3056:                            ;   in Loop: Header=BB94_17 Depth=1
	s_or_saveexec_b64 s[72:73], s[72:73]
                                        ; implicit-def: $vcc
                                        ; implicit-def: $sgpr68_sgpr69
	s_xor_b64 exec, exec, s[72:73]
	s_cbranch_execz .LBB94_3066
; %bb.3057:                             ;   in Loop: Header=BB94_17 Depth=1
	v_cmp_gt_i16_sdwa vcc, v8, v35 src0_sel:BYTE_0 src1_sel:DWORD
	s_mov_b64 s[66:67], s[74:75]
                                        ; implicit-def: $sgpr68_sgpr69
                                        ; implicit-def: $sgpr76_sgpr77
                                        ; implicit-def: $vgpr65
	s_and_saveexec_b64 s[60:61], vcc
	s_xor_b64 vcc, exec, s[60:61]
	s_cbranch_execz .LBB94_3061
; %bb.3058:                             ;   in Loop: Header=BB94_17 Depth=1
	v_cmp_eq_u16_sdwa s[62:63], v8, v36 src0_sel:BYTE_0 src1_sel:DWORD
	s_mov_b64 s[66:67], s[74:75]
                                        ; implicit-def: $vgpr65
	s_and_saveexec_b64 s[60:61], s[62:63]
	s_cbranch_execz .LBB94_3060
; %bb.3059:                             ;   in Loop: Header=BB94_17 Depth=1
	flat_load_ushort v14, v[14:15]
	s_or_b64 s[66:67], s[74:75], exec
	s_waitcnt vmcnt(0) lgkmcnt(0)
	v_lshlrev_b32_e32 v65, 16, v14
.LBB94_3060:                            ;   in Loop: Header=BB94_17 Depth=1
	s_or_b64 exec, exec, s[60:61]
	s_andn2_b64 s[60:61], s[74:75], exec
	s_and_b64 s[62:63], s[66:67], exec
	s_mov_b64 s[76:77], 0
	s_mov_b64 s[68:69], -1
	s_or_b64 s[66:67], s[60:61], s[62:63]
                                        ; implicit-def: $vgpr14_vgpr15
.LBB94_3061:                            ;   in Loop: Header=BB94_17 Depth=1
	s_andn2_saveexec_b64 s[70:71], vcc
	s_cbranch_execz .LBB94_3065
; %bb.3062:                             ;   in Loop: Header=BB94_17 Depth=1
	v_cmp_eq_u16_sdwa s[62:63], v8, v37 src0_sel:BYTE_0 src1_sel:DWORD
	s_mov_b64 vcc, s[66:67]
                                        ; implicit-def: $vgpr65
	s_and_saveexec_b64 s[60:61], s[62:63]
	s_cbranch_execz .LBB94_3064
; %bb.3063:                             ;   in Loop: Header=BB94_17 Depth=1
	flat_load_ubyte v14, v[14:15]
	s_waitcnt vmcnt(0) lgkmcnt(0)
	v_cmp_ne_u16_e32 vcc, 0, v14
	v_cndmask_b32_e64 v65, 0, 1.0, vcc
	s_or_b64 vcc, s[66:67], exec
.LBB94_3064:                            ;   in Loop: Header=BB94_17 Depth=1
	s_or_b64 exec, exec, s[60:61]
	s_andn2_b64 s[60:61], s[66:67], exec
	s_and_b64 vcc, vcc, exec
	s_or_b64 s[68:69], s[68:69], exec
	s_andn2_b64 s[76:77], s[76:77], exec
	s_or_b64 s[66:67], s[60:61], vcc
.LBB94_3065:                            ;   in Loop: Header=BB94_17 Depth=1
	s_or_b64 exec, exec, s[70:71]
	s_andn2_b64 s[60:61], s[74:75], exec
	s_and_b64 s[62:63], s[66:67], exec
	s_and_b64 s[68:69], s[68:69], exec
	s_and_b64 vcc, s[76:77], exec
	s_or_b64 s[74:75], s[60:61], s[62:63]
.LBB94_3066:                            ;   in Loop: Header=BB94_17 Depth=1
	s_or_b64 exec, exec, s[72:73]
	s_andn2_b64 s[60:61], s[86:87], exec
	s_and_b64 s[62:63], s[68:69], exec
	s_or_b64 s[86:87], s[60:61], s[62:63]
	v_readlane_b32 s60, v44, 34
	v_readlane_b32 s61, v44, 35
	s_andn2_b64 s[60:61], s[60:61], exec
	s_and_b64 vcc, vcc, exec
	s_or_b64 s[62:63], s[60:61], vcc
	s_andn2_b64 vcc, s[78:79], exec
	s_and_b64 s[60:61], s[74:75], exec
	s_or_b64 s[78:79], vcc, s[60:61]
.LBB94_3067:                            ;   in Loop: Header=BB94_17 Depth=1
	s_or_b64 exec, exec, s[80:81]
	s_and_b64 s[86:87], s[86:87], exec
	s_and_b64 vcc, s[62:63], exec
	s_and_b64 s[78:79], s[78:79], exec
                                        ; implicit-def: $vgpr14_vgpr15
.LBB94_3068:                            ;   in Loop: Header=BB94_17 Depth=1
	v_readlane_b32 s60, v44, 32
	v_readlane_b32 s61, v44, 33
	s_andn2_saveexec_b64 s[80:81], s[60:61]
	s_cbranch_execz .LBB94_3110
; %bb.3069:                             ;   in Loop: Header=BB94_17 Depth=1
	v_cmp_gt_i16_sdwa s[60:61], v8, v38 src0_sel:BYTE_0 src1_sel:DWORD
                                        ; implicit-def: $vgpr65
	s_and_saveexec_b64 s[62:63], s[60:61]
	s_xor_b64 s[72:73], exec, s[62:63]
	s_cbranch_execz .LBB94_3091
; %bb.3070:                             ;   in Loop: Header=BB94_17 Depth=1
	v_cmp_gt_i16_sdwa s[60:61], v8, v39 src0_sel:BYTE_0 src1_sel:DWORD
                                        ; implicit-def: $vgpr65
	s_and_saveexec_b64 s[62:63], s[60:61]
	s_xor_b64 s[66:67], exec, s[62:63]
	s_cbranch_execz .LBB94_3080
; %bb.3071:                             ;   in Loop: Header=BB94_17 Depth=1
	v_cmp_gt_i16_sdwa s[60:61], v8, v48 src0_sel:BYTE_0 src1_sel:DWORD
                                        ; implicit-def: $vgpr65
	s_and_saveexec_b64 s[62:63], s[60:61]
	s_xor_b64 s[68:69], exec, s[62:63]
	s_cbranch_execz .LBB94_3077
; %bb.3072:                             ;   in Loop: Header=BB94_17 Depth=1
	v_cmp_gt_i16_sdwa s[60:61], v8, v49 src0_sel:BYTE_0 src1_sel:DWORD
                                        ; implicit-def: $vgpr65
	s_and_saveexec_b64 s[62:63], s[60:61]
	s_xor_b64 s[60:61], exec, s[62:63]
	s_cbranch_execz .LBB94_3074
; %bb.3073:                             ;   in Loop: Header=BB94_17 Depth=1
	flat_load_dwordx2 v[14:15], v[14:15]
	s_waitcnt vmcnt(0) lgkmcnt(0)
	v_cvt_f32_f64_e32 v65, v[14:15]
                                        ; implicit-def: $vgpr14_vgpr15
.LBB94_3074:                            ;   in Loop: Header=BB94_17 Depth=1
	s_andn2_saveexec_b64 s[60:61], s[60:61]
	s_cbranch_execz .LBB94_3076
; %bb.3075:                             ;   in Loop: Header=BB94_17 Depth=1
	flat_load_dword v65, v[14:15]
.LBB94_3076:                            ;   in Loop: Header=BB94_17 Depth=1
	s_or_b64 exec, exec, s[60:61]
                                        ; implicit-def: $vgpr14_vgpr15
.LBB94_3077:                            ;   in Loop: Header=BB94_17 Depth=1
	s_andn2_saveexec_b64 s[60:61], s[68:69]
	s_cbranch_execz .LBB94_3079
; %bb.3078:                             ;   in Loop: Header=BB94_17 Depth=1
	flat_load_dword v14, v[14:15]
	s_waitcnt vmcnt(0) lgkmcnt(0)
	v_cvt_f32_f16_e32 v65, v14
.LBB94_3079:                            ;   in Loop: Header=BB94_17 Depth=1
	s_or_b64 exec, exec, s[60:61]
                                        ; implicit-def: $vgpr14_vgpr15
.LBB94_3080:                            ;   in Loop: Header=BB94_17 Depth=1
	s_andn2_saveexec_b64 s[66:67], s[66:67]
	s_cbranch_execz .LBB94_3090
; %bb.3081:                             ;   in Loop: Header=BB94_17 Depth=1
	v_cmp_gt_i16_sdwa s[60:61], v8, v50 src0_sel:BYTE_0 src1_sel:DWORD
                                        ; implicit-def: $vgpr65
	s_and_saveexec_b64 s[62:63], s[60:61]
	s_xor_b64 s[68:69], exec, s[62:63]
	s_cbranch_execz .LBB94_3087
; %bb.3082:                             ;   in Loop: Header=BB94_17 Depth=1
	v_cmp_gt_i16_sdwa s[60:61], v8, v51 src0_sel:BYTE_0 src1_sel:DWORD
                                        ; implicit-def: $vgpr65
	s_and_saveexec_b64 s[62:63], s[60:61]
	s_xor_b64 s[60:61], exec, s[62:63]
	s_cbranch_execz .LBB94_3084
; %bb.3083:                             ;   in Loop: Header=BB94_17 Depth=1
	flat_load_dwordx2 v[14:15], v[14:15]
	s_waitcnt vmcnt(0) lgkmcnt(0)
	v_cvt_f32_f64_e32 v65, v[14:15]
                                        ; implicit-def: $vgpr14_vgpr15
.LBB94_3084:                            ;   in Loop: Header=BB94_17 Depth=1
	s_andn2_saveexec_b64 s[60:61], s[60:61]
	s_cbranch_execz .LBB94_3086
; %bb.3085:                             ;   in Loop: Header=BB94_17 Depth=1
	s_waitcnt vmcnt(0) lgkmcnt(0)
	flat_load_dword v65, v[14:15]
.LBB94_3086:                            ;   in Loop: Header=BB94_17 Depth=1
	s_or_b64 exec, exec, s[60:61]
                                        ; implicit-def: $vgpr14_vgpr15
.LBB94_3087:                            ;   in Loop: Header=BB94_17 Depth=1
	s_andn2_saveexec_b64 s[60:61], s[68:69]
	s_cbranch_execz .LBB94_3089
; %bb.3088:                             ;   in Loop: Header=BB94_17 Depth=1
	flat_load_ushort v14, v[14:15]
	s_waitcnt vmcnt(0) lgkmcnt(0)
	v_cvt_f32_f16_e32 v65, v14
.LBB94_3089:                            ;   in Loop: Header=BB94_17 Depth=1
	s_or_b64 exec, exec, s[60:61]
.LBB94_3090:                            ;   in Loop: Header=BB94_17 Depth=1
	s_or_b64 exec, exec, s[66:67]
                                        ; implicit-def: $vgpr14_vgpr15
.LBB94_3091:                            ;   in Loop: Header=BB94_17 Depth=1
	s_andn2_saveexec_b64 s[72:73], s[72:73]
	s_cbranch_execz .LBB94_3109
; %bb.3092:                             ;   in Loop: Header=BB94_17 Depth=1
	v_cmp_gt_i16_sdwa s[60:61], v8, v52 src0_sel:BYTE_0 src1_sel:DWORD
                                        ; implicit-def: $vgpr65
	s_and_saveexec_b64 s[62:63], s[60:61]
	s_xor_b64 s[74:75], exec, s[62:63]
	s_cbranch_execz .LBB94_3102
; %bb.3093:                             ;   in Loop: Header=BB94_17 Depth=1
	v_cmp_gt_i16_sdwa s[60:61], v8, v53 src0_sel:BYTE_0 src1_sel:DWORD
                                        ; implicit-def: $vgpr65
	s_and_saveexec_b64 s[62:63], s[60:61]
	s_xor_b64 s[66:67], exec, s[62:63]
	;; [unrolled: 6-line block ×3, first 2 shown]
	s_cbranch_execz .LBB94_3096
; %bb.3095:                             ;   in Loop: Header=BB94_17 Depth=1
	flat_load_dwordx2 v[14:15], v[14:15]
	s_waitcnt vmcnt(0) lgkmcnt(0)
	v_xor_b32_e32 v66, v14, v15
	v_ffbh_i32_e32 v65, v15
	v_ashrrev_i32_e32 v66, 31, v66
	v_add_u32_e32 v65, -1, v65
	v_add_u32_e32 v66, 32, v66
	v_min_u32_e32 v65, v65, v66
	v_lshlrev_b64 v[14:15], v65, v[14:15]
	v_min_u32_e32 v14, 1, v14
	v_or_b32_e32 v14, v15, v14
	v_cvt_f32_i32_e32 v14, v14
	v_sub_u32_e32 v15, 32, v65
	v_ldexp_f32 v65, v14, v15
                                        ; implicit-def: $vgpr14_vgpr15
.LBB94_3096:                            ;   in Loop: Header=BB94_17 Depth=1
	s_andn2_saveexec_b64 s[60:61], s[68:69]
	s_cbranch_execz .LBB94_3098
; %bb.3097:                             ;   in Loop: Header=BB94_17 Depth=1
	flat_load_dword v14, v[14:15]
	s_waitcnt vmcnt(0) lgkmcnt(0)
	v_cvt_f32_i32_e32 v65, v14
.LBB94_3098:                            ;   in Loop: Header=BB94_17 Depth=1
	s_or_b64 exec, exec, s[60:61]
                                        ; implicit-def: $vgpr14_vgpr15
.LBB94_3099:                            ;   in Loop: Header=BB94_17 Depth=1
	s_andn2_saveexec_b64 s[60:61], s[66:67]
	s_cbranch_execz .LBB94_3101
; %bb.3100:                             ;   in Loop: Header=BB94_17 Depth=1
	flat_load_sshort v14, v[14:15]
	s_waitcnt vmcnt(0) lgkmcnt(0)
	v_cvt_f32_i32_e32 v65, v14
.LBB94_3101:                            ;   in Loop: Header=BB94_17 Depth=1
	s_or_b64 exec, exec, s[60:61]
                                        ; implicit-def: $vgpr14_vgpr15
.LBB94_3102:                            ;   in Loop: Header=BB94_17 Depth=1
	s_andn2_saveexec_b64 s[66:67], s[74:75]
	s_cbranch_execz .LBB94_3108
; %bb.3103:                             ;   in Loop: Header=BB94_17 Depth=1
	v_cmp_gt_i16_sdwa s[60:61], v8, v16 src0_sel:BYTE_0 src1_sel:DWORD
                                        ; implicit-def: $vgpr65
	s_and_saveexec_b64 s[62:63], s[60:61]
	s_xor_b64 s[60:61], exec, s[62:63]
	s_cbranch_execz .LBB94_3105
; %bb.3104:                             ;   in Loop: Header=BB94_17 Depth=1
	flat_load_sbyte v14, v[14:15]
	s_waitcnt vmcnt(0) lgkmcnt(0)
	v_cvt_f32_i32_e32 v65, v14
                                        ; implicit-def: $vgpr14_vgpr15
.LBB94_3105:                            ;   in Loop: Header=BB94_17 Depth=1
	s_andn2_saveexec_b64 s[60:61], s[60:61]
	s_cbranch_execz .LBB94_3107
; %bb.3106:                             ;   in Loop: Header=BB94_17 Depth=1
	flat_load_ubyte v14, v[14:15]
	s_waitcnt vmcnt(0) lgkmcnt(0)
	v_cvt_f32_ubyte0_e32 v65, v14
.LBB94_3107:                            ;   in Loop: Header=BB94_17 Depth=1
	s_or_b64 exec, exec, s[60:61]
.LBB94_3108:                            ;   in Loop: Header=BB94_17 Depth=1
	s_or_b64 exec, exec, s[66:67]
.LBB94_3109:                            ;   in Loop: Header=BB94_17 Depth=1
	s_or_b64 exec, exec, s[72:73]
	s_andn2_b64 s[86:87], s[86:87], exec
	s_andn2_b64 vcc, vcc, exec
	s_or_b64 s[78:79], s[78:79], exec
.LBB94_3110:                            ;   in Loop: Header=BB94_17 Depth=1
	s_or_b64 exec, exec, s[80:81]
	s_mov_b64 s[66:67], 0
	s_and_saveexec_b64 s[68:69], s[78:79]
	s_cbranch_execz .LBB94_3112
; %bb.3111:                             ;   in Loop: Header=BB94_17 Depth=1
	s_mov_b64 s[66:67], exec
	v_add_u32_e32 v55, 0x200, v55
	s_andn2_b64 s[86:87], s[86:87], exec
	s_andn2_b64 vcc, vcc, exec
	s_waitcnt vmcnt(0) lgkmcnt(0)
	buffer_store_dword v65, v64, s[0:3], 0 offen offset:104
.LBB94_3112:                            ;   in Loop: Header=BB94_17 Depth=1
	s_or_b64 exec, exec, s[68:69]
	s_andn2_b64 s[60:61], s[92:93], exec
	s_and_b64 s[62:63], s[86:87], exec
	s_or_b64 s[92:93], s[60:61], s[62:63]
	s_andn2_b64 s[60:61], s[94:95], exec
	s_and_b64 vcc, vcc, exec
	s_or_b64 s[94:95], s[60:61], vcc
	s_and_b64 s[66:67], s[66:67], exec
.LBB94_3113:                            ;   in Loop: Header=BB94_17 Depth=1
	s_or_b64 exec, exec, s[84:85]
	s_and_b64 vcc, s[92:93], exec
	v_writelane_b32 v44, vcc_lo, 28
	v_writelane_b32 v44, vcc_hi, 29
	s_and_b64 vcc, s[94:95], exec
	v_writelane_b32 v44, vcc_lo, 30
	v_writelane_b32 v44, vcc_hi, 31
	s_orn2_b64 s[66:67], s[66:67], exec
.LBB94_3114:                            ;   in Loop: Header=BB94_17 Depth=1
	s_or_b64 exec, exec, s[90:91]
	s_and_saveexec_b64 s[94:95], s[66:67]
	s_cbranch_execz .LBB94_3
; %bb.3115:                             ;   in Loop: Header=BB94_17 Depth=1
	s_mov_b64 s[60:61], -1
	v_cmp_lt_i32_e32 vcc, v55, v6
	v_writelane_b32 v44, s60, 36
	s_mov_b64 s[66:67], -1
	v_writelane_b32 v44, s61, 37
                                        ; implicit-def: $sgpr62_sgpr63
                                        ; implicit-def: $sgpr60_sgpr61
                                        ; kill: killed $sgpr60_sgpr61
	s_and_saveexec_b64 s[96:97], vcc
	s_cbranch_execz .LBB94_3341
; %bb.3116:                             ;   in Loop: Header=BB94_17 Depth=1
	v_readlane_b32 vcc_lo, v44, 1
	s_waitcnt vmcnt(0) lgkmcnt(0)
	v_add_u32_e32 v65, vcc_lo, v55
	v_mul_lo_u32 v14, v65, v9
	v_add_co_u32_e32 v14, vcc, v2, v14
	v_addc_co_u32_e32 v15, vcc, 0, v3, vcc
	v_cmp_gt_i16_sdwa s[60:61], v7, v18 src0_sel:BYTE_0 src1_sel:DWORD
	s_mov_b64 vcc, 0
                                        ; implicit-def: $sgpr92_sgpr93
                                        ; implicit-def: $sgpr90_sgpr91
                                        ; implicit-def: $vgpr66
	s_and_saveexec_b64 s[62:63], s[60:61]
	s_xor_b64 s[84:85], exec, s[62:63]
	s_cbranch_execnz .LBB94_3135
; %bb.3117:                             ;   in Loop: Header=BB94_17 Depth=1
	s_andn2_saveexec_b64 s[78:79], s[84:85]
	s_cbranch_execnz .LBB94_3194
.LBB94_3118:                            ;   in Loop: Header=BB94_17 Depth=1
	s_or_b64 exec, exec, s[78:79]
	s_mov_b64 s[66:67], 0
	s_and_saveexec_b64 s[84:85], vcc
	s_cbranch_execnz .LBB94_3235
	s_branch .LBB94_3340
.LBB94_3119:                            ;   in Loop: Header=BB94_17 Depth=1
	s_movk_i32 vcc_lo, 0x80
	v_cmp_eq_u16_e32 vcc, vcc_lo, v14
	s_mov_b64 s[86:87], -1
                                        ; implicit-def: $sgpr92
	s_and_saveexec_b64 s[90:91], vcc
; %bb.3120:                             ;   in Loop: Header=BB94_17 Depth=1
	s_mov_b32 s92, 0x7f800001
	s_xor_b64 s[86:87], exec, -1
; %bb.3121:                             ;   in Loop: Header=BB94_17 Depth=1
	s_or_b64 exec, exec, s[90:91]
	s_and_b64 s[86:87], s[86:87], exec
	s_or_saveexec_b64 s[88:89], s[88:89]
	v_mov_b32_e32 v64, s92
	s_xor_b64 exec, exec, s[88:89]
	s_cbranch_execz .LBB94_1938
.LBB94_3122:                            ;   in Loop: Header=BB94_17 Depth=1
	v_cmp_ne_u16_e32 vcc, 0, v14
	s_andn2_b64 s[86:87], s[86:87], exec
	s_and_b64 vcc, vcc, exec
	v_mov_b32_e32 v64, 0
	s_or_b64 s[86:87], s[86:87], vcc
	s_or_b64 exec, exec, s[88:89]
	s_and_saveexec_b64 s[88:89], s[86:87]
	s_cbranch_execnz .LBB94_1939
	s_branch .LBB94_1940
.LBB94_3123:                            ;   in Loop: Header=BB94_17 Depth=1
	s_movk_i32 vcc_lo, 0x80
	v_cmp_eq_u16_e32 vcc, vcc_lo, v14
	s_mov_b64 s[86:87], -1
                                        ; implicit-def: $sgpr90
	s_and_saveexec_b64 s[60:61], vcc
; %bb.3124:                             ;   in Loop: Header=BB94_17 Depth=1
	s_mov_b32 s90, 0x7f800001
	s_xor_b64 s[86:87], exec, -1
; %bb.3125:                             ;   in Loop: Header=BB94_17 Depth=1
	s_or_b64 exec, exec, s[60:61]
	s_and_b64 s[86:87], s[86:87], exec
	s_or_saveexec_b64 s[88:89], s[88:89]
	v_mov_b32_e32 v66, s90
	s_xor_b64 exec, exec, s[88:89]
	s_cbranch_execz .LBB94_2038
.LBB94_3126:                            ;   in Loop: Header=BB94_17 Depth=1
	v_cmp_ne_u16_e32 vcc, 0, v14
	s_andn2_b64 s[60:61], s[86:87], exec
	s_and_b64 vcc, vcc, exec
	v_mov_b32_e32 v66, 0
	s_or_b64 s[86:87], s[60:61], vcc
	s_or_b64 exec, exec, s[88:89]
	s_and_saveexec_b64 s[88:89], s[86:87]
	s_cbranch_execnz .LBB94_2039
	s_branch .LBB94_2040
.LBB94_3127:                            ;   in Loop: Header=BB94_17 Depth=1
	s_movk_i32 vcc_lo, 0x80
	v_cmp_eq_u16_e32 vcc, vcc_lo, v14
	s_mov_b64 s[90:91], -1
                                        ; implicit-def: $sgpr94
	s_and_saveexec_b64 s[60:61], vcc
; %bb.3128:                             ;   in Loop: Header=BB94_17 Depth=1
	s_mov_b32 s94, 0x7f800001
	s_xor_b64 s[90:91], exec, -1
; %bb.3129:                             ;   in Loop: Header=BB94_17 Depth=1
	s_or_b64 exec, exec, s[60:61]
	s_and_b64 s[90:91], s[90:91], exec
	s_or_saveexec_b64 s[92:93], s[92:93]
	v_mov_b32_e32 v64, s94
	s_xor_b64 exec, exec, s[92:93]
	s_cbranch_execz .LBB94_2154
.LBB94_3130:                            ;   in Loop: Header=BB94_17 Depth=1
	v_cmp_ne_u16_e32 vcc, 0, v14
	s_andn2_b64 s[60:61], s[90:91], exec
	s_and_b64 vcc, vcc, exec
	v_mov_b32_e32 v64, 0
	s_or_b64 s[90:91], s[60:61], vcc
	s_or_b64 exec, exec, s[92:93]
	s_and_saveexec_b64 s[92:93], s[90:91]
	s_cbranch_execnz .LBB94_2155
	s_branch .LBB94_2156
.LBB94_3131:                            ;   in Loop: Header=BB94_17 Depth=1
	s_movk_i32 vcc_lo, 0x80
	v_cmp_eq_u16_e32 vcc, vcc_lo, v14
	s_mov_b64 s[66:67], -1
                                        ; implicit-def: $sgpr70
	s_and_saveexec_b64 s[60:61], vcc
; %bb.3132:                             ;   in Loop: Header=BB94_17 Depth=1
	s_mov_b32 s70, 0x7f800001
	s_xor_b64 s[66:67], exec, -1
; %bb.3133:                             ;   in Loop: Header=BB94_17 Depth=1
	s_or_b64 exec, exec, s[60:61]
	s_and_b64 s[66:67], s[66:67], exec
	s_or_saveexec_b64 s[68:69], s[68:69]
	v_mov_b32_e32 v66, s70
	s_xor_b64 exec, exec, s[68:69]
	s_cbranch_execz .LBB94_2254
.LBB94_3134:                            ;   in Loop: Header=BB94_17 Depth=1
	v_cmp_ne_u16_e32 vcc, 0, v14
	s_andn2_b64 s[60:61], s[66:67], exec
	s_and_b64 vcc, vcc, exec
	v_mov_b32_e32 v66, 0
	s_or_b64 s[66:67], s[60:61], vcc
	s_or_b64 exec, exec, s[68:69]
	s_and_saveexec_b64 s[68:69], s[66:67]
	s_cbranch_execnz .LBB94_2255
	s_branch .LBB94_2256
.LBB94_3135:                            ;   in Loop: Header=BB94_17 Depth=1
	v_cmp_gt_i16_sdwa vcc, v7, v19 src0_sel:BYTE_0 src1_sel:DWORD
	s_mov_b64 s[78:79], 0
                                        ; implicit-def: $sgpr80_sgpr81
                                        ; implicit-def: $sgpr86_sgpr87
                                        ; implicit-def: $vgpr66
	s_and_saveexec_b64 s[60:61], vcc
	s_xor_b64 s[90:91], exec, s[60:61]
	s_cbranch_execz .LBB94_3167
; %bb.3136:                             ;   in Loop: Header=BB94_17 Depth=1
	v_cmp_gt_i16_sdwa vcc, v7, v20 src0_sel:BYTE_0 src1_sel:DWORD
                                        ; implicit-def: $sgpr72_sgpr73
                                        ; implicit-def: $sgpr86_sgpr87
                                        ; implicit-def: $vgpr66
	s_and_saveexec_b64 s[60:61], vcc
	s_xor_b64 s[80:81], exec, s[60:61]
	s_cbranch_execz .LBB94_3152
; %bb.3137:                             ;   in Loop: Header=BB94_17 Depth=1
	v_cmp_gt_i16_sdwa s[60:61], v7, v21 src0_sel:BYTE_0 src1_sel:DWORD
	s_mov_b64 s[74:75], 0
                                        ; implicit-def: $vcc
                                        ; implicit-def: $sgpr86_sgpr87
                                        ; implicit-def: $vgpr66
	s_and_saveexec_b64 s[62:63], s[60:61]
	s_xor_b64 s[72:73], exec, s[62:63]
	s_cbranch_execz .LBB94_3147
; %bb.3138:                             ;   in Loop: Header=BB94_17 Depth=1
	v_cmp_gt_i16_sdwa vcc, v7, v22 src0_sel:BYTE_0 src1_sel:DWORD
                                        ; implicit-def: $sgpr74_sgpr75
                                        ; implicit-def: $sgpr92_sgpr93
                                        ; implicit-def: $vgpr66
	s_and_saveexec_b64 s[60:61], vcc
	s_xor_b64 vcc, exec, s[60:61]
	s_cbranch_execz .LBB94_3142
; %bb.3139:                             ;   in Loop: Header=BB94_17 Depth=1
	v_cmp_eq_u16_sdwa s[62:63], v7, v23 src0_sel:BYTE_0 src1_sel:DWORD
	s_mov_b64 s[74:75], 0
	s_mov_b64 s[66:67], 0
                                        ; implicit-def: $vgpr66
	s_and_saveexec_b64 s[60:61], s[62:63]
	s_cbranch_execz .LBB94_3141
; %bb.3140:                             ;   in Loop: Header=BB94_17 Depth=1
	flat_load_dword v14, v[14:15]
	s_mov_b64 s[66:67], exec
	s_waitcnt vmcnt(0) lgkmcnt(0)
	v_lshlrev_b32_e32 v66, 16, v14
.LBB94_3141:                            ;   in Loop: Header=BB94_17 Depth=1
	s_or_b64 exec, exec, s[60:61]
	s_mov_b64 s[92:93], -1
	s_and_b64 s[78:79], s[66:67], exec
                                        ; implicit-def: $vgpr14_vgpr15
.LBB94_3142:                            ;   in Loop: Header=BB94_17 Depth=1
	s_andn2_saveexec_b64 s[66:67], vcc
	s_cbranch_execz .LBB94_3146
; %bb.3143:                             ;   in Loop: Header=BB94_17 Depth=1
	v_cmp_eq_u16_sdwa s[60:61], v7, v24 src0_sel:BYTE_0 src1_sel:DWORD
	s_mov_b64 vcc, s[78:79]
                                        ; implicit-def: $vgpr66
	s_and_saveexec_b64 s[68:69], s[60:61]
	s_cbranch_execz .LBB94_3145
; %bb.3144:                             ;   in Loop: Header=BB94_17 Depth=1
	flat_load_ubyte v14, v[14:15]
	s_movk_i32 vcc_lo, 0xff
	s_waitcnt vmcnt(0) lgkmcnt(0)
	v_lshlrev_b32_e32 v15, 23, v14
	v_cmp_ne_u32_e32 vcc, vcc_lo, v14
	v_cndmask_b32_e32 v15, v25, v15, vcc
	v_cmp_ne_u32_e32 vcc, 0, v14
	v_cndmask_b32_e32 v66, v26, v15, vcc
	s_or_b64 vcc, s[78:79], exec
.LBB94_3145:                            ;   in Loop: Header=BB94_17 Depth=1
	s_or_b64 exec, exec, s[68:69]
	s_andn2_b64 s[60:61], s[78:79], exec
	s_and_b64 vcc, vcc, exec
	s_andn2_b64 s[74:75], s[74:75], exec
	s_or_b64 s[92:93], s[92:93], exec
	s_or_b64 s[78:79], s[60:61], vcc
.LBB94_3146:                            ;   in Loop: Header=BB94_17 Depth=1
	s_or_b64 exec, exec, s[66:67]
	s_and_b64 s[86:87], s[74:75], exec
	s_and_b64 vcc, s[92:93], exec
	s_and_b64 s[74:75], s[78:79], exec
                                        ; implicit-def: $vgpr14_vgpr15
.LBB94_3147:                            ;   in Loop: Header=BB94_17 Depth=1
	s_andn2_saveexec_b64 s[66:67], s[72:73]
	s_cbranch_execz .LBB94_3151
; %bb.3148:                             ;   in Loop: Header=BB94_17 Depth=1
	v_cmp_eq_u16_sdwa s[60:61], v7, v27 src0_sel:BYTE_0 src1_sel:DWORD
	s_mov_b64 s[70:71], s[74:75]
                                        ; implicit-def: $vgpr66
	s_and_saveexec_b64 s[68:69], s[60:61]
	s_cbranch_execz .LBB94_3150
; %bb.3149:                             ;   in Loop: Header=BB94_17 Depth=1
	flat_load_dwordx2 v[14:15], v[14:15]
	s_or_b64 s[70:71], s[74:75], exec
	s_waitcnt vmcnt(0) lgkmcnt(0)
	v_ffbh_u32_e32 v64, v15
	v_min_u32_e32 v64, 32, v64
	v_lshlrev_b64 v[14:15], v64, v[14:15]
	v_min_u32_e32 v14, 1, v14
	v_or_b32_e32 v14, v15, v14
	v_cvt_f32_u32_e32 v14, v14
	v_sub_u32_e32 v15, 32, v64
	v_ldexp_f32 v66, v14, v15
.LBB94_3150:                            ;   in Loop: Header=BB94_17 Depth=1
	s_or_b64 exec, exec, s[68:69]
	s_andn2_b64 s[60:61], s[74:75], exec
	s_and_b64 s[62:63], s[70:71], exec
	s_andn2_b64 s[86:87], s[86:87], exec
	s_or_b64 vcc, vcc, exec
	s_or_b64 s[74:75], s[60:61], s[62:63]
.LBB94_3151:                            ;   in Loop: Header=BB94_17 Depth=1
	s_or_b64 exec, exec, s[66:67]
	s_and_b64 s[86:87], s[86:87], exec
	s_and_b64 s[72:73], vcc, exec
	s_and_b64 s[78:79], s[74:75], exec
                                        ; implicit-def: $vgpr14_vgpr15
.LBB94_3152:                            ;   in Loop: Header=BB94_17 Depth=1
	s_andn2_saveexec_b64 s[80:81], s[80:81]
	s_cbranch_execz .LBB94_3166
; %bb.3153:                             ;   in Loop: Header=BB94_17 Depth=1
	v_cmp_gt_i16_sdwa vcc, v7, v28 src0_sel:BYTE_0 src1_sel:DWORD
                                        ; implicit-def: $vgpr66
	s_and_saveexec_b64 s[60:61], vcc
	s_xor_b64 vcc, exec, s[60:61]
	s_cbranch_execz .LBB94_3159
; %bb.3154:                             ;   in Loop: Header=BB94_17 Depth=1
	v_cmp_gt_i16_sdwa s[60:61], v7, v29 src0_sel:BYTE_0 src1_sel:DWORD
                                        ; implicit-def: $vgpr66
	s_and_saveexec_b64 s[62:63], s[60:61]
	s_xor_b64 s[60:61], exec, s[62:63]
	s_cbranch_execz .LBB94_3156
; %bb.3155:                             ;   in Loop: Header=BB94_17 Depth=1
	flat_load_dword v14, v[14:15]
	s_waitcnt vmcnt(0) lgkmcnt(0)
	v_cvt_f32_u32_e32 v66, v14
                                        ; implicit-def: $vgpr14_vgpr15
.LBB94_3156:                            ;   in Loop: Header=BB94_17 Depth=1
	s_andn2_saveexec_b64 s[60:61], s[60:61]
	s_cbranch_execz .LBB94_3158
; %bb.3157:                             ;   in Loop: Header=BB94_17 Depth=1
	flat_load_ushort v14, v[14:15]
	s_waitcnt vmcnt(0) lgkmcnt(0)
	v_cvt_f32_u32_e32 v66, v14
.LBB94_3158:                            ;   in Loop: Header=BB94_17 Depth=1
	s_or_b64 exec, exec, s[60:61]
                                        ; implicit-def: $vgpr14_vgpr15
.LBB94_3159:                            ;   in Loop: Header=BB94_17 Depth=1
	s_andn2_saveexec_b64 s[74:75], vcc
	s_cbranch_execz .LBB94_3165
; %bb.3160:                             ;   in Loop: Header=BB94_17 Depth=1
	flat_load_ubyte v14, v[14:15]
	s_movk_i32 vcc_lo, 0x7f
	s_mov_b64 s[66:67], 0
                                        ; implicit-def: $sgpr70
	s_waitcnt vmcnt(0) lgkmcnt(0)
	v_cmp_lt_i16_e32 vcc, vcc_lo, v14
	s_and_saveexec_b64 s[60:61], vcc
	s_xor_b64 s[68:69], exec, s[60:61]
	s_cbranch_execnz .LBB94_3614
; %bb.3161:                             ;   in Loop: Header=BB94_17 Depth=1
	s_or_saveexec_b64 s[68:69], s[68:69]
	v_mov_b32_e32 v66, s70
	s_xor_b64 exec, exec, s[68:69]
	s_cbranch_execnz .LBB94_3617
.LBB94_3162:                            ;   in Loop: Header=BB94_17 Depth=1
	s_or_b64 exec, exec, s[68:69]
	s_and_saveexec_b64 s[68:69], s[66:67]
	s_cbranch_execz .LBB94_3164
.LBB94_3163:                            ;   in Loop: Header=BB94_17 Depth=1
	v_lshlrev_b32_e32 v15, 24, v14
	v_and_b32_e32 v14, 0xffff, v14
	v_and_b32_e32 v64, 7, v14
	v_ffbh_u32_e32 v67, v64
	v_min_u32_e32 v67, 32, v67
	v_subrev_u32_e32 v68, 28, v67
	v_bfe_u32 v66, v14, 3, 4
	v_lshlrev_b32_e32 v14, v68, v14
	v_sub_u32_e32 v67, 29, v67
	v_and_b32_e32 v14, 7, v14
	v_cmp_eq_u32_e32 vcc, 0, v66
	v_cndmask_b32_e32 v66, v66, v67, vcc
	v_cndmask_b32_e32 v14, v64, v14, vcc
	v_lshlrev_b32_e32 v14, 20, v14
	v_and_b32_e32 v15, 0x80000000, v15
	v_lshl_add_u32 v64, v66, 23, v30
	v_or3_b32 v66, v15, v64, v14
.LBB94_3164:                            ;   in Loop: Header=BB94_17 Depth=1
	s_or_b64 exec, exec, s[68:69]
.LBB94_3165:                            ;   in Loop: Header=BB94_17 Depth=1
	s_or_b64 exec, exec, s[74:75]
	s_andn2_b64 s[86:87], s[86:87], exec
	s_andn2_b64 s[72:73], s[72:73], exec
	s_or_b64 s[78:79], s[78:79], exec
.LBB94_3166:                            ;   in Loop: Header=BB94_17 Depth=1
	s_or_b64 exec, exec, s[80:81]
	s_and_b64 s[86:87], s[86:87], exec
	s_and_b64 s[80:81], s[72:73], exec
	;; [unrolled: 1-line block ×3, first 2 shown]
                                        ; implicit-def: $vgpr14_vgpr15
.LBB94_3167:                            ;   in Loop: Header=BB94_17 Depth=1
	s_andn2_saveexec_b64 s[90:91], s[90:91]
	s_cbranch_execz .LBB94_3193
; %bb.3168:                             ;   in Loop: Header=BB94_17 Depth=1
	v_cmp_gt_i16_sdwa vcc, v7, v31 src0_sel:BYTE_0 src1_sel:DWORD
	s_mov_b64 s[74:75], s[78:79]
                                        ; implicit-def: $vgpr66
	s_and_saveexec_b64 s[60:61], vcc
	s_xor_b64 s[72:73], exec, s[60:61]
	s_cbranch_execz .LBB94_3182
; %bb.3169:                             ;   in Loop: Header=BB94_17 Depth=1
	v_cmp_gt_i16_sdwa vcc, v7, v32 src0_sel:BYTE_0 src1_sel:DWORD
                                        ; implicit-def: $vgpr66
	s_and_saveexec_b64 s[60:61], vcc
	s_xor_b64 s[92:93], exec, s[60:61]
	s_cbranch_execz .LBB94_3179
; %bb.3170:                             ;   in Loop: Header=BB94_17 Depth=1
	v_cmp_gt_i16_sdwa vcc, v7, v33 src0_sel:BYTE_0 src1_sel:DWORD
                                        ; implicit-def: $vgpr66
	s_and_saveexec_b64 s[60:61], vcc
	s_xor_b64 s[74:75], exec, s[60:61]
	s_cbranch_execz .LBB94_3176
; %bb.3171:                             ;   in Loop: Header=BB94_17 Depth=1
	flat_load_ubyte v14, v[14:15]
	s_movk_i32 vcc_lo, 0x7f
	s_mov_b64 s[66:67], 0
                                        ; implicit-def: $sgpr70
	s_waitcnt vmcnt(0) lgkmcnt(0)
	v_cmp_lt_i16_e32 vcc, vcc_lo, v14
	s_and_saveexec_b64 s[60:61], vcc
	s_xor_b64 s[68:69], exec, s[60:61]
	s_cbranch_execnz .LBB94_3622
; %bb.3172:                             ;   in Loop: Header=BB94_17 Depth=1
	s_or_saveexec_b64 s[68:69], s[68:69]
	v_mov_b32_e32 v66, s70
	s_xor_b64 exec, exec, s[68:69]
	s_cbranch_execnz .LBB94_3625
.LBB94_3173:                            ;   in Loop: Header=BB94_17 Depth=1
	s_or_b64 exec, exec, s[68:69]
	s_and_saveexec_b64 s[68:69], s[66:67]
	s_cbranch_execz .LBB94_3175
.LBB94_3174:                            ;   in Loop: Header=BB94_17 Depth=1
	v_lshlrev_b32_e32 v15, 24, v14
	v_and_b32_e32 v14, 0xffff, v14
	v_and_b32_e32 v64, 3, v14
	v_ffbh_u32_e32 v67, v64
	v_min_u32_e32 v67, 32, v67
	v_subrev_u32_e32 v68, 29, v67
	v_bfe_u32 v66, v14, 2, 5
	v_lshlrev_b32_e32 v14, v68, v14
	v_sub_u32_e32 v67, 30, v67
	v_and_b32_e32 v14, 3, v14
	v_cmp_eq_u32_e32 vcc, 0, v66
	v_cndmask_b32_e32 v66, v66, v67, vcc
	v_cndmask_b32_e32 v14, v64, v14, vcc
	v_lshlrev_b32_e32 v14, 21, v14
	v_and_b32_e32 v15, 0x80000000, v15
	v_lshl_add_u32 v64, v66, 23, v34
	v_or3_b32 v66, v15, v64, v14
.LBB94_3175:                            ;   in Loop: Header=BB94_17 Depth=1
	s_or_b64 exec, exec, s[68:69]
                                        ; implicit-def: $vgpr14_vgpr15
.LBB94_3176:                            ;   in Loop: Header=BB94_17 Depth=1
	s_andn2_saveexec_b64 s[66:67], s[74:75]
	s_cbranch_execz .LBB94_3178
; %bb.3177:                             ;   in Loop: Header=BB94_17 Depth=1
	flat_load_ubyte v14, v[14:15]
	s_mov_b32 vcc_lo, 0x7f800000
	s_waitcnt vmcnt(0) lgkmcnt(0)
	v_lshlrev_b32_e32 v14, 24, v14
	v_and_b32_e32 v15, 0x7f000000, v14
	v_ffbh_u32_e32 v64, v15
	v_min_u32_e32 v64, 32, v64
	v_sub_u32_e64 v64, v64, 4 clamp
	v_lshlrev_b32_e32 v67, v64, v15
	v_lshlrev_b32_e32 v64, 23, v64
	v_lshrrev_b32_e32 v67, 4, v67
	v_add_u32_e32 v66, 0x1000000, v15
	v_sub_u32_e32 v64, v67, v64
	v_ashrrev_i32_e32 v66, 8, v66
	v_add_u32_e32 v64, 0x3c000000, v64
	v_and_or_b32 v64, v66, vcc_lo, v64
	v_cmp_ne_u32_e32 vcc, 0, v15
	v_cndmask_b32_e32 v15, 0, v64, vcc
	s_brev_b32 vcc_lo, 1
	v_and_or_b32 v66, v14, vcc_lo, v15
.LBB94_3178:                            ;   in Loop: Header=BB94_17 Depth=1
	s_or_b64 exec, exec, s[66:67]
                                        ; implicit-def: $vgpr14_vgpr15
.LBB94_3179:                            ;   in Loop: Header=BB94_17 Depth=1
	s_andn2_saveexec_b64 s[66:67], s[92:93]
	s_cbranch_execz .LBB94_3181
; %bb.3180:                             ;   in Loop: Header=BB94_17 Depth=1
	flat_load_ubyte v14, v[14:15]
	s_movk_i32 vcc_lo, 0x7f00
	s_waitcnt vmcnt(0) lgkmcnt(0)
	v_lshlrev_b16_e32 v15, 8, v14
	v_lshlrev_b32_e32 v14, 25, v14
	v_lshrrev_b32_e32 v64, 4, v14
	v_and_or_b32 v66, v15, vcc_lo, 0.5
	v_or_b32_e32 v64, 0x70000000, v64
	s_brev_b32 vcc_lo, 16
	v_add_f32_e32 v66, -0.5, v66
	v_mul_f32_e32 v64, 0x7800000, v64
	v_cmp_gt_u32_e32 vcc, vcc_lo, v14
	v_cndmask_b32_e32 v14, v64, v66, vcc
	v_bfe_i32 v15, v15, 0, 16
	s_brev_b32 vcc_lo, 1
	v_and_or_b32 v66, v15, vcc_lo, v14
.LBB94_3181:                            ;   in Loop: Header=BB94_17 Depth=1
	s_or_b64 exec, exec, s[66:67]
	s_or_b64 s[74:75], s[78:79], exec
                                        ; implicit-def: $vgpr14_vgpr15
.LBB94_3182:                            ;   in Loop: Header=BB94_17 Depth=1
	s_or_saveexec_b64 s[72:73], s[72:73]
                                        ; implicit-def: $vcc
                                        ; implicit-def: $sgpr68_sgpr69
	s_xor_b64 exec, exec, s[72:73]
	s_cbranch_execz .LBB94_3192
; %bb.3183:                             ;   in Loop: Header=BB94_17 Depth=1
	v_cmp_gt_i16_sdwa vcc, v7, v35 src0_sel:BYTE_0 src1_sel:DWORD
	s_mov_b64 s[66:67], s[74:75]
                                        ; implicit-def: $sgpr68_sgpr69
                                        ; implicit-def: $sgpr76_sgpr77
                                        ; implicit-def: $vgpr66
	s_and_saveexec_b64 s[60:61], vcc
	s_xor_b64 vcc, exec, s[60:61]
	s_cbranch_execz .LBB94_3187
; %bb.3184:                             ;   in Loop: Header=BB94_17 Depth=1
	v_cmp_eq_u16_sdwa s[62:63], v7, v36 src0_sel:BYTE_0 src1_sel:DWORD
	s_mov_b64 s[66:67], s[74:75]
                                        ; implicit-def: $vgpr66
	s_and_saveexec_b64 s[60:61], s[62:63]
	s_cbranch_execz .LBB94_3186
; %bb.3185:                             ;   in Loop: Header=BB94_17 Depth=1
	flat_load_ushort v14, v[14:15]
	s_or_b64 s[66:67], s[74:75], exec
	s_waitcnt vmcnt(0) lgkmcnt(0)
	v_lshlrev_b32_e32 v66, 16, v14
.LBB94_3186:                            ;   in Loop: Header=BB94_17 Depth=1
	s_or_b64 exec, exec, s[60:61]
	s_andn2_b64 s[60:61], s[74:75], exec
	s_and_b64 s[62:63], s[66:67], exec
	s_mov_b64 s[76:77], -1
	s_mov_b64 s[68:69], 0
	s_or_b64 s[66:67], s[60:61], s[62:63]
                                        ; implicit-def: $vgpr14_vgpr15
.LBB94_3187:                            ;   in Loop: Header=BB94_17 Depth=1
	s_andn2_saveexec_b64 s[70:71], vcc
	s_cbranch_execz .LBB94_3191
; %bb.3188:                             ;   in Loop: Header=BB94_17 Depth=1
	v_cmp_eq_u16_sdwa s[62:63], v7, v37 src0_sel:BYTE_0 src1_sel:DWORD
	s_mov_b64 vcc, s[66:67]
                                        ; implicit-def: $vgpr66
	s_and_saveexec_b64 s[60:61], s[62:63]
	s_cbranch_execz .LBB94_3190
; %bb.3189:                             ;   in Loop: Header=BB94_17 Depth=1
	flat_load_ubyte v14, v[14:15]
	s_waitcnt vmcnt(0) lgkmcnt(0)
	v_cmp_ne_u16_e32 vcc, 0, v14
	v_cndmask_b32_e64 v66, 0, 1.0, vcc
	s_or_b64 vcc, s[66:67], exec
.LBB94_3190:                            ;   in Loop: Header=BB94_17 Depth=1
	s_or_b64 exec, exec, s[60:61]
	s_andn2_b64 s[60:61], s[66:67], exec
	s_and_b64 vcc, vcc, exec
	s_andn2_b64 s[68:69], s[68:69], exec
	s_or_b64 s[76:77], s[76:77], exec
	s_or_b64 s[66:67], s[60:61], vcc
.LBB94_3191:                            ;   in Loop: Header=BB94_17 Depth=1
	s_or_b64 exec, exec, s[70:71]
	s_andn2_b64 s[60:61], s[74:75], exec
	s_and_b64 s[62:63], s[66:67], exec
	s_and_b64 s[68:69], s[68:69], exec
	s_and_b64 vcc, s[76:77], exec
	s_or_b64 s[74:75], s[60:61], s[62:63]
.LBB94_3192:                            ;   in Loop: Header=BB94_17 Depth=1
	s_or_b64 exec, exec, s[72:73]
	s_andn2_b64 s[60:61], s[86:87], exec
	s_and_b64 s[62:63], s[68:69], exec
	s_or_b64 s[86:87], s[60:61], s[62:63]
	s_andn2_b64 s[60:61], s[80:81], exec
	s_and_b64 vcc, vcc, exec
	s_or_b64 s[80:81], s[60:61], vcc
	s_andn2_b64 vcc, s[78:79], exec
	s_and_b64 s[60:61], s[74:75], exec
	s_or_b64 s[78:79], vcc, s[60:61]
.LBB94_3193:                            ;   in Loop: Header=BB94_17 Depth=1
	s_or_b64 exec, exec, s[90:91]
	s_and_b64 s[90:91], s[86:87], exec
	s_and_b64 s[92:93], s[80:81], exec
	s_and_b64 vcc, s[78:79], exec
                                        ; implicit-def: $vgpr14_vgpr15
	s_andn2_saveexec_b64 s[78:79], s[84:85]
	s_cbranch_execz .LBB94_3118
.LBB94_3194:                            ;   in Loop: Header=BB94_17 Depth=1
	v_cmp_gt_i16_sdwa s[60:61], v7, v38 src0_sel:BYTE_0 src1_sel:DWORD
                                        ; implicit-def: $vgpr66
	s_and_saveexec_b64 s[62:63], s[60:61]
	s_xor_b64 s[72:73], exec, s[62:63]
	s_cbranch_execz .LBB94_3216
; %bb.3195:                             ;   in Loop: Header=BB94_17 Depth=1
	v_cmp_gt_i16_sdwa s[60:61], v7, v39 src0_sel:BYTE_0 src1_sel:DWORD
                                        ; implicit-def: $vgpr66
	s_and_saveexec_b64 s[62:63], s[60:61]
	s_xor_b64 s[66:67], exec, s[62:63]
	s_cbranch_execz .LBB94_3205
; %bb.3196:                             ;   in Loop: Header=BB94_17 Depth=1
	;; [unrolled: 6-line block ×4, first 2 shown]
	flat_load_dwordx2 v[14:15], v[14:15]
	s_waitcnt vmcnt(0) lgkmcnt(0)
	v_cvt_f32_f64_e32 v66, v[14:15]
                                        ; implicit-def: $vgpr14_vgpr15
.LBB94_3199:                            ;   in Loop: Header=BB94_17 Depth=1
	s_andn2_saveexec_b64 s[60:61], s[60:61]
	s_cbranch_execz .LBB94_3201
; %bb.3200:                             ;   in Loop: Header=BB94_17 Depth=1
	flat_load_dword v66, v[14:15]
.LBB94_3201:                            ;   in Loop: Header=BB94_17 Depth=1
	s_or_b64 exec, exec, s[60:61]
                                        ; implicit-def: $vgpr14_vgpr15
.LBB94_3202:                            ;   in Loop: Header=BB94_17 Depth=1
	s_andn2_saveexec_b64 s[60:61], s[68:69]
	s_cbranch_execz .LBB94_3204
; %bb.3203:                             ;   in Loop: Header=BB94_17 Depth=1
	flat_load_dword v14, v[14:15]
	s_waitcnt vmcnt(0) lgkmcnt(0)
	v_cvt_f32_f16_e32 v66, v14
.LBB94_3204:                            ;   in Loop: Header=BB94_17 Depth=1
	s_or_b64 exec, exec, s[60:61]
                                        ; implicit-def: $vgpr14_vgpr15
.LBB94_3205:                            ;   in Loop: Header=BB94_17 Depth=1
	s_andn2_saveexec_b64 s[66:67], s[66:67]
	s_cbranch_execz .LBB94_3215
; %bb.3206:                             ;   in Loop: Header=BB94_17 Depth=1
	v_cmp_gt_i16_sdwa s[60:61], v7, v50 src0_sel:BYTE_0 src1_sel:DWORD
                                        ; implicit-def: $vgpr66
	s_and_saveexec_b64 s[62:63], s[60:61]
	s_xor_b64 s[68:69], exec, s[62:63]
	s_cbranch_execz .LBB94_3212
; %bb.3207:                             ;   in Loop: Header=BB94_17 Depth=1
	v_cmp_gt_i16_sdwa s[60:61], v7, v51 src0_sel:BYTE_0 src1_sel:DWORD
                                        ; implicit-def: $vgpr66
	s_and_saveexec_b64 s[62:63], s[60:61]
	s_xor_b64 s[60:61], exec, s[62:63]
	s_cbranch_execz .LBB94_3209
; %bb.3208:                             ;   in Loop: Header=BB94_17 Depth=1
	flat_load_dwordx2 v[14:15], v[14:15]
	s_waitcnt vmcnt(0) lgkmcnt(0)
	v_cvt_f32_f64_e32 v66, v[14:15]
                                        ; implicit-def: $vgpr14_vgpr15
.LBB94_3209:                            ;   in Loop: Header=BB94_17 Depth=1
	s_andn2_saveexec_b64 s[60:61], s[60:61]
	s_cbranch_execz .LBB94_3211
; %bb.3210:                             ;   in Loop: Header=BB94_17 Depth=1
	s_waitcnt vmcnt(0) lgkmcnt(0)
	flat_load_dword v66, v[14:15]
.LBB94_3211:                            ;   in Loop: Header=BB94_17 Depth=1
	s_or_b64 exec, exec, s[60:61]
                                        ; implicit-def: $vgpr14_vgpr15
.LBB94_3212:                            ;   in Loop: Header=BB94_17 Depth=1
	s_andn2_saveexec_b64 s[60:61], s[68:69]
	s_cbranch_execz .LBB94_3214
; %bb.3213:                             ;   in Loop: Header=BB94_17 Depth=1
	flat_load_ushort v14, v[14:15]
	s_waitcnt vmcnt(0) lgkmcnt(0)
	v_cvt_f32_f16_e32 v66, v14
.LBB94_3214:                            ;   in Loop: Header=BB94_17 Depth=1
	s_or_b64 exec, exec, s[60:61]
.LBB94_3215:                            ;   in Loop: Header=BB94_17 Depth=1
	s_or_b64 exec, exec, s[66:67]
                                        ; implicit-def: $vgpr14_vgpr15
.LBB94_3216:                            ;   in Loop: Header=BB94_17 Depth=1
	s_andn2_saveexec_b64 s[72:73], s[72:73]
	s_cbranch_execz .LBB94_3234
; %bb.3217:                             ;   in Loop: Header=BB94_17 Depth=1
	v_cmp_gt_i16_sdwa s[60:61], v7, v52 src0_sel:BYTE_0 src1_sel:DWORD
                                        ; implicit-def: $vgpr66
	s_and_saveexec_b64 s[62:63], s[60:61]
	s_xor_b64 s[74:75], exec, s[62:63]
	s_cbranch_execz .LBB94_3227
; %bb.3218:                             ;   in Loop: Header=BB94_17 Depth=1
	v_cmp_gt_i16_sdwa s[60:61], v7, v53 src0_sel:BYTE_0 src1_sel:DWORD
                                        ; implicit-def: $vgpr66
	s_and_saveexec_b64 s[62:63], s[60:61]
	s_xor_b64 s[66:67], exec, s[62:63]
	s_cbranch_execz .LBB94_3224
; %bb.3219:                             ;   in Loop: Header=BB94_17 Depth=1
	v_cmp_gt_i16_sdwa s[60:61], v7, v54 src0_sel:BYTE_0 src1_sel:DWORD
                                        ; implicit-def: $vgpr66
	s_and_saveexec_b64 s[62:63], s[60:61]
	s_xor_b64 s[68:69], exec, s[62:63]
	s_cbranch_execz .LBB94_3221
; %bb.3220:                             ;   in Loop: Header=BB94_17 Depth=1
	flat_load_dwordx2 v[14:15], v[14:15]
	s_waitcnt vmcnt(0) lgkmcnt(0)
	v_xor_b32_e32 v66, v14, v15
	v_ffbh_i32_e32 v64, v15
	v_ashrrev_i32_e32 v66, 31, v66
	v_add_u32_e32 v64, -1, v64
	v_add_u32_e32 v66, 32, v66
	v_min_u32_e32 v64, v64, v66
	v_lshlrev_b64 v[14:15], v64, v[14:15]
	v_min_u32_e32 v14, 1, v14
	v_or_b32_e32 v14, v15, v14
	v_cvt_f32_i32_e32 v14, v14
	v_sub_u32_e32 v15, 32, v64
	v_ldexp_f32 v66, v14, v15
                                        ; implicit-def: $vgpr14_vgpr15
.LBB94_3221:                            ;   in Loop: Header=BB94_17 Depth=1
	s_andn2_saveexec_b64 s[60:61], s[68:69]
	s_cbranch_execz .LBB94_3223
; %bb.3222:                             ;   in Loop: Header=BB94_17 Depth=1
	flat_load_dword v14, v[14:15]
	s_waitcnt vmcnt(0) lgkmcnt(0)
	v_cvt_f32_i32_e32 v66, v14
.LBB94_3223:                            ;   in Loop: Header=BB94_17 Depth=1
	s_or_b64 exec, exec, s[60:61]
                                        ; implicit-def: $vgpr14_vgpr15
.LBB94_3224:                            ;   in Loop: Header=BB94_17 Depth=1
	s_andn2_saveexec_b64 s[60:61], s[66:67]
	s_cbranch_execz .LBB94_3226
; %bb.3225:                             ;   in Loop: Header=BB94_17 Depth=1
	flat_load_sshort v14, v[14:15]
	s_waitcnt vmcnt(0) lgkmcnt(0)
	v_cvt_f32_i32_e32 v66, v14
.LBB94_3226:                            ;   in Loop: Header=BB94_17 Depth=1
	s_or_b64 exec, exec, s[60:61]
                                        ; implicit-def: $vgpr14_vgpr15
.LBB94_3227:                            ;   in Loop: Header=BB94_17 Depth=1
	s_andn2_saveexec_b64 s[66:67], s[74:75]
	s_cbranch_execz .LBB94_3233
; %bb.3228:                             ;   in Loop: Header=BB94_17 Depth=1
	v_cmp_gt_i16_sdwa s[60:61], v7, v16 src0_sel:BYTE_0 src1_sel:DWORD
                                        ; implicit-def: $vgpr66
	s_and_saveexec_b64 s[62:63], s[60:61]
	s_xor_b64 s[60:61], exec, s[62:63]
	s_cbranch_execz .LBB94_3230
; %bb.3229:                             ;   in Loop: Header=BB94_17 Depth=1
	flat_load_sbyte v14, v[14:15]
	s_waitcnt vmcnt(0) lgkmcnt(0)
	v_cvt_f32_i32_e32 v66, v14
                                        ; implicit-def: $vgpr14_vgpr15
.LBB94_3230:                            ;   in Loop: Header=BB94_17 Depth=1
	s_andn2_saveexec_b64 s[60:61], s[60:61]
	s_cbranch_execz .LBB94_3232
; %bb.3231:                             ;   in Loop: Header=BB94_17 Depth=1
	flat_load_ubyte v14, v[14:15]
	s_waitcnt vmcnt(0) lgkmcnt(0)
	v_cvt_f32_ubyte0_e32 v66, v14
.LBB94_3232:                            ;   in Loop: Header=BB94_17 Depth=1
	s_or_b64 exec, exec, s[60:61]
.LBB94_3233:                            ;   in Loop: Header=BB94_17 Depth=1
	s_or_b64 exec, exec, s[66:67]
.LBB94_3234:                            ;   in Loop: Header=BB94_17 Depth=1
	s_or_b64 exec, exec, s[72:73]
	s_andn2_b64 s[90:91], s[90:91], exec
	s_andn2_b64 s[92:93], s[92:93], exec
	s_or_b64 vcc, vcc, exec
	s_or_b64 exec, exec, s[78:79]
	s_mov_b64 s[66:67], 0
	s_and_saveexec_b64 s[84:85], vcc
	s_cbranch_execz .LBB94_3340
.LBB94_3235:                            ;   in Loop: Header=BB94_17 Depth=1
	v_mul_lo_u32 v14, v65, v10
	v_readlane_b32 s60, v44, 0
	v_add_co_u32_e32 v14, vcc, v4, v14
	v_add_u32_e32 v64, s60, v17
	v_addc_co_u32_e32 v15, vcc, 0, v5, vcc
	v_cmp_gt_i16_sdwa s[60:61], v8, v18 src0_sel:BYTE_0 src1_sel:DWORD
	s_mov_b64 s[78:79], 0
	s_waitcnt vmcnt(0) lgkmcnt(0)
	buffer_store_dword v66, v64, s[0:3], 0 offen offset:116
                                        ; implicit-def: $vcc
                                        ; implicit-def: $sgpr86_sgpr87
                                        ; implicit-def: $vgpr65
	s_and_saveexec_b64 s[62:63], s[60:61]
	s_xor_b64 s[62:63], exec, s[62:63]
	v_writelane_b32 v44, s62, 40
	v_writelane_b32 v44, s63, 41
	s_cbranch_execz .LBB94_3295
; %bb.3236:                             ;   in Loop: Header=BB94_17 Depth=1
	v_cmp_gt_i16_sdwa vcc, v8, v19 src0_sel:BYTE_0 src1_sel:DWORD
                                        ; implicit-def: $sgpr62_sgpr63
                                        ; implicit-def: $sgpr86_sgpr87
                                        ; implicit-def: $vgpr65
	s_and_saveexec_b64 s[60:61], vcc
	s_xor_b64 s[76:77], exec, s[60:61]
	s_cbranch_execz .LBB94_3268
; %bb.3237:                             ;   in Loop: Header=BB94_17 Depth=1
	v_cmp_gt_i16_sdwa vcc, v8, v20 src0_sel:BYTE_0 src1_sel:DWORD
                                        ; implicit-def: $sgpr72_sgpr73
                                        ; implicit-def: $sgpr86_sgpr87
                                        ; implicit-def: $vgpr65
	s_and_saveexec_b64 s[60:61], vcc
	s_xor_b64 s[80:81], exec, s[60:61]
	s_cbranch_execz .LBB94_3253
; %bb.3238:                             ;   in Loop: Header=BB94_17 Depth=1
	v_cmp_gt_i16_sdwa s[60:61], v8, v21 src0_sel:BYTE_0 src1_sel:DWORD
	s_mov_b64 s[74:75], 0
                                        ; implicit-def: $vcc
                                        ; implicit-def: $sgpr86_sgpr87
                                        ; implicit-def: $vgpr65
	s_and_saveexec_b64 s[62:63], s[60:61]
	s_xor_b64 s[72:73], exec, s[62:63]
	s_cbranch_execz .LBB94_3248
; %bb.3239:                             ;   in Loop: Header=BB94_17 Depth=1
	v_cmp_gt_i16_sdwa vcc, v8, v22 src0_sel:BYTE_0 src1_sel:DWORD
                                        ; implicit-def: $sgpr86_sgpr87
                                        ; implicit-def: $sgpr74_sgpr75
                                        ; implicit-def: $vgpr65
	s_and_saveexec_b64 s[60:61], vcc
	s_xor_b64 vcc, exec, s[60:61]
	s_cbranch_execz .LBB94_3243
; %bb.3240:                             ;   in Loop: Header=BB94_17 Depth=1
	v_cmp_eq_u16_sdwa s[62:63], v8, v23 src0_sel:BYTE_0 src1_sel:DWORD
	s_mov_b64 s[74:75], 0
                                        ; implicit-def: $vgpr65
	s_and_saveexec_b64 s[60:61], s[62:63]
	s_cbranch_execz .LBB94_3242
; %bb.3241:                             ;   in Loop: Header=BB94_17 Depth=1
	flat_load_dword v14, v[14:15]
	s_mov_b64 s[66:67], exec
	s_waitcnt vmcnt(0) lgkmcnt(0)
	v_lshlrev_b32_e32 v65, 16, v14
.LBB94_3242:                            ;   in Loop: Header=BB94_17 Depth=1
	s_or_b64 exec, exec, s[60:61]
	s_mov_b64 s[86:87], -1
	s_and_b64 s[78:79], s[66:67], exec
                                        ; implicit-def: $vgpr14_vgpr15
.LBB94_3243:                            ;   in Loop: Header=BB94_17 Depth=1
	s_andn2_saveexec_b64 s[66:67], vcc
	s_cbranch_execz .LBB94_3247
; %bb.3244:                             ;   in Loop: Header=BB94_17 Depth=1
	v_cmp_eq_u16_sdwa s[60:61], v8, v24 src0_sel:BYTE_0 src1_sel:DWORD
	s_mov_b64 vcc, s[78:79]
                                        ; implicit-def: $vgpr65
	s_and_saveexec_b64 s[68:69], s[60:61]
	s_cbranch_execz .LBB94_3246
; %bb.3245:                             ;   in Loop: Header=BB94_17 Depth=1
	flat_load_ubyte v14, v[14:15]
	s_movk_i32 vcc_lo, 0xff
	s_waitcnt vmcnt(0) lgkmcnt(0)
	v_lshlrev_b32_e32 v15, 23, v14
	v_cmp_ne_u32_e32 vcc, vcc_lo, v14
	v_cndmask_b32_e32 v15, v25, v15, vcc
	v_cmp_ne_u32_e32 vcc, 0, v14
	v_cndmask_b32_e32 v65, v26, v15, vcc
	s_or_b64 vcc, s[78:79], exec
.LBB94_3246:                            ;   in Loop: Header=BB94_17 Depth=1
	s_or_b64 exec, exec, s[68:69]
	s_andn2_b64 s[60:61], s[78:79], exec
	s_and_b64 vcc, vcc, exec
	s_or_b64 s[86:87], s[86:87], exec
	s_andn2_b64 s[74:75], s[74:75], exec
	s_or_b64 s[78:79], s[60:61], vcc
.LBB94_3247:                            ;   in Loop: Header=BB94_17 Depth=1
	s_or_b64 exec, exec, s[66:67]
	s_and_b64 s[86:87], s[86:87], exec
	s_and_b64 vcc, s[74:75], exec
	s_and_b64 s[74:75], s[78:79], exec
                                        ; implicit-def: $vgpr14_vgpr15
.LBB94_3248:                            ;   in Loop: Header=BB94_17 Depth=1
	s_andn2_saveexec_b64 s[66:67], s[72:73]
	s_cbranch_execz .LBB94_3252
; %bb.3249:                             ;   in Loop: Header=BB94_17 Depth=1
	v_cmp_eq_u16_sdwa s[60:61], v8, v27 src0_sel:BYTE_0 src1_sel:DWORD
	s_mov_b64 s[70:71], s[74:75]
                                        ; implicit-def: $vgpr65
	s_and_saveexec_b64 s[68:69], s[60:61]
	s_cbranch_execz .LBB94_3251
; %bb.3250:                             ;   in Loop: Header=BB94_17 Depth=1
	flat_load_dwordx2 v[14:15], v[14:15]
	s_or_b64 s[70:71], s[74:75], exec
	s_waitcnt vmcnt(0) lgkmcnt(0)
	v_ffbh_u32_e32 v65, v15
	v_min_u32_e32 v65, 32, v65
	v_lshlrev_b64 v[14:15], v65, v[14:15]
	v_min_u32_e32 v14, 1, v14
	v_or_b32_e32 v14, v15, v14
	v_cvt_f32_u32_e32 v14, v14
	v_sub_u32_e32 v15, 32, v65
	v_ldexp_f32 v65, v14, v15
.LBB94_3251:                            ;   in Loop: Header=BB94_17 Depth=1
	s_or_b64 exec, exec, s[68:69]
	s_andn2_b64 s[60:61], s[74:75], exec
	s_and_b64 s[62:63], s[70:71], exec
	s_or_b64 s[86:87], s[86:87], exec
	s_andn2_b64 vcc, vcc, exec
	s_or_b64 s[74:75], s[60:61], s[62:63]
.LBB94_3252:                            ;   in Loop: Header=BB94_17 Depth=1
	s_or_b64 exec, exec, s[66:67]
	s_and_b64 s[86:87], s[86:87], exec
	s_and_b64 s[72:73], vcc, exec
	s_and_b64 s[78:79], s[74:75], exec
                                        ; implicit-def: $vgpr14_vgpr15
.LBB94_3253:                            ;   in Loop: Header=BB94_17 Depth=1
	s_andn2_saveexec_b64 s[80:81], s[80:81]
	s_cbranch_execz .LBB94_3267
; %bb.3254:                             ;   in Loop: Header=BB94_17 Depth=1
	v_cmp_gt_i16_sdwa vcc, v8, v28 src0_sel:BYTE_0 src1_sel:DWORD
                                        ; implicit-def: $vgpr65
	s_and_saveexec_b64 s[60:61], vcc
	s_xor_b64 vcc, exec, s[60:61]
	s_cbranch_execz .LBB94_3260
; %bb.3255:                             ;   in Loop: Header=BB94_17 Depth=1
	v_cmp_gt_i16_sdwa s[60:61], v8, v29 src0_sel:BYTE_0 src1_sel:DWORD
                                        ; implicit-def: $vgpr65
	s_and_saveexec_b64 s[62:63], s[60:61]
	s_xor_b64 s[60:61], exec, s[62:63]
	s_cbranch_execz .LBB94_3257
; %bb.3256:                             ;   in Loop: Header=BB94_17 Depth=1
	flat_load_dword v14, v[14:15]
	s_waitcnt vmcnt(0) lgkmcnt(0)
	v_cvt_f32_u32_e32 v65, v14
                                        ; implicit-def: $vgpr14_vgpr15
.LBB94_3257:                            ;   in Loop: Header=BB94_17 Depth=1
	s_andn2_saveexec_b64 s[60:61], s[60:61]
	s_cbranch_execz .LBB94_3259
; %bb.3258:                             ;   in Loop: Header=BB94_17 Depth=1
	flat_load_ushort v14, v[14:15]
	s_waitcnt vmcnt(0) lgkmcnt(0)
	v_cvt_f32_u32_e32 v65, v14
.LBB94_3259:                            ;   in Loop: Header=BB94_17 Depth=1
	s_or_b64 exec, exec, s[60:61]
                                        ; implicit-def: $vgpr14_vgpr15
.LBB94_3260:                            ;   in Loop: Header=BB94_17 Depth=1
	s_andn2_saveexec_b64 s[74:75], vcc
	s_cbranch_execz .LBB94_3266
; %bb.3261:                             ;   in Loop: Header=BB94_17 Depth=1
	flat_load_ubyte v14, v[14:15]
	s_movk_i32 vcc_lo, 0x7f
	s_mov_b64 s[66:67], 0
                                        ; implicit-def: $sgpr70
	s_waitcnt vmcnt(0) lgkmcnt(0)
	v_cmp_lt_i16_e32 vcc, vcc_lo, v14
	s_and_saveexec_b64 s[60:61], vcc
	s_xor_b64 s[68:69], exec, s[60:61]
	s_cbranch_execnz .LBB94_3626
; %bb.3262:                             ;   in Loop: Header=BB94_17 Depth=1
	s_or_saveexec_b64 s[68:69], s[68:69]
	v_mov_b32_e32 v65, s70
	s_xor_b64 exec, exec, s[68:69]
	s_cbranch_execnz .LBB94_3629
.LBB94_3263:                            ;   in Loop: Header=BB94_17 Depth=1
	s_or_b64 exec, exec, s[68:69]
	s_and_saveexec_b64 s[68:69], s[66:67]
	s_cbranch_execz .LBB94_3265
.LBB94_3264:                            ;   in Loop: Header=BB94_17 Depth=1
	v_lshlrev_b32_e32 v15, 24, v14
	v_and_b32_e32 v14, 0xffff, v14
	v_and_b32_e32 v65, 7, v14
	v_ffbh_u32_e32 v67, v65
	v_min_u32_e32 v67, 32, v67
	v_subrev_u32_e32 v68, 28, v67
	v_bfe_u32 v66, v14, 3, 4
	v_lshlrev_b32_e32 v14, v68, v14
	v_sub_u32_e32 v67, 29, v67
	v_and_b32_e32 v14, 7, v14
	v_cmp_eq_u32_e32 vcc, 0, v66
	v_cndmask_b32_e32 v66, v66, v67, vcc
	v_cndmask_b32_e32 v14, v65, v14, vcc
	v_lshlrev_b32_e32 v14, 20, v14
	v_and_b32_e32 v15, 0x80000000, v15
	v_lshl_add_u32 v65, v66, 23, v30
	v_or3_b32 v65, v15, v65, v14
.LBB94_3265:                            ;   in Loop: Header=BB94_17 Depth=1
	s_or_b64 exec, exec, s[68:69]
.LBB94_3266:                            ;   in Loop: Header=BB94_17 Depth=1
	s_or_b64 exec, exec, s[74:75]
	s_andn2_b64 s[86:87], s[86:87], exec
	s_andn2_b64 s[72:73], s[72:73], exec
	s_or_b64 s[78:79], s[78:79], exec
.LBB94_3267:                            ;   in Loop: Header=BB94_17 Depth=1
	s_or_b64 exec, exec, s[80:81]
	s_and_b64 s[86:87], s[86:87], exec
	s_and_b64 s[62:63], s[72:73], exec
	;; [unrolled: 1-line block ×3, first 2 shown]
                                        ; implicit-def: $vgpr14_vgpr15
.LBB94_3268:                            ;   in Loop: Header=BB94_17 Depth=1
	s_andn2_saveexec_b64 s[80:81], s[76:77]
	s_cbranch_execz .LBB94_3294
; %bb.3269:                             ;   in Loop: Header=BB94_17 Depth=1
	v_writelane_b32 v44, s62, 42
	v_cmp_gt_i16_sdwa vcc, v8, v31 src0_sel:BYTE_0 src1_sel:DWORD
	s_mov_b64 s[74:75], s[78:79]
	v_writelane_b32 v44, s63, 43
                                        ; implicit-def: $vgpr65
	s_and_saveexec_b64 s[60:61], vcc
	s_xor_b64 s[72:73], exec, s[60:61]
	s_cbranch_execz .LBB94_3283
; %bb.3270:                             ;   in Loop: Header=BB94_17 Depth=1
	v_cmp_gt_i16_sdwa vcc, v8, v32 src0_sel:BYTE_0 src1_sel:DWORD
                                        ; implicit-def: $vgpr65
	s_and_saveexec_b64 s[60:61], vcc
	s_xor_b64 s[62:63], exec, s[60:61]
	s_cbranch_execz .LBB94_3280
; %bb.3271:                             ;   in Loop: Header=BB94_17 Depth=1
	v_cmp_gt_i16_sdwa vcc, v8, v33 src0_sel:BYTE_0 src1_sel:DWORD
                                        ; implicit-def: $vgpr65
	s_and_saveexec_b64 s[60:61], vcc
	s_xor_b64 s[74:75], exec, s[60:61]
	s_cbranch_execz .LBB94_3277
; %bb.3272:                             ;   in Loop: Header=BB94_17 Depth=1
	flat_load_ubyte v14, v[14:15]
	s_movk_i32 vcc_lo, 0x7f
	s_mov_b64 s[66:67], 0
                                        ; implicit-def: $sgpr70
	s_waitcnt vmcnt(0) lgkmcnt(0)
	v_cmp_lt_i16_e32 vcc, vcc_lo, v14
	s_and_saveexec_b64 s[60:61], vcc
	s_xor_b64 s[68:69], exec, s[60:61]
	s_cbranch_execnz .LBB94_3634
; %bb.3273:                             ;   in Loop: Header=BB94_17 Depth=1
	s_or_saveexec_b64 s[68:69], s[68:69]
	v_mov_b32_e32 v65, s70
	s_xor_b64 exec, exec, s[68:69]
	s_cbranch_execnz .LBB94_3637
.LBB94_3274:                            ;   in Loop: Header=BB94_17 Depth=1
	s_or_b64 exec, exec, s[68:69]
	s_and_saveexec_b64 s[68:69], s[66:67]
	s_cbranch_execz .LBB94_3276
.LBB94_3275:                            ;   in Loop: Header=BB94_17 Depth=1
	v_lshlrev_b32_e32 v15, 24, v14
	v_and_b32_e32 v14, 0xffff, v14
	v_and_b32_e32 v65, 3, v14
	v_ffbh_u32_e32 v67, v65
	v_min_u32_e32 v67, 32, v67
	v_subrev_u32_e32 v68, 29, v67
	v_bfe_u32 v66, v14, 2, 5
	v_lshlrev_b32_e32 v14, v68, v14
	v_sub_u32_e32 v67, 30, v67
	v_and_b32_e32 v14, 3, v14
	v_cmp_eq_u32_e32 vcc, 0, v66
	v_cndmask_b32_e32 v66, v66, v67, vcc
	v_cndmask_b32_e32 v14, v65, v14, vcc
	v_lshlrev_b32_e32 v14, 21, v14
	v_and_b32_e32 v15, 0x80000000, v15
	v_lshl_add_u32 v65, v66, 23, v34
	v_or3_b32 v65, v15, v65, v14
.LBB94_3276:                            ;   in Loop: Header=BB94_17 Depth=1
	s_or_b64 exec, exec, s[68:69]
                                        ; implicit-def: $vgpr14_vgpr15
.LBB94_3277:                            ;   in Loop: Header=BB94_17 Depth=1
	s_andn2_saveexec_b64 s[66:67], s[74:75]
	s_cbranch_execz .LBB94_3279
; %bb.3278:                             ;   in Loop: Header=BB94_17 Depth=1
	flat_load_ubyte v14, v[14:15]
	s_mov_b32 vcc_lo, 0x7f800000
	s_waitcnt vmcnt(0) lgkmcnt(0)
	v_lshlrev_b32_e32 v14, 24, v14
	v_and_b32_e32 v15, 0x7f000000, v14
	v_ffbh_u32_e32 v65, v15
	v_min_u32_e32 v65, 32, v65
	v_sub_u32_e64 v65, v65, 4 clamp
	v_lshlrev_b32_e32 v67, v65, v15
	v_lshlrev_b32_e32 v65, 23, v65
	v_lshrrev_b32_e32 v67, 4, v67
	v_add_u32_e32 v66, 0x1000000, v15
	v_sub_u32_e32 v65, v67, v65
	v_ashrrev_i32_e32 v66, 8, v66
	v_add_u32_e32 v65, 0x3c000000, v65
	v_and_or_b32 v65, v66, vcc_lo, v65
	v_cmp_ne_u32_e32 vcc, 0, v15
	v_cndmask_b32_e32 v15, 0, v65, vcc
	s_brev_b32 vcc_lo, 1
	v_and_or_b32 v65, v14, vcc_lo, v15
.LBB94_3279:                            ;   in Loop: Header=BB94_17 Depth=1
	s_or_b64 exec, exec, s[66:67]
                                        ; implicit-def: $vgpr14_vgpr15
.LBB94_3280:                            ;   in Loop: Header=BB94_17 Depth=1
	s_andn2_saveexec_b64 s[66:67], s[62:63]
	s_cbranch_execz .LBB94_3282
; %bb.3281:                             ;   in Loop: Header=BB94_17 Depth=1
	flat_load_ubyte v14, v[14:15]
	s_movk_i32 vcc_lo, 0x7f00
	s_waitcnt vmcnt(0) lgkmcnt(0)
	v_lshlrev_b16_e32 v15, 8, v14
	v_lshlrev_b32_e32 v14, 25, v14
	v_lshrrev_b32_e32 v65, 4, v14
	v_and_or_b32 v66, v15, vcc_lo, 0.5
	v_or_b32_e32 v65, 0x70000000, v65
	s_brev_b32 vcc_lo, 16
	v_add_f32_e32 v66, -0.5, v66
	v_mul_f32_e32 v65, 0x7800000, v65
	v_cmp_gt_u32_e32 vcc, vcc_lo, v14
	v_cndmask_b32_e32 v14, v65, v66, vcc
	v_bfe_i32 v15, v15, 0, 16
	s_brev_b32 vcc_lo, 1
	v_and_or_b32 v65, v15, vcc_lo, v14
.LBB94_3282:                            ;   in Loop: Header=BB94_17 Depth=1
	s_or_b64 exec, exec, s[66:67]
	s_or_b64 s[74:75], s[78:79], exec
                                        ; implicit-def: $vgpr14_vgpr15
.LBB94_3283:                            ;   in Loop: Header=BB94_17 Depth=1
	s_or_saveexec_b64 s[72:73], s[72:73]
                                        ; implicit-def: $vcc
                                        ; implicit-def: $sgpr68_sgpr69
	s_xor_b64 exec, exec, s[72:73]
	s_cbranch_execz .LBB94_3293
; %bb.3284:                             ;   in Loop: Header=BB94_17 Depth=1
	v_cmp_gt_i16_sdwa vcc, v8, v35 src0_sel:BYTE_0 src1_sel:DWORD
	s_mov_b64 s[66:67], s[74:75]
                                        ; implicit-def: $sgpr68_sgpr69
                                        ; implicit-def: $sgpr76_sgpr77
                                        ; implicit-def: $vgpr65
	s_and_saveexec_b64 s[60:61], vcc
	s_xor_b64 vcc, exec, s[60:61]
	s_cbranch_execz .LBB94_3288
; %bb.3285:                             ;   in Loop: Header=BB94_17 Depth=1
	v_cmp_eq_u16_sdwa s[62:63], v8, v36 src0_sel:BYTE_0 src1_sel:DWORD
	s_mov_b64 s[66:67], s[74:75]
                                        ; implicit-def: $vgpr65
	s_and_saveexec_b64 s[60:61], s[62:63]
	s_cbranch_execz .LBB94_3287
; %bb.3286:                             ;   in Loop: Header=BB94_17 Depth=1
	flat_load_ushort v14, v[14:15]
	s_or_b64 s[66:67], s[74:75], exec
	s_waitcnt vmcnt(0) lgkmcnt(0)
	v_lshlrev_b32_e32 v65, 16, v14
.LBB94_3287:                            ;   in Loop: Header=BB94_17 Depth=1
	s_or_b64 exec, exec, s[60:61]
	s_andn2_b64 s[60:61], s[74:75], exec
	s_and_b64 s[62:63], s[66:67], exec
	s_mov_b64 s[76:77], 0
	s_mov_b64 s[68:69], -1
	s_or_b64 s[66:67], s[60:61], s[62:63]
                                        ; implicit-def: $vgpr14_vgpr15
.LBB94_3288:                            ;   in Loop: Header=BB94_17 Depth=1
	s_andn2_saveexec_b64 s[70:71], vcc
	s_cbranch_execz .LBB94_3292
; %bb.3289:                             ;   in Loop: Header=BB94_17 Depth=1
	v_cmp_eq_u16_sdwa s[62:63], v8, v37 src0_sel:BYTE_0 src1_sel:DWORD
	s_mov_b64 vcc, s[66:67]
                                        ; implicit-def: $vgpr65
	s_and_saveexec_b64 s[60:61], s[62:63]
	s_cbranch_execz .LBB94_3291
; %bb.3290:                             ;   in Loop: Header=BB94_17 Depth=1
	flat_load_ubyte v14, v[14:15]
	s_waitcnt vmcnt(0) lgkmcnt(0)
	v_cmp_ne_u16_e32 vcc, 0, v14
	v_cndmask_b32_e64 v65, 0, 1.0, vcc
	s_or_b64 vcc, s[66:67], exec
.LBB94_3291:                            ;   in Loop: Header=BB94_17 Depth=1
	s_or_b64 exec, exec, s[60:61]
	s_andn2_b64 s[60:61], s[66:67], exec
	s_and_b64 vcc, vcc, exec
	s_or_b64 s[68:69], s[68:69], exec
	s_andn2_b64 s[76:77], s[76:77], exec
	s_or_b64 s[66:67], s[60:61], vcc
.LBB94_3292:                            ;   in Loop: Header=BB94_17 Depth=1
	s_or_b64 exec, exec, s[70:71]
	s_andn2_b64 s[60:61], s[74:75], exec
	s_and_b64 s[62:63], s[66:67], exec
	s_and_b64 s[68:69], s[68:69], exec
	s_and_b64 vcc, s[76:77], exec
	s_or_b64 s[74:75], s[60:61], s[62:63]
.LBB94_3293:                            ;   in Loop: Header=BB94_17 Depth=1
	s_or_b64 exec, exec, s[72:73]
	s_andn2_b64 s[60:61], s[86:87], exec
	s_and_b64 s[62:63], s[68:69], exec
	s_or_b64 s[86:87], s[60:61], s[62:63]
	v_readlane_b32 s60, v44, 42
	v_readlane_b32 s61, v44, 43
	s_andn2_b64 s[60:61], s[60:61], exec
	s_and_b64 vcc, vcc, exec
	s_or_b64 s[62:63], s[60:61], vcc
	s_andn2_b64 vcc, s[78:79], exec
	s_and_b64 s[60:61], s[74:75], exec
	s_or_b64 s[78:79], vcc, s[60:61]
.LBB94_3294:                            ;   in Loop: Header=BB94_17 Depth=1
	s_or_b64 exec, exec, s[80:81]
	s_and_b64 s[86:87], s[86:87], exec
	s_and_b64 vcc, s[62:63], exec
	s_and_b64 s[78:79], s[78:79], exec
                                        ; implicit-def: $vgpr14_vgpr15
.LBB94_3295:                            ;   in Loop: Header=BB94_17 Depth=1
	v_readlane_b32 s60, v44, 40
	v_readlane_b32 s61, v44, 41
	s_andn2_saveexec_b64 s[80:81], s[60:61]
	s_cbranch_execz .LBB94_3337
; %bb.3296:                             ;   in Loop: Header=BB94_17 Depth=1
	v_cmp_gt_i16_sdwa s[60:61], v8, v38 src0_sel:BYTE_0 src1_sel:DWORD
                                        ; implicit-def: $vgpr65
	s_and_saveexec_b64 s[62:63], s[60:61]
	s_xor_b64 s[72:73], exec, s[62:63]
	s_cbranch_execz .LBB94_3318
; %bb.3297:                             ;   in Loop: Header=BB94_17 Depth=1
	v_cmp_gt_i16_sdwa s[60:61], v8, v39 src0_sel:BYTE_0 src1_sel:DWORD
                                        ; implicit-def: $vgpr65
	s_and_saveexec_b64 s[62:63], s[60:61]
	s_xor_b64 s[66:67], exec, s[62:63]
	;; [unrolled: 6-line block ×4, first 2 shown]
	s_cbranch_execz .LBB94_3301
; %bb.3300:                             ;   in Loop: Header=BB94_17 Depth=1
	flat_load_dwordx2 v[14:15], v[14:15]
	s_waitcnt vmcnt(0) lgkmcnt(0)
	v_cvt_f32_f64_e32 v65, v[14:15]
                                        ; implicit-def: $vgpr14_vgpr15
.LBB94_3301:                            ;   in Loop: Header=BB94_17 Depth=1
	s_andn2_saveexec_b64 s[60:61], s[60:61]
	s_cbranch_execz .LBB94_3303
; %bb.3302:                             ;   in Loop: Header=BB94_17 Depth=1
	flat_load_dword v65, v[14:15]
.LBB94_3303:                            ;   in Loop: Header=BB94_17 Depth=1
	s_or_b64 exec, exec, s[60:61]
                                        ; implicit-def: $vgpr14_vgpr15
.LBB94_3304:                            ;   in Loop: Header=BB94_17 Depth=1
	s_andn2_saveexec_b64 s[60:61], s[68:69]
	s_cbranch_execz .LBB94_3306
; %bb.3305:                             ;   in Loop: Header=BB94_17 Depth=1
	flat_load_dword v14, v[14:15]
	s_waitcnt vmcnt(0) lgkmcnt(0)
	v_cvt_f32_f16_e32 v65, v14
.LBB94_3306:                            ;   in Loop: Header=BB94_17 Depth=1
	s_or_b64 exec, exec, s[60:61]
                                        ; implicit-def: $vgpr14_vgpr15
.LBB94_3307:                            ;   in Loop: Header=BB94_17 Depth=1
	s_andn2_saveexec_b64 s[66:67], s[66:67]
	s_cbranch_execz .LBB94_3317
; %bb.3308:                             ;   in Loop: Header=BB94_17 Depth=1
	v_cmp_gt_i16_sdwa s[60:61], v8, v50 src0_sel:BYTE_0 src1_sel:DWORD
                                        ; implicit-def: $vgpr65
	s_and_saveexec_b64 s[62:63], s[60:61]
	s_xor_b64 s[68:69], exec, s[62:63]
	s_cbranch_execz .LBB94_3314
; %bb.3309:                             ;   in Loop: Header=BB94_17 Depth=1
	v_cmp_gt_i16_sdwa s[60:61], v8, v51 src0_sel:BYTE_0 src1_sel:DWORD
                                        ; implicit-def: $vgpr65
	s_and_saveexec_b64 s[62:63], s[60:61]
	s_xor_b64 s[60:61], exec, s[62:63]
	s_cbranch_execz .LBB94_3311
; %bb.3310:                             ;   in Loop: Header=BB94_17 Depth=1
	flat_load_dwordx2 v[14:15], v[14:15]
	s_waitcnt vmcnt(0) lgkmcnt(0)
	v_cvt_f32_f64_e32 v65, v[14:15]
                                        ; implicit-def: $vgpr14_vgpr15
.LBB94_3311:                            ;   in Loop: Header=BB94_17 Depth=1
	s_andn2_saveexec_b64 s[60:61], s[60:61]
	s_cbranch_execz .LBB94_3313
; %bb.3312:                             ;   in Loop: Header=BB94_17 Depth=1
	s_waitcnt vmcnt(0) lgkmcnt(0)
	flat_load_dword v65, v[14:15]
.LBB94_3313:                            ;   in Loop: Header=BB94_17 Depth=1
	s_or_b64 exec, exec, s[60:61]
                                        ; implicit-def: $vgpr14_vgpr15
.LBB94_3314:                            ;   in Loop: Header=BB94_17 Depth=1
	s_andn2_saveexec_b64 s[60:61], s[68:69]
	s_cbranch_execz .LBB94_3316
; %bb.3315:                             ;   in Loop: Header=BB94_17 Depth=1
	flat_load_ushort v14, v[14:15]
	s_waitcnt vmcnt(0) lgkmcnt(0)
	v_cvt_f32_f16_e32 v65, v14
.LBB94_3316:                            ;   in Loop: Header=BB94_17 Depth=1
	s_or_b64 exec, exec, s[60:61]
.LBB94_3317:                            ;   in Loop: Header=BB94_17 Depth=1
	s_or_b64 exec, exec, s[66:67]
                                        ; implicit-def: $vgpr14_vgpr15
.LBB94_3318:                            ;   in Loop: Header=BB94_17 Depth=1
	s_andn2_saveexec_b64 s[72:73], s[72:73]
	s_cbranch_execz .LBB94_3336
; %bb.3319:                             ;   in Loop: Header=BB94_17 Depth=1
	v_cmp_gt_i16_sdwa s[60:61], v8, v52 src0_sel:BYTE_0 src1_sel:DWORD
                                        ; implicit-def: $vgpr65
	s_and_saveexec_b64 s[62:63], s[60:61]
	s_xor_b64 s[74:75], exec, s[62:63]
	s_cbranch_execz .LBB94_3329
; %bb.3320:                             ;   in Loop: Header=BB94_17 Depth=1
	v_cmp_gt_i16_sdwa s[60:61], v8, v53 src0_sel:BYTE_0 src1_sel:DWORD
                                        ; implicit-def: $vgpr65
	s_and_saveexec_b64 s[62:63], s[60:61]
	s_xor_b64 s[66:67], exec, s[62:63]
	;; [unrolled: 6-line block ×3, first 2 shown]
	s_cbranch_execz .LBB94_3323
; %bb.3322:                             ;   in Loop: Header=BB94_17 Depth=1
	flat_load_dwordx2 v[14:15], v[14:15]
	s_waitcnt vmcnt(0) lgkmcnt(0)
	v_xor_b32_e32 v66, v14, v15
	v_ffbh_i32_e32 v65, v15
	v_ashrrev_i32_e32 v66, 31, v66
	v_add_u32_e32 v65, -1, v65
	v_add_u32_e32 v66, 32, v66
	v_min_u32_e32 v65, v65, v66
	v_lshlrev_b64 v[14:15], v65, v[14:15]
	v_min_u32_e32 v14, 1, v14
	v_or_b32_e32 v14, v15, v14
	v_cvt_f32_i32_e32 v14, v14
	v_sub_u32_e32 v15, 32, v65
	v_ldexp_f32 v65, v14, v15
                                        ; implicit-def: $vgpr14_vgpr15
.LBB94_3323:                            ;   in Loop: Header=BB94_17 Depth=1
	s_andn2_saveexec_b64 s[60:61], s[68:69]
	s_cbranch_execz .LBB94_3325
; %bb.3324:                             ;   in Loop: Header=BB94_17 Depth=1
	flat_load_dword v14, v[14:15]
	s_waitcnt vmcnt(0) lgkmcnt(0)
	v_cvt_f32_i32_e32 v65, v14
.LBB94_3325:                            ;   in Loop: Header=BB94_17 Depth=1
	s_or_b64 exec, exec, s[60:61]
                                        ; implicit-def: $vgpr14_vgpr15
.LBB94_3326:                            ;   in Loop: Header=BB94_17 Depth=1
	s_andn2_saveexec_b64 s[60:61], s[66:67]
	s_cbranch_execz .LBB94_3328
; %bb.3327:                             ;   in Loop: Header=BB94_17 Depth=1
	flat_load_sshort v14, v[14:15]
	s_waitcnt vmcnt(0) lgkmcnt(0)
	v_cvt_f32_i32_e32 v65, v14
.LBB94_3328:                            ;   in Loop: Header=BB94_17 Depth=1
	s_or_b64 exec, exec, s[60:61]
                                        ; implicit-def: $vgpr14_vgpr15
.LBB94_3329:                            ;   in Loop: Header=BB94_17 Depth=1
	s_andn2_saveexec_b64 s[66:67], s[74:75]
	s_cbranch_execz .LBB94_3335
; %bb.3330:                             ;   in Loop: Header=BB94_17 Depth=1
	v_cmp_gt_i16_sdwa s[60:61], v8, v16 src0_sel:BYTE_0 src1_sel:DWORD
                                        ; implicit-def: $vgpr65
	s_and_saveexec_b64 s[62:63], s[60:61]
	s_xor_b64 s[60:61], exec, s[62:63]
	s_cbranch_execz .LBB94_3332
; %bb.3331:                             ;   in Loop: Header=BB94_17 Depth=1
	flat_load_sbyte v14, v[14:15]
	s_waitcnt vmcnt(0) lgkmcnt(0)
	v_cvt_f32_i32_e32 v65, v14
                                        ; implicit-def: $vgpr14_vgpr15
.LBB94_3332:                            ;   in Loop: Header=BB94_17 Depth=1
	s_andn2_saveexec_b64 s[60:61], s[60:61]
	s_cbranch_execz .LBB94_3334
; %bb.3333:                             ;   in Loop: Header=BB94_17 Depth=1
	flat_load_ubyte v14, v[14:15]
	s_waitcnt vmcnt(0) lgkmcnt(0)
	v_cvt_f32_ubyte0_e32 v65, v14
.LBB94_3334:                            ;   in Loop: Header=BB94_17 Depth=1
	s_or_b64 exec, exec, s[60:61]
.LBB94_3335:                            ;   in Loop: Header=BB94_17 Depth=1
	s_or_b64 exec, exec, s[66:67]
.LBB94_3336:                            ;   in Loop: Header=BB94_17 Depth=1
	s_or_b64 exec, exec, s[72:73]
	s_andn2_b64 s[86:87], s[86:87], exec
	s_andn2_b64 vcc, vcc, exec
	s_or_b64 s[78:79], s[78:79], exec
.LBB94_3337:                            ;   in Loop: Header=BB94_17 Depth=1
	s_or_b64 exec, exec, s[80:81]
	s_mov_b64 s[66:67], 0
	s_and_saveexec_b64 s[68:69], s[78:79]
	s_cbranch_execz .LBB94_3339
; %bb.3338:                             ;   in Loop: Header=BB94_17 Depth=1
	s_mov_b64 s[66:67], exec
	v_add_u32_e32 v55, 0x200, v55
	s_andn2_b64 s[86:87], s[86:87], exec
	s_andn2_b64 vcc, vcc, exec
	s_waitcnt vmcnt(0) lgkmcnt(0)
	buffer_store_dword v65, v64, s[0:3], 0 offen offset:112
.LBB94_3339:                            ;   in Loop: Header=BB94_17 Depth=1
	s_or_b64 exec, exec, s[68:69]
	s_andn2_b64 s[60:61], s[90:91], exec
	s_and_b64 s[62:63], s[86:87], exec
	s_or_b64 s[90:91], s[60:61], s[62:63]
	s_andn2_b64 s[60:61], s[92:93], exec
	s_and_b64 vcc, vcc, exec
	s_or_b64 s[92:93], s[60:61], vcc
	s_and_b64 s[66:67], s[66:67], exec
.LBB94_3340:                            ;   in Loop: Header=BB94_17 Depth=1
	s_or_b64 exec, exec, s[84:85]
	s_and_b64 vcc, s[90:91], exec
	v_writelane_b32 v44, vcc_lo, 38
	v_writelane_b32 v44, vcc_hi, 39
	s_and_b64 s[62:63], s[92:93], exec
	s_orn2_b64 s[66:67], s[66:67], exec
.LBB94_3341:                            ;   in Loop: Header=BB94_17 Depth=1
	s_or_b64 exec, exec, s[96:97]
	s_and_saveexec_b64 s[96:97], s[66:67]
	s_cbranch_execz .LBB94_2
; %bb.3342:                             ;   in Loop: Header=BB94_17 Depth=1
	v_writelane_b32 v44, s62, 44
	v_writelane_b32 v44, s63, 45
	s_mov_b64 s[60:61], -1
	v_cmp_lt_i32_e32 vcc, v55, v6
	v_writelane_b32 v44, s60, 46
	s_mov_b64 s[70:71], -1
	v_writelane_b32 v44, s61, 47
                                        ; implicit-def: $sgpr66_sgpr67
                                        ; implicit-def: $sgpr68_sgpr69
	s_and_saveexec_b64 s[90:91], vcc
	s_cbranch_execz .LBB94_3468
; %bb.3343:                             ;   in Loop: Header=BB94_17 Depth=1
	v_readlane_b32 vcc_lo, v44, 1
	s_waitcnt vmcnt(0) lgkmcnt(0)
	v_add_u32_e32 v65, vcc_lo, v55
	v_mul_lo_u32 v14, v65, v9
	v_add_co_u32_e32 v14, vcc, v2, v14
	v_addc_co_u32_e32 v15, vcc, 0, v3, vcc
	v_cmp_gt_i16_sdwa s[60:61], v7, v18 src0_sel:BYTE_0 src1_sel:DWORD
	s_mov_b64 vcc, 0
                                        ; implicit-def: $sgpr76_sgpr77
                                        ; implicit-def: $sgpr92_sgpr93
                                        ; implicit-def: $vgpr66
	s_and_saveexec_b64 s[62:63], s[60:61]
	s_xor_b64 s[84:85], exec, s[62:63]
	s_cbranch_execnz .LBB94_3362
; %bb.3344:                             ;   in Loop: Header=BB94_17 Depth=1
	s_andn2_saveexec_b64 s[78:79], s[84:85]
	s_cbranch_execnz .LBB94_3421
.LBB94_3345:                            ;   in Loop: Header=BB94_17 Depth=1
	s_or_b64 exec, exec, s[78:79]
	s_mov_b64 s[70:71], 0
	s_and_saveexec_b64 s[84:85], vcc
	s_cbranch_execnz .LBB94_3462
	s_branch .LBB94_3467
.LBB94_3346:                            ;   in Loop: Header=BB94_17 Depth=1
	s_movk_i32 vcc_lo, 0x80
	v_cmp_eq_u16_e32 vcc, vcc_lo, v14
	s_mov_b64 s[92:93], -1
                                        ; implicit-def: $sgpr96
	s_and_saveexec_b64 s[60:61], vcc
; %bb.3347:                             ;   in Loop: Header=BB94_17 Depth=1
	s_mov_b32 s96, 0x7f800001
	s_xor_b64 s[92:93], exec, -1
; %bb.3348:                             ;   in Loop: Header=BB94_17 Depth=1
	s_or_b64 exec, exec, s[60:61]
	s_and_b64 s[92:93], s[92:93], exec
	s_or_saveexec_b64 s[94:95], s[94:95]
	v_mov_b32_e32 v64, s96
	s_xor_b64 exec, exec, s[94:95]
	s_cbranch_execz .LBB94_2165
.LBB94_3349:                            ;   in Loop: Header=BB94_17 Depth=1
	v_cmp_ne_u16_e32 vcc, 0, v14
	s_andn2_b64 s[60:61], s[92:93], exec
	s_and_b64 vcc, vcc, exec
	v_mov_b32_e32 v64, 0
	s_or_b64 s[92:93], s[60:61], vcc
	s_or_b64 exec, exec, s[94:95]
	s_and_saveexec_b64 s[94:95], s[92:93]
	s_cbranch_execnz .LBB94_2166
	s_branch .LBB94_2167
.LBB94_3350:                            ;   in Loop: Header=BB94_17 Depth=1
	s_movk_i32 vcc_lo, 0x80
	v_cmp_eq_u16_e32 vcc, vcc_lo, v14
	s_mov_b64 s[66:67], -1
                                        ; implicit-def: $sgpr70
	s_and_saveexec_b64 s[60:61], vcc
; %bb.3351:                             ;   in Loop: Header=BB94_17 Depth=1
	s_mov_b32 s70, 0x7f800001
	s_xor_b64 s[66:67], exec, -1
; %bb.3352:                             ;   in Loop: Header=BB94_17 Depth=1
	s_or_b64 exec, exec, s[60:61]
	s_and_b64 s[66:67], s[66:67], exec
	s_or_saveexec_b64 s[68:69], s[68:69]
	v_mov_b32_e32 v66, s70
	s_xor_b64 exec, exec, s[68:69]
	s_cbranch_execz .LBB94_2265
.LBB94_3353:                            ;   in Loop: Header=BB94_17 Depth=1
	v_cmp_ne_u16_e32 vcc, 0, v14
	s_andn2_b64 s[60:61], s[66:67], exec
	s_and_b64 vcc, vcc, exec
	v_mov_b32_e32 v66, 0
	s_or_b64 s[66:67], s[60:61], vcc
	s_or_b64 exec, exec, s[68:69]
	s_and_saveexec_b64 s[68:69], s[66:67]
	s_cbranch_execnz .LBB94_2266
	s_branch .LBB94_2267
.LBB94_3354:                            ;   in Loop: Header=BB94_17 Depth=1
	s_movk_i32 vcc_lo, 0x80
	v_cmp_eq_u16_e32 vcc, vcc_lo, v14
	s_mov_b64 s[66:67], -1
                                        ; implicit-def: $sgpr70
	s_and_saveexec_b64 s[60:61], vcc
; %bb.3355:                             ;   in Loop: Header=BB94_17 Depth=1
	s_mov_b32 s70, 0x7f800001
	s_xor_b64 s[66:67], exec, -1
; %bb.3356:                             ;   in Loop: Header=BB94_17 Depth=1
	s_or_b64 exec, exec, s[60:61]
	s_and_b64 s[66:67], s[66:67], exec
	s_or_saveexec_b64 s[68:69], s[68:69]
	v_mov_b32_e32 v65, s70
	s_xor_b64 exec, exec, s[68:69]
	s_cbranch_execz .LBB94_2381
.LBB94_3357:                            ;   in Loop: Header=BB94_17 Depth=1
	v_cmp_ne_u16_e32 vcc, 0, v14
	s_andn2_b64 s[60:61], s[66:67], exec
	s_and_b64 vcc, vcc, exec
	v_mov_b32_e32 v65, 0
	s_or_b64 s[66:67], s[60:61], vcc
	s_or_b64 exec, exec, s[68:69]
	s_and_saveexec_b64 s[68:69], s[66:67]
	s_cbranch_execnz .LBB94_2382
	s_branch .LBB94_2383
.LBB94_3358:                            ;   in Loop: Header=BB94_17 Depth=1
	s_movk_i32 vcc_lo, 0x80
	v_cmp_eq_u16_e32 vcc, vcc_lo, v14
	s_mov_b64 s[66:67], -1
                                        ; implicit-def: $sgpr70
	s_and_saveexec_b64 s[60:61], vcc
; %bb.3359:                             ;   in Loop: Header=BB94_17 Depth=1
	s_mov_b32 s70, 0x7f800001
	s_xor_b64 s[66:67], exec, -1
; %bb.3360:                             ;   in Loop: Header=BB94_17 Depth=1
	s_or_b64 exec, exec, s[60:61]
	s_and_b64 s[66:67], s[66:67], exec
	s_or_saveexec_b64 s[68:69], s[68:69]
	v_mov_b32_e32 v66, s70
	s_xor_b64 exec, exec, s[68:69]
	s_cbranch_execz .LBB94_2481
.LBB94_3361:                            ;   in Loop: Header=BB94_17 Depth=1
	v_cmp_ne_u16_e32 vcc, 0, v14
	s_andn2_b64 s[60:61], s[66:67], exec
	s_and_b64 vcc, vcc, exec
	v_mov_b32_e32 v66, 0
	s_or_b64 s[66:67], s[60:61], vcc
	s_or_b64 exec, exec, s[68:69]
	s_and_saveexec_b64 s[68:69], s[66:67]
	s_cbranch_execnz .LBB94_2482
	s_branch .LBB94_2483
.LBB94_3362:                            ;   in Loop: Header=BB94_17 Depth=1
	v_cmp_gt_i16_sdwa vcc, v7, v19 src0_sel:BYTE_0 src1_sel:DWORD
	s_mov_b64 s[78:79], 0
                                        ; implicit-def: $sgpr80_sgpr81
                                        ; implicit-def: $sgpr86_sgpr87
                                        ; implicit-def: $vgpr66
	s_and_saveexec_b64 s[60:61], vcc
	s_xor_b64 s[92:93], exec, s[60:61]
	s_cbranch_execz .LBB94_3394
; %bb.3363:                             ;   in Loop: Header=BB94_17 Depth=1
	v_cmp_gt_i16_sdwa vcc, v7, v20 src0_sel:BYTE_0 src1_sel:DWORD
                                        ; implicit-def: $sgpr72_sgpr73
                                        ; implicit-def: $sgpr86_sgpr87
                                        ; implicit-def: $vgpr66
	s_and_saveexec_b64 s[60:61], vcc
	s_xor_b64 s[80:81], exec, s[60:61]
	s_cbranch_execz .LBB94_3379
; %bb.3364:                             ;   in Loop: Header=BB94_17 Depth=1
	v_cmp_gt_i16_sdwa s[60:61], v7, v21 src0_sel:BYTE_0 src1_sel:DWORD
	s_mov_b64 s[74:75], 0
                                        ; implicit-def: $vcc
                                        ; implicit-def: $sgpr86_sgpr87
                                        ; implicit-def: $vgpr66
	s_and_saveexec_b64 s[62:63], s[60:61]
	s_xor_b64 s[72:73], exec, s[62:63]
	s_cbranch_execz .LBB94_3374
; %bb.3365:                             ;   in Loop: Header=BB94_17 Depth=1
	v_cmp_gt_i16_sdwa vcc, v7, v22 src0_sel:BYTE_0 src1_sel:DWORD
                                        ; implicit-def: $sgpr86_sgpr87
                                        ; implicit-def: $sgpr74_sgpr75
                                        ; implicit-def: $vgpr66
	s_and_saveexec_b64 s[60:61], vcc
	s_xor_b64 vcc, exec, s[60:61]
	s_cbranch_execz .LBB94_3369
; %bb.3366:                             ;   in Loop: Header=BB94_17 Depth=1
	v_cmp_eq_u16_sdwa s[62:63], v7, v23 src0_sel:BYTE_0 src1_sel:DWORD
	s_mov_b64 s[86:87], 0
	s_mov_b64 s[66:67], 0
                                        ; implicit-def: $vgpr66
	s_and_saveexec_b64 s[60:61], s[62:63]
	s_cbranch_execz .LBB94_3368
; %bb.3367:                             ;   in Loop: Header=BB94_17 Depth=1
	flat_load_dword v14, v[14:15]
	s_mov_b64 s[66:67], exec
	s_waitcnt vmcnt(0) lgkmcnt(0)
	v_lshlrev_b32_e32 v66, 16, v14
.LBB94_3368:                            ;   in Loop: Header=BB94_17 Depth=1
	s_or_b64 exec, exec, s[60:61]
	s_mov_b64 s[74:75], -1
	s_and_b64 s[78:79], s[66:67], exec
                                        ; implicit-def: $vgpr14_vgpr15
.LBB94_3369:                            ;   in Loop: Header=BB94_17 Depth=1
	s_andn2_saveexec_b64 s[66:67], vcc
	s_cbranch_execz .LBB94_3373
; %bb.3370:                             ;   in Loop: Header=BB94_17 Depth=1
	v_cmp_eq_u16_sdwa s[60:61], v7, v24 src0_sel:BYTE_0 src1_sel:DWORD
	s_mov_b64 vcc, s[78:79]
                                        ; implicit-def: $vgpr66
	s_and_saveexec_b64 s[68:69], s[60:61]
	s_cbranch_execz .LBB94_3372
; %bb.3371:                             ;   in Loop: Header=BB94_17 Depth=1
	flat_load_ubyte v14, v[14:15]
	s_movk_i32 vcc_lo, 0xff
	s_waitcnt vmcnt(0) lgkmcnt(0)
	v_lshlrev_b32_e32 v15, 23, v14
	v_cmp_ne_u32_e32 vcc, vcc_lo, v14
	v_cndmask_b32_e32 v15, v25, v15, vcc
	v_cmp_ne_u32_e32 vcc, 0, v14
	v_cndmask_b32_e32 v66, v26, v15, vcc
	s_or_b64 vcc, s[78:79], exec
.LBB94_3372:                            ;   in Loop: Header=BB94_17 Depth=1
	s_or_b64 exec, exec, s[68:69]
	s_andn2_b64 s[60:61], s[78:79], exec
	s_and_b64 vcc, vcc, exec
	s_andn2_b64 s[86:87], s[86:87], exec
	s_or_b64 s[74:75], s[74:75], exec
	s_or_b64 s[78:79], s[60:61], vcc
.LBB94_3373:                            ;   in Loop: Header=BB94_17 Depth=1
	s_or_b64 exec, exec, s[66:67]
	s_and_b64 s[86:87], s[86:87], exec
	s_and_b64 vcc, s[74:75], exec
	s_and_b64 s[74:75], s[78:79], exec
                                        ; implicit-def: $vgpr14_vgpr15
.LBB94_3374:                            ;   in Loop: Header=BB94_17 Depth=1
	s_andn2_saveexec_b64 s[66:67], s[72:73]
	s_cbranch_execz .LBB94_3378
; %bb.3375:                             ;   in Loop: Header=BB94_17 Depth=1
	v_cmp_eq_u16_sdwa s[60:61], v7, v27 src0_sel:BYTE_0 src1_sel:DWORD
	s_mov_b64 s[70:71], s[74:75]
                                        ; implicit-def: $vgpr66
	s_and_saveexec_b64 s[68:69], s[60:61]
	s_cbranch_execz .LBB94_3377
; %bb.3376:                             ;   in Loop: Header=BB94_17 Depth=1
	flat_load_dwordx2 v[14:15], v[14:15]
	s_or_b64 s[70:71], s[74:75], exec
	s_waitcnt vmcnt(0) lgkmcnt(0)
	v_ffbh_u32_e32 v64, v15
	v_min_u32_e32 v64, 32, v64
	v_lshlrev_b64 v[14:15], v64, v[14:15]
	v_min_u32_e32 v14, 1, v14
	v_or_b32_e32 v14, v15, v14
	v_cvt_f32_u32_e32 v14, v14
	v_sub_u32_e32 v15, 32, v64
	v_ldexp_f32 v66, v14, v15
.LBB94_3377:                            ;   in Loop: Header=BB94_17 Depth=1
	s_or_b64 exec, exec, s[68:69]
	s_andn2_b64 s[60:61], s[74:75], exec
	s_and_b64 s[62:63], s[70:71], exec
	s_andn2_b64 s[86:87], s[86:87], exec
	s_or_b64 vcc, vcc, exec
	s_or_b64 s[74:75], s[60:61], s[62:63]
.LBB94_3378:                            ;   in Loop: Header=BB94_17 Depth=1
	s_or_b64 exec, exec, s[66:67]
	s_and_b64 s[86:87], s[86:87], exec
	s_and_b64 s[72:73], vcc, exec
	s_and_b64 s[78:79], s[74:75], exec
                                        ; implicit-def: $vgpr14_vgpr15
.LBB94_3379:                            ;   in Loop: Header=BB94_17 Depth=1
	s_andn2_saveexec_b64 s[80:81], s[80:81]
	s_cbranch_execz .LBB94_3393
; %bb.3380:                             ;   in Loop: Header=BB94_17 Depth=1
	v_cmp_gt_i16_sdwa vcc, v7, v28 src0_sel:BYTE_0 src1_sel:DWORD
                                        ; implicit-def: $vgpr66
	s_and_saveexec_b64 s[60:61], vcc
	s_xor_b64 vcc, exec, s[60:61]
	s_cbranch_execz .LBB94_3386
; %bb.3381:                             ;   in Loop: Header=BB94_17 Depth=1
	v_cmp_gt_i16_sdwa s[60:61], v7, v29 src0_sel:BYTE_0 src1_sel:DWORD
                                        ; implicit-def: $vgpr66
	s_and_saveexec_b64 s[62:63], s[60:61]
	s_xor_b64 s[60:61], exec, s[62:63]
	s_cbranch_execz .LBB94_3383
; %bb.3382:                             ;   in Loop: Header=BB94_17 Depth=1
	flat_load_dword v14, v[14:15]
	s_waitcnt vmcnt(0) lgkmcnt(0)
	v_cvt_f32_u32_e32 v66, v14
                                        ; implicit-def: $vgpr14_vgpr15
.LBB94_3383:                            ;   in Loop: Header=BB94_17 Depth=1
	s_andn2_saveexec_b64 s[60:61], s[60:61]
	s_cbranch_execz .LBB94_3385
; %bb.3384:                             ;   in Loop: Header=BB94_17 Depth=1
	flat_load_ushort v14, v[14:15]
	s_waitcnt vmcnt(0) lgkmcnt(0)
	v_cvt_f32_u32_e32 v66, v14
.LBB94_3385:                            ;   in Loop: Header=BB94_17 Depth=1
	s_or_b64 exec, exec, s[60:61]
                                        ; implicit-def: $vgpr14_vgpr15
.LBB94_3386:                            ;   in Loop: Header=BB94_17 Depth=1
	s_andn2_saveexec_b64 s[74:75], vcc
	s_cbranch_execz .LBB94_3392
; %bb.3387:                             ;   in Loop: Header=BB94_17 Depth=1
	flat_load_ubyte v14, v[14:15]
	s_movk_i32 vcc_lo, 0x7f
	s_mov_b64 s[66:67], 0
                                        ; implicit-def: $sgpr70
	s_waitcnt vmcnt(0) lgkmcnt(0)
	v_cmp_lt_i16_e32 vcc, vcc_lo, v14
	s_and_saveexec_b64 s[60:61], vcc
	s_xor_b64 s[68:69], exec, s[60:61]
	s_cbranch_execnz .LBB94_3630
; %bb.3388:                             ;   in Loop: Header=BB94_17 Depth=1
	s_or_saveexec_b64 s[68:69], s[68:69]
	v_mov_b32_e32 v66, s70
	s_xor_b64 exec, exec, s[68:69]
	s_cbranch_execnz .LBB94_3633
.LBB94_3389:                            ;   in Loop: Header=BB94_17 Depth=1
	s_or_b64 exec, exec, s[68:69]
	s_and_saveexec_b64 s[68:69], s[66:67]
	s_cbranch_execz .LBB94_3391
.LBB94_3390:                            ;   in Loop: Header=BB94_17 Depth=1
	v_lshlrev_b32_e32 v15, 24, v14
	v_and_b32_e32 v14, 0xffff, v14
	v_and_b32_e32 v64, 7, v14
	v_ffbh_u32_e32 v67, v64
	v_min_u32_e32 v67, 32, v67
	v_subrev_u32_e32 v68, 28, v67
	v_bfe_u32 v66, v14, 3, 4
	v_lshlrev_b32_e32 v14, v68, v14
	v_sub_u32_e32 v67, 29, v67
	v_and_b32_e32 v14, 7, v14
	v_cmp_eq_u32_e32 vcc, 0, v66
	v_cndmask_b32_e32 v66, v66, v67, vcc
	v_cndmask_b32_e32 v14, v64, v14, vcc
	v_lshlrev_b32_e32 v14, 20, v14
	v_and_b32_e32 v15, 0x80000000, v15
	v_lshl_add_u32 v64, v66, 23, v30
	v_or3_b32 v66, v15, v64, v14
.LBB94_3391:                            ;   in Loop: Header=BB94_17 Depth=1
	s_or_b64 exec, exec, s[68:69]
.LBB94_3392:                            ;   in Loop: Header=BB94_17 Depth=1
	s_or_b64 exec, exec, s[74:75]
	s_andn2_b64 s[86:87], s[86:87], exec
	s_andn2_b64 s[72:73], s[72:73], exec
	s_or_b64 s[78:79], s[78:79], exec
.LBB94_3393:                            ;   in Loop: Header=BB94_17 Depth=1
	s_or_b64 exec, exec, s[80:81]
	s_and_b64 s[86:87], s[86:87], exec
	s_and_b64 s[80:81], s[72:73], exec
	s_and_b64 s[78:79], s[78:79], exec
                                        ; implicit-def: $vgpr14_vgpr15
.LBB94_3394:                            ;   in Loop: Header=BB94_17 Depth=1
	s_andn2_saveexec_b64 s[92:93], s[92:93]
	s_cbranch_execz .LBB94_3420
; %bb.3395:                             ;   in Loop: Header=BB94_17 Depth=1
	v_cmp_gt_i16_sdwa vcc, v7, v31 src0_sel:BYTE_0 src1_sel:DWORD
	s_mov_b64 s[74:75], s[78:79]
                                        ; implicit-def: $vgpr66
	s_and_saveexec_b64 s[60:61], vcc
	s_xor_b64 s[72:73], exec, s[60:61]
	s_cbranch_execz .LBB94_3409
; %bb.3396:                             ;   in Loop: Header=BB94_17 Depth=1
	v_cmp_gt_i16_sdwa vcc, v7, v32 src0_sel:BYTE_0 src1_sel:DWORD
                                        ; implicit-def: $vgpr66
	s_and_saveexec_b64 s[60:61], vcc
	s_xor_b64 s[62:63], exec, s[60:61]
	s_cbranch_execz .LBB94_3406
; %bb.3397:                             ;   in Loop: Header=BB94_17 Depth=1
	v_cmp_gt_i16_sdwa vcc, v7, v33 src0_sel:BYTE_0 src1_sel:DWORD
                                        ; implicit-def: $vgpr66
	s_and_saveexec_b64 s[60:61], vcc
	s_xor_b64 s[74:75], exec, s[60:61]
	s_cbranch_execz .LBB94_3403
; %bb.3398:                             ;   in Loop: Header=BB94_17 Depth=1
	flat_load_ubyte v14, v[14:15]
	s_movk_i32 vcc_lo, 0x7f
	s_mov_b64 s[66:67], 0
                                        ; implicit-def: $sgpr70
	s_waitcnt vmcnt(0) lgkmcnt(0)
	v_cmp_lt_i16_e32 vcc, vcc_lo, v14
	s_and_saveexec_b64 s[60:61], vcc
	s_xor_b64 s[68:69], exec, s[60:61]
	s_cbranch_execnz .LBB94_3638
; %bb.3399:                             ;   in Loop: Header=BB94_17 Depth=1
	s_or_saveexec_b64 s[68:69], s[68:69]
	v_mov_b32_e32 v66, s70
	s_xor_b64 exec, exec, s[68:69]
	s_cbranch_execnz .LBB94_3641
.LBB94_3400:                            ;   in Loop: Header=BB94_17 Depth=1
	s_or_b64 exec, exec, s[68:69]
	s_and_saveexec_b64 s[68:69], s[66:67]
	s_cbranch_execz .LBB94_3402
.LBB94_3401:                            ;   in Loop: Header=BB94_17 Depth=1
	v_lshlrev_b32_e32 v15, 24, v14
	v_and_b32_e32 v14, 0xffff, v14
	v_and_b32_e32 v64, 3, v14
	v_ffbh_u32_e32 v67, v64
	v_min_u32_e32 v67, 32, v67
	v_subrev_u32_e32 v68, 29, v67
	v_bfe_u32 v66, v14, 2, 5
	v_lshlrev_b32_e32 v14, v68, v14
	v_sub_u32_e32 v67, 30, v67
	v_and_b32_e32 v14, 3, v14
	v_cmp_eq_u32_e32 vcc, 0, v66
	v_cndmask_b32_e32 v66, v66, v67, vcc
	v_cndmask_b32_e32 v14, v64, v14, vcc
	v_lshlrev_b32_e32 v14, 21, v14
	v_and_b32_e32 v15, 0x80000000, v15
	v_lshl_add_u32 v64, v66, 23, v34
	v_or3_b32 v66, v15, v64, v14
.LBB94_3402:                            ;   in Loop: Header=BB94_17 Depth=1
	s_or_b64 exec, exec, s[68:69]
                                        ; implicit-def: $vgpr14_vgpr15
.LBB94_3403:                            ;   in Loop: Header=BB94_17 Depth=1
	s_andn2_saveexec_b64 s[66:67], s[74:75]
	s_cbranch_execz .LBB94_3405
; %bb.3404:                             ;   in Loop: Header=BB94_17 Depth=1
	flat_load_ubyte v14, v[14:15]
	s_mov_b32 vcc_lo, 0x7f800000
	s_waitcnt vmcnt(0) lgkmcnt(0)
	v_lshlrev_b32_e32 v14, 24, v14
	v_and_b32_e32 v15, 0x7f000000, v14
	v_ffbh_u32_e32 v64, v15
	v_min_u32_e32 v64, 32, v64
	v_sub_u32_e64 v64, v64, 4 clamp
	v_lshlrev_b32_e32 v67, v64, v15
	v_lshlrev_b32_e32 v64, 23, v64
	v_lshrrev_b32_e32 v67, 4, v67
	v_add_u32_e32 v66, 0x1000000, v15
	v_sub_u32_e32 v64, v67, v64
	v_ashrrev_i32_e32 v66, 8, v66
	v_add_u32_e32 v64, 0x3c000000, v64
	v_and_or_b32 v64, v66, vcc_lo, v64
	v_cmp_ne_u32_e32 vcc, 0, v15
	v_cndmask_b32_e32 v15, 0, v64, vcc
	s_brev_b32 vcc_lo, 1
	v_and_or_b32 v66, v14, vcc_lo, v15
.LBB94_3405:                            ;   in Loop: Header=BB94_17 Depth=1
	s_or_b64 exec, exec, s[66:67]
                                        ; implicit-def: $vgpr14_vgpr15
.LBB94_3406:                            ;   in Loop: Header=BB94_17 Depth=1
	s_andn2_saveexec_b64 s[66:67], s[62:63]
	s_cbranch_execz .LBB94_3408
; %bb.3407:                             ;   in Loop: Header=BB94_17 Depth=1
	flat_load_ubyte v14, v[14:15]
	s_movk_i32 vcc_lo, 0x7f00
	s_waitcnt vmcnt(0) lgkmcnt(0)
	v_lshlrev_b16_e32 v15, 8, v14
	v_lshlrev_b32_e32 v14, 25, v14
	v_lshrrev_b32_e32 v64, 4, v14
	v_and_or_b32 v66, v15, vcc_lo, 0.5
	v_or_b32_e32 v64, 0x70000000, v64
	s_brev_b32 vcc_lo, 16
	v_add_f32_e32 v66, -0.5, v66
	v_mul_f32_e32 v64, 0x7800000, v64
	v_cmp_gt_u32_e32 vcc, vcc_lo, v14
	v_cndmask_b32_e32 v14, v64, v66, vcc
	v_bfe_i32 v15, v15, 0, 16
	s_brev_b32 vcc_lo, 1
	v_and_or_b32 v66, v15, vcc_lo, v14
.LBB94_3408:                            ;   in Loop: Header=BB94_17 Depth=1
	s_or_b64 exec, exec, s[66:67]
	s_or_b64 s[74:75], s[78:79], exec
                                        ; implicit-def: $vgpr14_vgpr15
.LBB94_3409:                            ;   in Loop: Header=BB94_17 Depth=1
	s_or_saveexec_b64 s[72:73], s[72:73]
                                        ; implicit-def: $vcc
                                        ; implicit-def: $sgpr68_sgpr69
	s_xor_b64 exec, exec, s[72:73]
	s_cbranch_execz .LBB94_3419
; %bb.3410:                             ;   in Loop: Header=BB94_17 Depth=1
	v_cmp_gt_i16_sdwa vcc, v7, v35 src0_sel:BYTE_0 src1_sel:DWORD
	s_mov_b64 s[66:67], s[74:75]
                                        ; implicit-def: $sgpr68_sgpr69
                                        ; implicit-def: $sgpr76_sgpr77
                                        ; implicit-def: $vgpr66
	s_and_saveexec_b64 s[60:61], vcc
	s_xor_b64 vcc, exec, s[60:61]
	s_cbranch_execz .LBB94_3414
; %bb.3411:                             ;   in Loop: Header=BB94_17 Depth=1
	v_cmp_eq_u16_sdwa s[62:63], v7, v36 src0_sel:BYTE_0 src1_sel:DWORD
	s_mov_b64 s[66:67], s[74:75]
                                        ; implicit-def: $vgpr66
	s_and_saveexec_b64 s[60:61], s[62:63]
	s_cbranch_execz .LBB94_3413
; %bb.3412:                             ;   in Loop: Header=BB94_17 Depth=1
	flat_load_ushort v14, v[14:15]
	s_or_b64 s[66:67], s[74:75], exec
	s_waitcnt vmcnt(0) lgkmcnt(0)
	v_lshlrev_b32_e32 v66, 16, v14
.LBB94_3413:                            ;   in Loop: Header=BB94_17 Depth=1
	s_or_b64 exec, exec, s[60:61]
	s_andn2_b64 s[60:61], s[74:75], exec
	s_and_b64 s[62:63], s[66:67], exec
	s_mov_b64 s[76:77], -1
	s_mov_b64 s[68:69], 0
	s_or_b64 s[66:67], s[60:61], s[62:63]
                                        ; implicit-def: $vgpr14_vgpr15
.LBB94_3414:                            ;   in Loop: Header=BB94_17 Depth=1
	s_andn2_saveexec_b64 s[70:71], vcc
	s_cbranch_execz .LBB94_3418
; %bb.3415:                             ;   in Loop: Header=BB94_17 Depth=1
	v_cmp_eq_u16_sdwa s[62:63], v7, v37 src0_sel:BYTE_0 src1_sel:DWORD
	s_mov_b64 vcc, s[66:67]
                                        ; implicit-def: $vgpr66
	s_and_saveexec_b64 s[60:61], s[62:63]
	s_cbranch_execz .LBB94_3417
; %bb.3416:                             ;   in Loop: Header=BB94_17 Depth=1
	flat_load_ubyte v14, v[14:15]
	s_waitcnt vmcnt(0) lgkmcnt(0)
	v_cmp_ne_u16_e32 vcc, 0, v14
	v_cndmask_b32_e64 v66, 0, 1.0, vcc
	s_or_b64 vcc, s[66:67], exec
.LBB94_3417:                            ;   in Loop: Header=BB94_17 Depth=1
	s_or_b64 exec, exec, s[60:61]
	s_andn2_b64 s[60:61], s[66:67], exec
	s_and_b64 vcc, vcc, exec
	s_andn2_b64 s[68:69], s[68:69], exec
	s_or_b64 s[76:77], s[76:77], exec
	s_or_b64 s[66:67], s[60:61], vcc
.LBB94_3418:                            ;   in Loop: Header=BB94_17 Depth=1
	s_or_b64 exec, exec, s[70:71]
	s_andn2_b64 s[60:61], s[74:75], exec
	s_and_b64 s[62:63], s[66:67], exec
	s_and_b64 s[68:69], s[68:69], exec
	s_and_b64 vcc, s[76:77], exec
	s_or_b64 s[74:75], s[60:61], s[62:63]
.LBB94_3419:                            ;   in Loop: Header=BB94_17 Depth=1
	s_or_b64 exec, exec, s[72:73]
	s_andn2_b64 s[60:61], s[86:87], exec
	s_and_b64 s[62:63], s[68:69], exec
	s_or_b64 s[86:87], s[60:61], s[62:63]
	s_andn2_b64 s[60:61], s[80:81], exec
	s_and_b64 vcc, vcc, exec
	s_or_b64 s[80:81], s[60:61], vcc
	s_andn2_b64 vcc, s[78:79], exec
	s_and_b64 s[60:61], s[74:75], exec
	s_or_b64 s[78:79], vcc, s[60:61]
.LBB94_3420:                            ;   in Loop: Header=BB94_17 Depth=1
	s_or_b64 exec, exec, s[92:93]
	s_and_b64 s[92:93], s[86:87], exec
	s_and_b64 s[76:77], s[80:81], exec
	s_and_b64 vcc, s[78:79], exec
                                        ; implicit-def: $vgpr14_vgpr15
	s_andn2_saveexec_b64 s[78:79], s[84:85]
	s_cbranch_execz .LBB94_3345
.LBB94_3421:                            ;   in Loop: Header=BB94_17 Depth=1
	v_cmp_gt_i16_sdwa s[60:61], v7, v38 src0_sel:BYTE_0 src1_sel:DWORD
                                        ; implicit-def: $vgpr66
	s_and_saveexec_b64 s[62:63], s[60:61]
	s_xor_b64 s[72:73], exec, s[62:63]
	s_cbranch_execz .LBB94_3443
; %bb.3422:                             ;   in Loop: Header=BB94_17 Depth=1
	v_cmp_gt_i16_sdwa s[60:61], v7, v39 src0_sel:BYTE_0 src1_sel:DWORD
                                        ; implicit-def: $vgpr66
	s_and_saveexec_b64 s[62:63], s[60:61]
	s_xor_b64 s[66:67], exec, s[62:63]
	s_cbranch_execz .LBB94_3432
; %bb.3423:                             ;   in Loop: Header=BB94_17 Depth=1
	;; [unrolled: 6-line block ×4, first 2 shown]
	flat_load_dwordx2 v[14:15], v[14:15]
	s_waitcnt vmcnt(0) lgkmcnt(0)
	v_cvt_f32_f64_e32 v66, v[14:15]
                                        ; implicit-def: $vgpr14_vgpr15
.LBB94_3426:                            ;   in Loop: Header=BB94_17 Depth=1
	s_andn2_saveexec_b64 s[60:61], s[60:61]
	s_cbranch_execz .LBB94_3428
; %bb.3427:                             ;   in Loop: Header=BB94_17 Depth=1
	flat_load_dword v66, v[14:15]
.LBB94_3428:                            ;   in Loop: Header=BB94_17 Depth=1
	s_or_b64 exec, exec, s[60:61]
                                        ; implicit-def: $vgpr14_vgpr15
.LBB94_3429:                            ;   in Loop: Header=BB94_17 Depth=1
	s_andn2_saveexec_b64 s[60:61], s[68:69]
	s_cbranch_execz .LBB94_3431
; %bb.3430:                             ;   in Loop: Header=BB94_17 Depth=1
	flat_load_dword v14, v[14:15]
	s_waitcnt vmcnt(0) lgkmcnt(0)
	v_cvt_f32_f16_e32 v66, v14
.LBB94_3431:                            ;   in Loop: Header=BB94_17 Depth=1
	s_or_b64 exec, exec, s[60:61]
                                        ; implicit-def: $vgpr14_vgpr15
.LBB94_3432:                            ;   in Loop: Header=BB94_17 Depth=1
	s_andn2_saveexec_b64 s[66:67], s[66:67]
	s_cbranch_execz .LBB94_3442
; %bb.3433:                             ;   in Loop: Header=BB94_17 Depth=1
	v_cmp_gt_i16_sdwa s[60:61], v7, v50 src0_sel:BYTE_0 src1_sel:DWORD
                                        ; implicit-def: $vgpr66
	s_and_saveexec_b64 s[62:63], s[60:61]
	s_xor_b64 s[68:69], exec, s[62:63]
	s_cbranch_execz .LBB94_3439
; %bb.3434:                             ;   in Loop: Header=BB94_17 Depth=1
	v_cmp_gt_i16_sdwa s[60:61], v7, v51 src0_sel:BYTE_0 src1_sel:DWORD
                                        ; implicit-def: $vgpr66
	s_and_saveexec_b64 s[62:63], s[60:61]
	s_xor_b64 s[60:61], exec, s[62:63]
	s_cbranch_execz .LBB94_3436
; %bb.3435:                             ;   in Loop: Header=BB94_17 Depth=1
	flat_load_dwordx2 v[14:15], v[14:15]
	s_waitcnt vmcnt(0) lgkmcnt(0)
	v_cvt_f32_f64_e32 v66, v[14:15]
                                        ; implicit-def: $vgpr14_vgpr15
.LBB94_3436:                            ;   in Loop: Header=BB94_17 Depth=1
	s_andn2_saveexec_b64 s[60:61], s[60:61]
	s_cbranch_execz .LBB94_3438
; %bb.3437:                             ;   in Loop: Header=BB94_17 Depth=1
	s_waitcnt vmcnt(0) lgkmcnt(0)
	flat_load_dword v66, v[14:15]
.LBB94_3438:                            ;   in Loop: Header=BB94_17 Depth=1
	s_or_b64 exec, exec, s[60:61]
                                        ; implicit-def: $vgpr14_vgpr15
.LBB94_3439:                            ;   in Loop: Header=BB94_17 Depth=1
	s_andn2_saveexec_b64 s[60:61], s[68:69]
	s_cbranch_execz .LBB94_3441
; %bb.3440:                             ;   in Loop: Header=BB94_17 Depth=1
	flat_load_ushort v14, v[14:15]
	s_waitcnt vmcnt(0) lgkmcnt(0)
	v_cvt_f32_f16_e32 v66, v14
.LBB94_3441:                            ;   in Loop: Header=BB94_17 Depth=1
	s_or_b64 exec, exec, s[60:61]
.LBB94_3442:                            ;   in Loop: Header=BB94_17 Depth=1
	s_or_b64 exec, exec, s[66:67]
                                        ; implicit-def: $vgpr14_vgpr15
.LBB94_3443:                            ;   in Loop: Header=BB94_17 Depth=1
	s_andn2_saveexec_b64 s[72:73], s[72:73]
	s_cbranch_execz .LBB94_3461
; %bb.3444:                             ;   in Loop: Header=BB94_17 Depth=1
	v_cmp_gt_i16_sdwa s[60:61], v7, v52 src0_sel:BYTE_0 src1_sel:DWORD
                                        ; implicit-def: $vgpr66
	s_and_saveexec_b64 s[62:63], s[60:61]
	s_xor_b64 s[74:75], exec, s[62:63]
	s_cbranch_execz .LBB94_3454
; %bb.3445:                             ;   in Loop: Header=BB94_17 Depth=1
	v_cmp_gt_i16_sdwa s[60:61], v7, v53 src0_sel:BYTE_0 src1_sel:DWORD
                                        ; implicit-def: $vgpr66
	s_and_saveexec_b64 s[62:63], s[60:61]
	s_xor_b64 s[66:67], exec, s[62:63]
	;; [unrolled: 6-line block ×3, first 2 shown]
	s_cbranch_execz .LBB94_3448
; %bb.3447:                             ;   in Loop: Header=BB94_17 Depth=1
	flat_load_dwordx2 v[14:15], v[14:15]
	s_waitcnt vmcnt(0) lgkmcnt(0)
	v_xor_b32_e32 v66, v14, v15
	v_ffbh_i32_e32 v64, v15
	v_ashrrev_i32_e32 v66, 31, v66
	v_add_u32_e32 v64, -1, v64
	v_add_u32_e32 v66, 32, v66
	v_min_u32_e32 v64, v64, v66
	v_lshlrev_b64 v[14:15], v64, v[14:15]
	v_min_u32_e32 v14, 1, v14
	v_or_b32_e32 v14, v15, v14
	v_cvt_f32_i32_e32 v14, v14
	v_sub_u32_e32 v15, 32, v64
	v_ldexp_f32 v66, v14, v15
                                        ; implicit-def: $vgpr14_vgpr15
.LBB94_3448:                            ;   in Loop: Header=BB94_17 Depth=1
	s_andn2_saveexec_b64 s[60:61], s[68:69]
	s_cbranch_execz .LBB94_3450
; %bb.3449:                             ;   in Loop: Header=BB94_17 Depth=1
	flat_load_dword v14, v[14:15]
	s_waitcnt vmcnt(0) lgkmcnt(0)
	v_cvt_f32_i32_e32 v66, v14
.LBB94_3450:                            ;   in Loop: Header=BB94_17 Depth=1
	s_or_b64 exec, exec, s[60:61]
                                        ; implicit-def: $vgpr14_vgpr15
.LBB94_3451:                            ;   in Loop: Header=BB94_17 Depth=1
	s_andn2_saveexec_b64 s[60:61], s[66:67]
	s_cbranch_execz .LBB94_3453
; %bb.3452:                             ;   in Loop: Header=BB94_17 Depth=1
	flat_load_sshort v14, v[14:15]
	s_waitcnt vmcnt(0) lgkmcnt(0)
	v_cvt_f32_i32_e32 v66, v14
.LBB94_3453:                            ;   in Loop: Header=BB94_17 Depth=1
	s_or_b64 exec, exec, s[60:61]
                                        ; implicit-def: $vgpr14_vgpr15
.LBB94_3454:                            ;   in Loop: Header=BB94_17 Depth=1
	s_andn2_saveexec_b64 s[66:67], s[74:75]
	s_cbranch_execz .LBB94_3460
; %bb.3455:                             ;   in Loop: Header=BB94_17 Depth=1
	v_cmp_gt_i16_sdwa s[60:61], v7, v16 src0_sel:BYTE_0 src1_sel:DWORD
                                        ; implicit-def: $vgpr66
	s_and_saveexec_b64 s[62:63], s[60:61]
	s_xor_b64 s[60:61], exec, s[62:63]
	s_cbranch_execz .LBB94_3457
; %bb.3456:                             ;   in Loop: Header=BB94_17 Depth=1
	flat_load_sbyte v14, v[14:15]
	s_waitcnt vmcnt(0) lgkmcnt(0)
	v_cvt_f32_i32_e32 v66, v14
                                        ; implicit-def: $vgpr14_vgpr15
.LBB94_3457:                            ;   in Loop: Header=BB94_17 Depth=1
	s_andn2_saveexec_b64 s[60:61], s[60:61]
	s_cbranch_execz .LBB94_3459
; %bb.3458:                             ;   in Loop: Header=BB94_17 Depth=1
	flat_load_ubyte v14, v[14:15]
	s_waitcnt vmcnt(0) lgkmcnt(0)
	v_cvt_f32_ubyte0_e32 v66, v14
.LBB94_3459:                            ;   in Loop: Header=BB94_17 Depth=1
	s_or_b64 exec, exec, s[60:61]
.LBB94_3460:                            ;   in Loop: Header=BB94_17 Depth=1
	s_or_b64 exec, exec, s[66:67]
.LBB94_3461:                            ;   in Loop: Header=BB94_17 Depth=1
	s_or_b64 exec, exec, s[72:73]
	s_andn2_b64 s[92:93], s[92:93], exec
	s_andn2_b64 s[76:77], s[76:77], exec
	s_or_b64 vcc, vcc, exec
	s_or_b64 exec, exec, s[78:79]
	s_mov_b64 s[70:71], 0
	s_and_saveexec_b64 s[84:85], vcc
	s_cbranch_execz .LBB94_3467
.LBB94_3462:                            ;   in Loop: Header=BB94_17 Depth=1
	v_mul_lo_u32 v14, v65, v10
	v_readlane_b32 s60, v44, 0
	v_add_co_u32_e32 v14, vcc, v4, v14
	v_add_u32_e32 v64, s60, v17
	v_addc_co_u32_e32 v15, vcc, 0, v5, vcc
	v_cmp_gt_i16_sdwa s[60:61], v8, v18 src0_sel:BYTE_0 src1_sel:DWORD
	s_mov_b64 s[78:79], 0
	s_waitcnt vmcnt(0) lgkmcnt(0)
	buffer_store_dword v66, v64, s[0:3], 0 offen offset:124
                                        ; implicit-def: $vcc
                                        ; implicit-def: $sgpr86_sgpr87
                                        ; implicit-def: $vgpr65
	s_and_saveexec_b64 s[62:63], s[60:61]
	s_xor_b64 s[62:63], exec, s[62:63]
	s_cbranch_execnz .LBB94_3486
; %bb.3463:                             ;   in Loop: Header=BB94_17 Depth=1
	s_andn2_saveexec_b64 s[80:81], s[62:63]
	s_cbranch_execnz .LBB94_3545
.LBB94_3464:                            ;   in Loop: Header=BB94_17 Depth=1
	s_or_b64 exec, exec, s[80:81]
	s_mov_b64 s[66:67], 0
	s_and_saveexec_b64 s[68:69], s[78:79]
	s_cbranch_execz .LBB94_3466
.LBB94_3465:                            ;   in Loop: Header=BB94_17 Depth=1
	s_mov_b64 s[66:67], exec
	v_add_u32_e32 v55, 0x200, v55
	s_andn2_b64 s[86:87], s[86:87], exec
	s_andn2_b64 vcc, vcc, exec
	s_waitcnt vmcnt(0) lgkmcnt(0)
	buffer_store_dword v65, v64, s[0:3], 0 offen offset:120
.LBB94_3466:                            ;   in Loop: Header=BB94_17 Depth=1
	s_or_b64 exec, exec, s[68:69]
	s_andn2_b64 s[60:61], s[92:93], exec
	s_and_b64 s[62:63], s[86:87], exec
	s_or_b64 s[92:93], s[60:61], s[62:63]
	s_andn2_b64 s[60:61], s[76:77], exec
	s_and_b64 vcc, vcc, exec
	s_or_b64 s[76:77], s[60:61], vcc
	s_and_b64 s[70:71], s[66:67], exec
.LBB94_3467:                            ;   in Loop: Header=BB94_17 Depth=1
	s_or_b64 exec, exec, s[84:85]
	s_and_b64 s[68:69], s[92:93], exec
	s_and_b64 s[66:67], s[76:77], exec
	s_orn2_b64 s[70:71], s[70:71], exec
.LBB94_3468:                            ;   in Loop: Header=BB94_17 Depth=1
	s_or_b64 exec, exec, s[90:91]
	s_and_saveexec_b64 vcc, s[70:71]
	s_cbranch_execz .LBB94_1
; %bb.3469:                             ;   in Loop: Header=BB94_17 Depth=1
	v_readlane_b32 s60, v44, 0
	s_addk_i32 s60, 0x80
	s_cmpk_eq_i32 s60, 0x100
	v_writelane_b32 v44, s60, 0
	s_cselect_b64 s[60:61], -1, 0
	s_orn2_b64 s[60:61], s[60:61], exec
	s_andn2_b64 s[68:69], s[68:69], exec
	s_andn2_b64 s[66:67], s[66:67], exec
	v_writelane_b32 v44, s60, 46
	v_writelane_b32 v44, s61, 47
	s_branch .LBB94_1
.LBB94_3470:                            ;   in Loop: Header=BB94_17 Depth=1
	s_movk_i32 vcc_lo, 0x80
	v_cmp_eq_u16_e32 vcc, vcc_lo, v14
	s_mov_b64 s[66:67], -1
                                        ; implicit-def: $sgpr70
	s_and_saveexec_b64 s[60:61], vcc
; %bb.3471:                             ;   in Loop: Header=BB94_17 Depth=1
	s_mov_b32 s70, 0x7f800001
	s_xor_b64 s[66:67], exec, -1
; %bb.3472:                             ;   in Loop: Header=BB94_17 Depth=1
	s_or_b64 exec, exec, s[60:61]
	s_and_b64 s[66:67], s[66:67], exec
	s_or_saveexec_b64 s[68:69], s[68:69]
	v_mov_b32_e32 v65, s70
	s_xor_b64 exec, exec, s[68:69]
	s_cbranch_execz .LBB94_2392
.LBB94_3473:                            ;   in Loop: Header=BB94_17 Depth=1
	v_cmp_ne_u16_e32 vcc, 0, v14
	s_andn2_b64 s[60:61], s[66:67], exec
	s_and_b64 vcc, vcc, exec
	v_mov_b32_e32 v65, 0
	s_or_b64 s[66:67], s[60:61], vcc
	s_or_b64 exec, exec, s[68:69]
	s_and_saveexec_b64 s[68:69], s[66:67]
	s_cbranch_execnz .LBB94_2393
	s_branch .LBB94_2394
.LBB94_3474:                            ;   in Loop: Header=BB94_17 Depth=1
	s_movk_i32 vcc_lo, 0x80
	v_cmp_eq_u16_e32 vcc, vcc_lo, v14
	s_mov_b64 s[66:67], -1
                                        ; implicit-def: $sgpr70
	s_and_saveexec_b64 s[60:61], vcc
; %bb.3475:                             ;   in Loop: Header=BB94_17 Depth=1
	s_mov_b32 s70, 0x7f800001
	s_xor_b64 s[66:67], exec, -1
; %bb.3476:                             ;   in Loop: Header=BB94_17 Depth=1
	s_or_b64 exec, exec, s[60:61]
	s_and_b64 s[66:67], s[66:67], exec
	s_or_saveexec_b64 s[68:69], s[68:69]
	v_mov_b32_e32 v66, s70
	s_xor_b64 exec, exec, s[68:69]
	s_cbranch_execz .LBB94_2492
.LBB94_3477:                            ;   in Loop: Header=BB94_17 Depth=1
	v_cmp_ne_u16_e32 vcc, 0, v14
	s_andn2_b64 s[60:61], s[66:67], exec
	s_and_b64 vcc, vcc, exec
	v_mov_b32_e32 v66, 0
	s_or_b64 s[66:67], s[60:61], vcc
	s_or_b64 exec, exec, s[68:69]
	s_and_saveexec_b64 s[68:69], s[66:67]
	s_cbranch_execnz .LBB94_2493
	s_branch .LBB94_2494
.LBB94_3478:                            ;   in Loop: Header=BB94_17 Depth=1
	s_movk_i32 vcc_lo, 0x80
	v_cmp_eq_u16_e32 vcc, vcc_lo, v14
	s_mov_b64 s[66:67], -1
                                        ; implicit-def: $sgpr70
	s_and_saveexec_b64 s[60:61], vcc
; %bb.3479:                             ;   in Loop: Header=BB94_17 Depth=1
	s_mov_b32 s70, 0x7f800001
	s_xor_b64 s[66:67], exec, -1
; %bb.3480:                             ;   in Loop: Header=BB94_17 Depth=1
	s_or_b64 exec, exec, s[60:61]
	s_and_b64 s[66:67], s[66:67], exec
	s_or_saveexec_b64 s[68:69], s[68:69]
	v_mov_b32_e32 v65, s70
	s_xor_b64 exec, exec, s[68:69]
	s_cbranch_execz .LBB94_2608
.LBB94_3481:                            ;   in Loop: Header=BB94_17 Depth=1
	v_cmp_ne_u16_e32 vcc, 0, v14
	s_andn2_b64 s[60:61], s[66:67], exec
	s_and_b64 vcc, vcc, exec
	v_mov_b32_e32 v65, 0
	s_or_b64 s[66:67], s[60:61], vcc
	s_or_b64 exec, exec, s[68:69]
	s_and_saveexec_b64 s[68:69], s[66:67]
	s_cbranch_execnz .LBB94_2609
	s_branch .LBB94_2610
.LBB94_3482:                            ;   in Loop: Header=BB94_17 Depth=1
	s_movk_i32 vcc_lo, 0x80
	v_cmp_eq_u16_e32 vcc, vcc_lo, v14
	s_mov_b64 s[66:67], -1
                                        ; implicit-def: $sgpr70
	s_and_saveexec_b64 s[60:61], vcc
; %bb.3483:                             ;   in Loop: Header=BB94_17 Depth=1
	s_mov_b32 s70, 0x7f800001
	s_xor_b64 s[66:67], exec, -1
; %bb.3484:                             ;   in Loop: Header=BB94_17 Depth=1
	s_or_b64 exec, exec, s[60:61]
	s_and_b64 s[66:67], s[66:67], exec
	s_or_saveexec_b64 s[68:69], s[68:69]
	v_mov_b32_e32 v66, s70
	s_xor_b64 exec, exec, s[68:69]
	s_cbranch_execz .LBB94_2708
.LBB94_3485:                            ;   in Loop: Header=BB94_17 Depth=1
	v_cmp_ne_u16_e32 vcc, 0, v14
	s_andn2_b64 s[60:61], s[66:67], exec
	s_and_b64 vcc, vcc, exec
	v_mov_b32_e32 v66, 0
	s_or_b64 s[66:67], s[60:61], vcc
	s_or_b64 exec, exec, s[68:69]
	s_and_saveexec_b64 s[68:69], s[66:67]
	s_cbranch_execnz .LBB94_2709
	s_branch .LBB94_2710
.LBB94_3486:                            ;   in Loop: Header=BB94_17 Depth=1
	v_cmp_gt_i16_sdwa vcc, v8, v19 src0_sel:BYTE_0 src1_sel:DWORD
                                        ; implicit-def: $sgpr66_sgpr67
                                        ; implicit-def: $sgpr86_sgpr87
                                        ; implicit-def: $vgpr65
	s_and_saveexec_b64 s[60:61], vcc
	s_xor_b64 s[60:61], exec, s[60:61]
	v_writelane_b32 v44, s62, 48
	v_writelane_b32 v44, s63, 49
	s_cbranch_execz .LBB94_3518
; %bb.3487:                             ;   in Loop: Header=BB94_17 Depth=1
	v_writelane_b32 v44, s60, 50
	v_cmp_gt_i16_sdwa vcc, v8, v20 src0_sel:BYTE_0 src1_sel:DWORD
	v_writelane_b32 v44, s61, 51
                                        ; implicit-def: $sgpr72_sgpr73
                                        ; implicit-def: $sgpr86_sgpr87
                                        ; implicit-def: $vgpr65
	s_and_saveexec_b64 s[60:61], vcc
	s_xor_b64 s[80:81], exec, s[60:61]
	s_cbranch_execz .LBB94_3503
; %bb.3488:                             ;   in Loop: Header=BB94_17 Depth=1
	v_cmp_gt_i16_sdwa s[60:61], v8, v21 src0_sel:BYTE_0 src1_sel:DWORD
	s_mov_b64 s[74:75], 0
                                        ; implicit-def: $vcc
                                        ; implicit-def: $sgpr86_sgpr87
                                        ; implicit-def: $vgpr65
	s_and_saveexec_b64 s[62:63], s[60:61]
	s_xor_b64 s[72:73], exec, s[62:63]
	s_cbranch_execz .LBB94_3498
; %bb.3489:                             ;   in Loop: Header=BB94_17 Depth=1
	v_cmp_gt_i16_sdwa vcc, v8, v22 src0_sel:BYTE_0 src1_sel:DWORD
                                        ; implicit-def: $sgpr86_sgpr87
                                        ; implicit-def: $sgpr74_sgpr75
                                        ; implicit-def: $vgpr65
	s_and_saveexec_b64 s[60:61], vcc
	s_xor_b64 vcc, exec, s[60:61]
	s_cbranch_execz .LBB94_3493
; %bb.3490:                             ;   in Loop: Header=BB94_17 Depth=1
	v_cmp_eq_u16_sdwa s[62:63], v8, v23 src0_sel:BYTE_0 src1_sel:DWORD
	s_mov_b64 s[74:75], 0
	s_mov_b64 s[66:67], 0
                                        ; implicit-def: $vgpr65
	s_and_saveexec_b64 s[60:61], s[62:63]
	s_cbranch_execz .LBB94_3492
; %bb.3491:                             ;   in Loop: Header=BB94_17 Depth=1
	flat_load_dword v14, v[14:15]
	s_mov_b64 s[66:67], exec
	s_waitcnt vmcnt(0) lgkmcnt(0)
	v_lshlrev_b32_e32 v65, 16, v14
.LBB94_3492:                            ;   in Loop: Header=BB94_17 Depth=1
	s_or_b64 exec, exec, s[60:61]
	s_mov_b64 s[86:87], -1
	s_and_b64 s[78:79], s[66:67], exec
                                        ; implicit-def: $vgpr14_vgpr15
.LBB94_3493:                            ;   in Loop: Header=BB94_17 Depth=1
	s_andn2_saveexec_b64 s[66:67], vcc
	s_cbranch_execz .LBB94_3497
; %bb.3494:                             ;   in Loop: Header=BB94_17 Depth=1
	v_cmp_eq_u16_sdwa s[60:61], v8, v24 src0_sel:BYTE_0 src1_sel:DWORD
	s_mov_b64 vcc, s[78:79]
                                        ; implicit-def: $vgpr65
	s_and_saveexec_b64 s[68:69], s[60:61]
	s_cbranch_execz .LBB94_3496
; %bb.3495:                             ;   in Loop: Header=BB94_17 Depth=1
	flat_load_ubyte v14, v[14:15]
	s_movk_i32 vcc_lo, 0xff
	s_waitcnt vmcnt(0) lgkmcnt(0)
	v_lshlrev_b32_e32 v15, 23, v14
	v_cmp_ne_u32_e32 vcc, vcc_lo, v14
	v_cndmask_b32_e32 v15, v25, v15, vcc
	v_cmp_ne_u32_e32 vcc, 0, v14
	v_cndmask_b32_e32 v65, v26, v15, vcc
	s_or_b64 vcc, s[78:79], exec
.LBB94_3496:                            ;   in Loop: Header=BB94_17 Depth=1
	s_or_b64 exec, exec, s[68:69]
	s_andn2_b64 s[60:61], s[78:79], exec
	s_and_b64 vcc, vcc, exec
	s_or_b64 s[86:87], s[86:87], exec
	s_andn2_b64 s[74:75], s[74:75], exec
	s_or_b64 s[78:79], s[60:61], vcc
.LBB94_3497:                            ;   in Loop: Header=BB94_17 Depth=1
	s_or_b64 exec, exec, s[66:67]
	s_and_b64 s[86:87], s[86:87], exec
	s_and_b64 vcc, s[74:75], exec
	s_and_b64 s[74:75], s[78:79], exec
                                        ; implicit-def: $vgpr14_vgpr15
.LBB94_3498:                            ;   in Loop: Header=BB94_17 Depth=1
	s_andn2_saveexec_b64 s[66:67], s[72:73]
	s_cbranch_execz .LBB94_3502
; %bb.3499:                             ;   in Loop: Header=BB94_17 Depth=1
	v_cmp_eq_u16_sdwa s[60:61], v8, v27 src0_sel:BYTE_0 src1_sel:DWORD
	s_mov_b64 s[70:71], s[74:75]
                                        ; implicit-def: $vgpr65
	s_and_saveexec_b64 s[68:69], s[60:61]
	s_cbranch_execz .LBB94_3501
; %bb.3500:                             ;   in Loop: Header=BB94_17 Depth=1
	flat_load_dwordx2 v[14:15], v[14:15]
	s_or_b64 s[70:71], s[74:75], exec
	s_waitcnt vmcnt(0) lgkmcnt(0)
	v_ffbh_u32_e32 v65, v15
	v_min_u32_e32 v65, 32, v65
	v_lshlrev_b64 v[14:15], v65, v[14:15]
	v_min_u32_e32 v14, 1, v14
	v_or_b32_e32 v14, v15, v14
	v_cvt_f32_u32_e32 v14, v14
	v_sub_u32_e32 v15, 32, v65
	v_ldexp_f32 v65, v14, v15
.LBB94_3501:                            ;   in Loop: Header=BB94_17 Depth=1
	s_or_b64 exec, exec, s[68:69]
	s_andn2_b64 s[60:61], s[74:75], exec
	s_and_b64 s[62:63], s[70:71], exec
	s_or_b64 s[86:87], s[86:87], exec
	s_andn2_b64 vcc, vcc, exec
	s_or_b64 s[74:75], s[60:61], s[62:63]
.LBB94_3502:                            ;   in Loop: Header=BB94_17 Depth=1
	s_or_b64 exec, exec, s[66:67]
	s_and_b64 s[86:87], s[86:87], exec
	s_and_b64 s[72:73], vcc, exec
	s_and_b64 s[78:79], s[74:75], exec
                                        ; implicit-def: $vgpr14_vgpr15
.LBB94_3503:                            ;   in Loop: Header=BB94_17 Depth=1
	s_andn2_saveexec_b64 s[80:81], s[80:81]
	s_cbranch_execz .LBB94_3517
; %bb.3504:                             ;   in Loop: Header=BB94_17 Depth=1
	v_cmp_gt_i16_sdwa vcc, v8, v28 src0_sel:BYTE_0 src1_sel:DWORD
                                        ; implicit-def: $vgpr65
	s_and_saveexec_b64 s[60:61], vcc
	s_xor_b64 vcc, exec, s[60:61]
	s_cbranch_execz .LBB94_3510
; %bb.3505:                             ;   in Loop: Header=BB94_17 Depth=1
	v_cmp_gt_i16_sdwa s[60:61], v8, v29 src0_sel:BYTE_0 src1_sel:DWORD
                                        ; implicit-def: $vgpr65
	s_and_saveexec_b64 s[62:63], s[60:61]
	s_xor_b64 s[60:61], exec, s[62:63]
	s_cbranch_execz .LBB94_3507
; %bb.3506:                             ;   in Loop: Header=BB94_17 Depth=1
	flat_load_dword v14, v[14:15]
	s_waitcnt vmcnt(0) lgkmcnt(0)
	v_cvt_f32_u32_e32 v65, v14
                                        ; implicit-def: $vgpr14_vgpr15
.LBB94_3507:                            ;   in Loop: Header=BB94_17 Depth=1
	s_andn2_saveexec_b64 s[60:61], s[60:61]
	s_cbranch_execz .LBB94_3509
; %bb.3508:                             ;   in Loop: Header=BB94_17 Depth=1
	flat_load_ushort v14, v[14:15]
	s_waitcnt vmcnt(0) lgkmcnt(0)
	v_cvt_f32_u32_e32 v65, v14
.LBB94_3509:                            ;   in Loop: Header=BB94_17 Depth=1
	s_or_b64 exec, exec, s[60:61]
                                        ; implicit-def: $vgpr14_vgpr15
.LBB94_3510:                            ;   in Loop: Header=BB94_17 Depth=1
	s_andn2_saveexec_b64 s[74:75], vcc
	s_cbranch_execz .LBB94_3516
; %bb.3511:                             ;   in Loop: Header=BB94_17 Depth=1
	flat_load_ubyte v14, v[14:15]
	s_movk_i32 vcc_lo, 0x7f
	s_mov_b64 s[66:67], 0
                                        ; implicit-def: $sgpr70
	s_waitcnt vmcnt(0) lgkmcnt(0)
	v_cmp_lt_i16_e32 vcc, vcc_lo, v14
	s_and_saveexec_b64 s[60:61], vcc
	s_xor_b64 s[68:69], exec, s[60:61]
	s_cbranch_execnz .LBB94_3642
; %bb.3512:                             ;   in Loop: Header=BB94_17 Depth=1
	s_or_saveexec_b64 s[68:69], s[68:69]
	v_mov_b32_e32 v65, s70
	s_xor_b64 exec, exec, s[68:69]
	s_cbranch_execnz .LBB94_3645
.LBB94_3513:                            ;   in Loop: Header=BB94_17 Depth=1
	s_or_b64 exec, exec, s[68:69]
	s_and_saveexec_b64 s[68:69], s[66:67]
	s_cbranch_execz .LBB94_3515
.LBB94_3514:                            ;   in Loop: Header=BB94_17 Depth=1
	v_lshlrev_b32_e32 v15, 24, v14
	v_and_b32_e32 v14, 0xffff, v14
	v_and_b32_e32 v65, 7, v14
	v_ffbh_u32_e32 v67, v65
	v_min_u32_e32 v67, 32, v67
	v_subrev_u32_e32 v68, 28, v67
	v_bfe_u32 v66, v14, 3, 4
	v_lshlrev_b32_e32 v14, v68, v14
	v_sub_u32_e32 v67, 29, v67
	v_and_b32_e32 v14, 7, v14
	v_cmp_eq_u32_e32 vcc, 0, v66
	v_cndmask_b32_e32 v66, v66, v67, vcc
	v_cndmask_b32_e32 v14, v65, v14, vcc
	v_lshlrev_b32_e32 v14, 20, v14
	v_and_b32_e32 v15, 0x80000000, v15
	v_lshl_add_u32 v65, v66, 23, v30
	v_or3_b32 v65, v15, v65, v14
.LBB94_3515:                            ;   in Loop: Header=BB94_17 Depth=1
	s_or_b64 exec, exec, s[68:69]
.LBB94_3516:                            ;   in Loop: Header=BB94_17 Depth=1
	s_or_b64 exec, exec, s[74:75]
	s_andn2_b64 s[86:87], s[86:87], exec
	s_andn2_b64 s[72:73], s[72:73], exec
	s_or_b64 s[78:79], s[78:79], exec
.LBB94_3517:                            ;   in Loop: Header=BB94_17 Depth=1
	s_or_b64 exec, exec, s[80:81]
	v_readlane_b32 s62, v44, 48
	v_readlane_b32 s60, v44, 50
	s_and_b64 s[86:87], s[86:87], exec
	s_and_b64 s[66:67], s[72:73], exec
	;; [unrolled: 1-line block ×3, first 2 shown]
	v_readlane_b32 s63, v44, 49
	v_readlane_b32 s61, v44, 51
                                        ; implicit-def: $vgpr14_vgpr15
.LBB94_3518:                            ;   in Loop: Header=BB94_17 Depth=1
	s_andn2_saveexec_b64 s[80:81], s[60:61]
	s_cbranch_execz .LBB94_3544
; %bb.3519:                             ;   in Loop: Header=BB94_17 Depth=1
	v_writelane_b32 v44, s66, 52
	v_writelane_b32 v44, s67, 53
	;; [unrolled: 1-line block ×3, first 2 shown]
	v_cmp_gt_i16_sdwa vcc, v8, v31 src0_sel:BYTE_0 src1_sel:DWORD
	s_mov_b64 s[74:75], s[78:79]
	v_writelane_b32 v44, s77, 55
                                        ; implicit-def: $vgpr65
	s_and_saveexec_b64 s[60:61], vcc
	s_xor_b64 s[72:73], exec, s[60:61]
	s_cbranch_execz .LBB94_3533
; %bb.3520:                             ;   in Loop: Header=BB94_17 Depth=1
	v_cmp_gt_i16_sdwa vcc, v8, v32 src0_sel:BYTE_0 src1_sel:DWORD
                                        ; implicit-def: $vgpr65
	s_and_saveexec_b64 s[60:61], vcc
	s_xor_b64 s[62:63], exec, s[60:61]
	s_cbranch_execz .LBB94_3530
; %bb.3521:                             ;   in Loop: Header=BB94_17 Depth=1
	v_cmp_gt_i16_sdwa vcc, v8, v33 src0_sel:BYTE_0 src1_sel:DWORD
                                        ; implicit-def: $vgpr65
	s_and_saveexec_b64 s[60:61], vcc
	s_xor_b64 s[74:75], exec, s[60:61]
	s_cbranch_execz .LBB94_3527
; %bb.3522:                             ;   in Loop: Header=BB94_17 Depth=1
	flat_load_ubyte v14, v[14:15]
	s_movk_i32 vcc_lo, 0x7f
	s_mov_b64 s[66:67], 0
                                        ; implicit-def: $sgpr70
	s_waitcnt vmcnt(0) lgkmcnt(0)
	v_cmp_lt_i16_e32 vcc, vcc_lo, v14
	s_and_saveexec_b64 s[60:61], vcc
	s_xor_b64 s[68:69], exec, s[60:61]
	s_cbranch_execnz .LBB94_3646
; %bb.3523:                             ;   in Loop: Header=BB94_17 Depth=1
	s_or_saveexec_b64 s[68:69], s[68:69]
	v_mov_b32_e32 v65, s70
	s_xor_b64 exec, exec, s[68:69]
	s_cbranch_execnz .LBB94_3649
.LBB94_3524:                            ;   in Loop: Header=BB94_17 Depth=1
	s_or_b64 exec, exec, s[68:69]
	s_and_saveexec_b64 s[68:69], s[66:67]
	s_cbranch_execz .LBB94_3526
.LBB94_3525:                            ;   in Loop: Header=BB94_17 Depth=1
	v_lshlrev_b32_e32 v15, 24, v14
	v_and_b32_e32 v14, 0xffff, v14
	v_and_b32_e32 v65, 3, v14
	v_ffbh_u32_e32 v67, v65
	v_min_u32_e32 v67, 32, v67
	v_subrev_u32_e32 v68, 29, v67
	v_bfe_u32 v66, v14, 2, 5
	v_lshlrev_b32_e32 v14, v68, v14
	v_sub_u32_e32 v67, 30, v67
	v_and_b32_e32 v14, 3, v14
	v_cmp_eq_u32_e32 vcc, 0, v66
	v_cndmask_b32_e32 v66, v66, v67, vcc
	v_cndmask_b32_e32 v14, v65, v14, vcc
	v_lshlrev_b32_e32 v14, 21, v14
	v_and_b32_e32 v15, 0x80000000, v15
	v_lshl_add_u32 v65, v66, 23, v34
	v_or3_b32 v65, v15, v65, v14
.LBB94_3526:                            ;   in Loop: Header=BB94_17 Depth=1
	s_or_b64 exec, exec, s[68:69]
                                        ; implicit-def: $vgpr14_vgpr15
.LBB94_3527:                            ;   in Loop: Header=BB94_17 Depth=1
	s_andn2_saveexec_b64 s[66:67], s[74:75]
	s_cbranch_execz .LBB94_3529
; %bb.3528:                             ;   in Loop: Header=BB94_17 Depth=1
	flat_load_ubyte v14, v[14:15]
	s_mov_b32 vcc_lo, 0x7f800000
	s_waitcnt vmcnt(0) lgkmcnt(0)
	v_lshlrev_b32_e32 v14, 24, v14
	v_and_b32_e32 v15, 0x7f000000, v14
	v_ffbh_u32_e32 v65, v15
	v_min_u32_e32 v65, 32, v65
	v_sub_u32_e64 v65, v65, 4 clamp
	v_lshlrev_b32_e32 v67, v65, v15
	v_lshlrev_b32_e32 v65, 23, v65
	v_lshrrev_b32_e32 v67, 4, v67
	v_add_u32_e32 v66, 0x1000000, v15
	v_sub_u32_e32 v65, v67, v65
	v_ashrrev_i32_e32 v66, 8, v66
	v_add_u32_e32 v65, 0x3c000000, v65
	v_and_or_b32 v65, v66, vcc_lo, v65
	v_cmp_ne_u32_e32 vcc, 0, v15
	v_cndmask_b32_e32 v15, 0, v65, vcc
	s_brev_b32 vcc_lo, 1
	v_and_or_b32 v65, v14, vcc_lo, v15
.LBB94_3529:                            ;   in Loop: Header=BB94_17 Depth=1
	s_or_b64 exec, exec, s[66:67]
                                        ; implicit-def: $vgpr14_vgpr15
.LBB94_3530:                            ;   in Loop: Header=BB94_17 Depth=1
	s_andn2_saveexec_b64 s[66:67], s[62:63]
	s_cbranch_execz .LBB94_3532
; %bb.3531:                             ;   in Loop: Header=BB94_17 Depth=1
	flat_load_ubyte v14, v[14:15]
	s_movk_i32 vcc_lo, 0x7f00
	s_waitcnt vmcnt(0) lgkmcnt(0)
	v_lshlrev_b16_e32 v15, 8, v14
	v_lshlrev_b32_e32 v14, 25, v14
	v_lshrrev_b32_e32 v65, 4, v14
	v_and_or_b32 v66, v15, vcc_lo, 0.5
	v_or_b32_e32 v65, 0x70000000, v65
	s_brev_b32 vcc_lo, 16
	v_add_f32_e32 v66, -0.5, v66
	v_mul_f32_e32 v65, 0x7800000, v65
	v_cmp_gt_u32_e32 vcc, vcc_lo, v14
	v_cndmask_b32_e32 v14, v65, v66, vcc
	v_bfe_i32 v15, v15, 0, 16
	s_brev_b32 vcc_lo, 1
	v_and_or_b32 v65, v15, vcc_lo, v14
.LBB94_3532:                            ;   in Loop: Header=BB94_17 Depth=1
	s_or_b64 exec, exec, s[66:67]
	s_or_b64 s[74:75], s[78:79], exec
                                        ; implicit-def: $vgpr14_vgpr15
.LBB94_3533:                            ;   in Loop: Header=BB94_17 Depth=1
	s_or_saveexec_b64 s[72:73], s[72:73]
                                        ; implicit-def: $vcc
                                        ; implicit-def: $sgpr68_sgpr69
	s_xor_b64 exec, exec, s[72:73]
	s_cbranch_execz .LBB94_3543
; %bb.3534:                             ;   in Loop: Header=BB94_17 Depth=1
	v_cmp_gt_i16_sdwa vcc, v8, v35 src0_sel:BYTE_0 src1_sel:DWORD
	s_mov_b64 s[66:67], s[74:75]
                                        ; implicit-def: $sgpr68_sgpr69
                                        ; implicit-def: $sgpr76_sgpr77
                                        ; implicit-def: $vgpr65
	s_and_saveexec_b64 s[60:61], vcc
	s_xor_b64 vcc, exec, s[60:61]
	s_cbranch_execz .LBB94_3538
; %bb.3535:                             ;   in Loop: Header=BB94_17 Depth=1
	v_cmp_eq_u16_sdwa s[62:63], v8, v36 src0_sel:BYTE_0 src1_sel:DWORD
	s_mov_b64 s[66:67], s[74:75]
                                        ; implicit-def: $vgpr65
	s_and_saveexec_b64 s[60:61], s[62:63]
	s_cbranch_execz .LBB94_3537
; %bb.3536:                             ;   in Loop: Header=BB94_17 Depth=1
	flat_load_ushort v14, v[14:15]
	s_or_b64 s[66:67], s[74:75], exec
	s_waitcnt vmcnt(0) lgkmcnt(0)
	v_lshlrev_b32_e32 v65, 16, v14
.LBB94_3537:                            ;   in Loop: Header=BB94_17 Depth=1
	s_or_b64 exec, exec, s[60:61]
	s_andn2_b64 s[60:61], s[74:75], exec
	s_and_b64 s[62:63], s[66:67], exec
	s_mov_b64 s[76:77], 0
	s_mov_b64 s[68:69], -1
	s_or_b64 s[66:67], s[60:61], s[62:63]
                                        ; implicit-def: $vgpr14_vgpr15
.LBB94_3538:                            ;   in Loop: Header=BB94_17 Depth=1
	s_andn2_saveexec_b64 s[70:71], vcc
	s_cbranch_execz .LBB94_3542
; %bb.3539:                             ;   in Loop: Header=BB94_17 Depth=1
	v_cmp_eq_u16_sdwa s[62:63], v8, v37 src0_sel:BYTE_0 src1_sel:DWORD
	s_mov_b64 vcc, s[66:67]
                                        ; implicit-def: $vgpr65
	s_and_saveexec_b64 s[60:61], s[62:63]
	s_cbranch_execz .LBB94_3541
; %bb.3540:                             ;   in Loop: Header=BB94_17 Depth=1
	flat_load_ubyte v14, v[14:15]
	s_waitcnt vmcnt(0) lgkmcnt(0)
	v_cmp_ne_u16_e32 vcc, 0, v14
	v_cndmask_b32_e64 v65, 0, 1.0, vcc
	s_or_b64 vcc, s[66:67], exec
.LBB94_3541:                            ;   in Loop: Header=BB94_17 Depth=1
	s_or_b64 exec, exec, s[60:61]
	s_andn2_b64 s[60:61], s[66:67], exec
	s_and_b64 vcc, vcc, exec
	s_or_b64 s[68:69], s[68:69], exec
	s_andn2_b64 s[76:77], s[76:77], exec
	s_or_b64 s[66:67], s[60:61], vcc
.LBB94_3542:                            ;   in Loop: Header=BB94_17 Depth=1
	s_or_b64 exec, exec, s[70:71]
	s_andn2_b64 s[60:61], s[74:75], exec
	s_and_b64 s[62:63], s[66:67], exec
	s_and_b64 s[68:69], s[68:69], exec
	s_and_b64 vcc, s[76:77], exec
	s_or_b64 s[74:75], s[60:61], s[62:63]
.LBB94_3543:                            ;   in Loop: Header=BB94_17 Depth=1
	s_or_b64 exec, exec, s[72:73]
	s_andn2_b64 s[60:61], s[86:87], exec
	s_and_b64 s[62:63], s[68:69], exec
	s_or_b64 s[86:87], s[60:61], s[62:63]
	v_readlane_b32 s60, v44, 52
	v_readlane_b32 s61, v44, 53
	s_andn2_b64 s[60:61], s[60:61], exec
	s_and_b64 vcc, vcc, exec
	s_or_b64 s[66:67], s[60:61], vcc
	s_andn2_b64 vcc, s[78:79], exec
	s_and_b64 s[60:61], s[74:75], exec
	v_readlane_b32 s76, v44, 54
	v_readlane_b32 s62, v44, 48
	s_or_b64 s[78:79], vcc, s[60:61]
	v_readlane_b32 s77, v44, 55
	v_readlane_b32 s63, v44, 49
.LBB94_3544:                            ;   in Loop: Header=BB94_17 Depth=1
	s_or_b64 exec, exec, s[80:81]
	s_and_b64 s[86:87], s[86:87], exec
	s_and_b64 vcc, s[66:67], exec
	s_and_b64 s[78:79], s[78:79], exec
                                        ; implicit-def: $vgpr14_vgpr15
	s_andn2_saveexec_b64 s[80:81], s[62:63]
	s_cbranch_execz .LBB94_3464
.LBB94_3545:                            ;   in Loop: Header=BB94_17 Depth=1
	v_cmp_gt_i16_sdwa s[60:61], v8, v38 src0_sel:BYTE_0 src1_sel:DWORD
                                        ; implicit-def: $vgpr65
	s_and_saveexec_b64 s[62:63], s[60:61]
	s_xor_b64 s[72:73], exec, s[62:63]
	s_cbranch_execz .LBB94_3567
; %bb.3546:                             ;   in Loop: Header=BB94_17 Depth=1
	v_cmp_gt_i16_sdwa s[60:61], v8, v39 src0_sel:BYTE_0 src1_sel:DWORD
                                        ; implicit-def: $vgpr65
	s_and_saveexec_b64 s[62:63], s[60:61]
	s_xor_b64 s[66:67], exec, s[62:63]
	s_cbranch_execz .LBB94_3556
; %bb.3547:                             ;   in Loop: Header=BB94_17 Depth=1
	;; [unrolled: 6-line block ×4, first 2 shown]
	flat_load_dwordx2 v[14:15], v[14:15]
	s_waitcnt vmcnt(0) lgkmcnt(0)
	v_cvt_f32_f64_e32 v65, v[14:15]
                                        ; implicit-def: $vgpr14_vgpr15
.LBB94_3550:                            ;   in Loop: Header=BB94_17 Depth=1
	s_andn2_saveexec_b64 s[60:61], s[60:61]
	s_cbranch_execz .LBB94_3552
; %bb.3551:                             ;   in Loop: Header=BB94_17 Depth=1
	flat_load_dword v65, v[14:15]
.LBB94_3552:                            ;   in Loop: Header=BB94_17 Depth=1
	s_or_b64 exec, exec, s[60:61]
                                        ; implicit-def: $vgpr14_vgpr15
.LBB94_3553:                            ;   in Loop: Header=BB94_17 Depth=1
	s_andn2_saveexec_b64 s[60:61], s[68:69]
	s_cbranch_execz .LBB94_3555
; %bb.3554:                             ;   in Loop: Header=BB94_17 Depth=1
	flat_load_dword v14, v[14:15]
	s_waitcnt vmcnt(0) lgkmcnt(0)
	v_cvt_f32_f16_e32 v65, v14
.LBB94_3555:                            ;   in Loop: Header=BB94_17 Depth=1
	s_or_b64 exec, exec, s[60:61]
                                        ; implicit-def: $vgpr14_vgpr15
.LBB94_3556:                            ;   in Loop: Header=BB94_17 Depth=1
	s_andn2_saveexec_b64 s[66:67], s[66:67]
	s_cbranch_execz .LBB94_3566
; %bb.3557:                             ;   in Loop: Header=BB94_17 Depth=1
	v_cmp_gt_i16_sdwa s[60:61], v8, v50 src0_sel:BYTE_0 src1_sel:DWORD
                                        ; implicit-def: $vgpr65
	s_and_saveexec_b64 s[62:63], s[60:61]
	s_xor_b64 s[68:69], exec, s[62:63]
	s_cbranch_execz .LBB94_3563
; %bb.3558:                             ;   in Loop: Header=BB94_17 Depth=1
	v_cmp_gt_i16_sdwa s[60:61], v8, v51 src0_sel:BYTE_0 src1_sel:DWORD
                                        ; implicit-def: $vgpr65
	s_and_saveexec_b64 s[62:63], s[60:61]
	s_xor_b64 s[60:61], exec, s[62:63]
	s_cbranch_execz .LBB94_3560
; %bb.3559:                             ;   in Loop: Header=BB94_17 Depth=1
	flat_load_dwordx2 v[14:15], v[14:15]
	s_waitcnt vmcnt(0) lgkmcnt(0)
	v_cvt_f32_f64_e32 v65, v[14:15]
                                        ; implicit-def: $vgpr14_vgpr15
.LBB94_3560:                            ;   in Loop: Header=BB94_17 Depth=1
	s_andn2_saveexec_b64 s[60:61], s[60:61]
	s_cbranch_execz .LBB94_3562
; %bb.3561:                             ;   in Loop: Header=BB94_17 Depth=1
	s_waitcnt vmcnt(0) lgkmcnt(0)
	flat_load_dword v65, v[14:15]
.LBB94_3562:                            ;   in Loop: Header=BB94_17 Depth=1
	s_or_b64 exec, exec, s[60:61]
                                        ; implicit-def: $vgpr14_vgpr15
.LBB94_3563:                            ;   in Loop: Header=BB94_17 Depth=1
	s_andn2_saveexec_b64 s[60:61], s[68:69]
	s_cbranch_execz .LBB94_3565
; %bb.3564:                             ;   in Loop: Header=BB94_17 Depth=1
	flat_load_ushort v14, v[14:15]
	s_waitcnt vmcnt(0) lgkmcnt(0)
	v_cvt_f32_f16_e32 v65, v14
.LBB94_3565:                            ;   in Loop: Header=BB94_17 Depth=1
	s_or_b64 exec, exec, s[60:61]
.LBB94_3566:                            ;   in Loop: Header=BB94_17 Depth=1
	s_or_b64 exec, exec, s[66:67]
                                        ; implicit-def: $vgpr14_vgpr15
.LBB94_3567:                            ;   in Loop: Header=BB94_17 Depth=1
	s_andn2_saveexec_b64 s[72:73], s[72:73]
	s_cbranch_execz .LBB94_3585
; %bb.3568:                             ;   in Loop: Header=BB94_17 Depth=1
	v_cmp_gt_i16_sdwa s[60:61], v8, v52 src0_sel:BYTE_0 src1_sel:DWORD
                                        ; implicit-def: $vgpr65
	s_and_saveexec_b64 s[62:63], s[60:61]
	s_xor_b64 s[74:75], exec, s[62:63]
	s_cbranch_execz .LBB94_3578
; %bb.3569:                             ;   in Loop: Header=BB94_17 Depth=1
	v_cmp_gt_i16_sdwa s[60:61], v8, v53 src0_sel:BYTE_0 src1_sel:DWORD
                                        ; implicit-def: $vgpr65
	s_and_saveexec_b64 s[62:63], s[60:61]
	s_xor_b64 s[66:67], exec, s[62:63]
	;; [unrolled: 6-line block ×3, first 2 shown]
	s_cbranch_execz .LBB94_3572
; %bb.3571:                             ;   in Loop: Header=BB94_17 Depth=1
	flat_load_dwordx2 v[14:15], v[14:15]
	s_waitcnt vmcnt(0) lgkmcnt(0)
	v_xor_b32_e32 v66, v14, v15
	v_ffbh_i32_e32 v65, v15
	v_ashrrev_i32_e32 v66, 31, v66
	v_add_u32_e32 v65, -1, v65
	v_add_u32_e32 v66, 32, v66
	v_min_u32_e32 v65, v65, v66
	v_lshlrev_b64 v[14:15], v65, v[14:15]
	v_min_u32_e32 v14, 1, v14
	v_or_b32_e32 v14, v15, v14
	v_cvt_f32_i32_e32 v14, v14
	v_sub_u32_e32 v15, 32, v65
	v_ldexp_f32 v65, v14, v15
                                        ; implicit-def: $vgpr14_vgpr15
.LBB94_3572:                            ;   in Loop: Header=BB94_17 Depth=1
	s_andn2_saveexec_b64 s[60:61], s[68:69]
	s_cbranch_execz .LBB94_3574
; %bb.3573:                             ;   in Loop: Header=BB94_17 Depth=1
	flat_load_dword v14, v[14:15]
	s_waitcnt vmcnt(0) lgkmcnt(0)
	v_cvt_f32_i32_e32 v65, v14
.LBB94_3574:                            ;   in Loop: Header=BB94_17 Depth=1
	s_or_b64 exec, exec, s[60:61]
                                        ; implicit-def: $vgpr14_vgpr15
.LBB94_3575:                            ;   in Loop: Header=BB94_17 Depth=1
	s_andn2_saveexec_b64 s[60:61], s[66:67]
	s_cbranch_execz .LBB94_3577
; %bb.3576:                             ;   in Loop: Header=BB94_17 Depth=1
	flat_load_sshort v14, v[14:15]
	s_waitcnt vmcnt(0) lgkmcnt(0)
	v_cvt_f32_i32_e32 v65, v14
.LBB94_3577:                            ;   in Loop: Header=BB94_17 Depth=1
	s_or_b64 exec, exec, s[60:61]
                                        ; implicit-def: $vgpr14_vgpr15
.LBB94_3578:                            ;   in Loop: Header=BB94_17 Depth=1
	s_andn2_saveexec_b64 s[66:67], s[74:75]
	s_cbranch_execz .LBB94_3584
; %bb.3579:                             ;   in Loop: Header=BB94_17 Depth=1
	v_cmp_gt_i16_sdwa s[60:61], v8, v16 src0_sel:BYTE_0 src1_sel:DWORD
                                        ; implicit-def: $vgpr65
	s_and_saveexec_b64 s[62:63], s[60:61]
	s_xor_b64 s[60:61], exec, s[62:63]
	s_cbranch_execz .LBB94_3581
; %bb.3580:                             ;   in Loop: Header=BB94_17 Depth=1
	flat_load_sbyte v14, v[14:15]
	s_waitcnt vmcnt(0) lgkmcnt(0)
	v_cvt_f32_i32_e32 v65, v14
                                        ; implicit-def: $vgpr14_vgpr15
.LBB94_3581:                            ;   in Loop: Header=BB94_17 Depth=1
	s_andn2_saveexec_b64 s[60:61], s[60:61]
	s_cbranch_execz .LBB94_3583
; %bb.3582:                             ;   in Loop: Header=BB94_17 Depth=1
	flat_load_ubyte v14, v[14:15]
	s_waitcnt vmcnt(0) lgkmcnt(0)
	v_cvt_f32_ubyte0_e32 v65, v14
.LBB94_3583:                            ;   in Loop: Header=BB94_17 Depth=1
	s_or_b64 exec, exec, s[60:61]
.LBB94_3584:                            ;   in Loop: Header=BB94_17 Depth=1
	s_or_b64 exec, exec, s[66:67]
.LBB94_3585:                            ;   in Loop: Header=BB94_17 Depth=1
	s_or_b64 exec, exec, s[72:73]
	s_andn2_b64 s[86:87], s[86:87], exec
	s_andn2_b64 vcc, vcc, exec
	s_or_b64 s[78:79], s[78:79], exec
	s_or_b64 exec, exec, s[80:81]
	s_mov_b64 s[66:67], 0
	s_and_saveexec_b64 s[68:69], s[78:79]
	s_cbranch_execnz .LBB94_3465
	s_branch .LBB94_3466
.LBB94_3586:                            ;   in Loop: Header=BB94_17 Depth=1
	s_movk_i32 vcc_lo, 0x80
	v_cmp_eq_u16_e32 vcc, vcc_lo, v14
	s_mov_b64 s[66:67], -1
                                        ; implicit-def: $sgpr70
	s_and_saveexec_b64 s[60:61], vcc
; %bb.3587:                             ;   in Loop: Header=BB94_17 Depth=1
	s_mov_b32 s70, 0x7f800001
	s_xor_b64 s[66:67], exec, -1
; %bb.3588:                             ;   in Loop: Header=BB94_17 Depth=1
	s_or_b64 exec, exec, s[60:61]
	s_and_b64 s[66:67], s[66:67], exec
	s_or_saveexec_b64 s[68:69], s[68:69]
	v_mov_b32_e32 v65, s70
	s_xor_b64 exec, exec, s[68:69]
	s_cbranch_execz .LBB94_2619
.LBB94_3589:                            ;   in Loop: Header=BB94_17 Depth=1
	v_cmp_ne_u16_e32 vcc, 0, v14
	s_andn2_b64 s[60:61], s[66:67], exec
	s_and_b64 vcc, vcc, exec
	v_mov_b32_e32 v65, 0
	s_or_b64 s[66:67], s[60:61], vcc
	s_or_b64 exec, exec, s[68:69]
	s_and_saveexec_b64 s[68:69], s[66:67]
	s_cbranch_execnz .LBB94_2620
	s_branch .LBB94_2621
.LBB94_3590:                            ;   in Loop: Header=BB94_17 Depth=1
	s_movk_i32 vcc_lo, 0x80
	v_cmp_eq_u16_e32 vcc, vcc_lo, v14
	s_mov_b64 s[66:67], -1
                                        ; implicit-def: $sgpr70
	s_and_saveexec_b64 s[60:61], vcc
; %bb.3591:                             ;   in Loop: Header=BB94_17 Depth=1
	s_mov_b32 s70, 0x7f800001
	s_xor_b64 s[66:67], exec, -1
; %bb.3592:                             ;   in Loop: Header=BB94_17 Depth=1
	s_or_b64 exec, exec, s[60:61]
	s_and_b64 s[66:67], s[66:67], exec
	s_or_saveexec_b64 s[68:69], s[68:69]
	v_mov_b32_e32 v66, s70
	s_xor_b64 exec, exec, s[68:69]
	s_cbranch_execz .LBB94_2719
.LBB94_3593:                            ;   in Loop: Header=BB94_17 Depth=1
	v_cmp_ne_u16_e32 vcc, 0, v14
	s_andn2_b64 s[60:61], s[66:67], exec
	s_and_b64 vcc, vcc, exec
	v_mov_b32_e32 v66, 0
	s_or_b64 s[66:67], s[60:61], vcc
	s_or_b64 exec, exec, s[68:69]
	s_and_saveexec_b64 s[68:69], s[66:67]
	s_cbranch_execnz .LBB94_2720
	s_branch .LBB94_2721
.LBB94_3594:                            ;   in Loop: Header=BB94_17 Depth=1
	s_movk_i32 vcc_lo, 0x80
	v_cmp_eq_u16_e32 vcc, vcc_lo, v14
	s_mov_b64 s[66:67], -1
                                        ; implicit-def: $sgpr70
	s_and_saveexec_b64 s[60:61], vcc
; %bb.3595:                             ;   in Loop: Header=BB94_17 Depth=1
	s_mov_b32 s70, 0x7f800001
	s_xor_b64 s[66:67], exec, -1
; %bb.3596:                             ;   in Loop: Header=BB94_17 Depth=1
	s_or_b64 exec, exec, s[60:61]
	s_and_b64 s[66:67], s[66:67], exec
	s_or_saveexec_b64 s[68:69], s[68:69]
	v_mov_b32_e32 v65, s70
	s_xor_b64 exec, exec, s[68:69]
	s_cbranch_execz .LBB94_2809
.LBB94_3597:                            ;   in Loop: Header=BB94_17 Depth=1
	v_cmp_ne_u16_e32 vcc, 0, v14
	s_andn2_b64 s[60:61], s[66:67], exec
	s_and_b64 vcc, vcc, exec
	v_mov_b32_e32 v65, 0
	s_or_b64 s[66:67], s[60:61], vcc
	s_or_b64 exec, exec, s[68:69]
	s_and_saveexec_b64 s[68:69], s[66:67]
	s_cbranch_execnz .LBB94_2810
	s_branch .LBB94_2811
.LBB94_3598:                            ;   in Loop: Header=BB94_17 Depth=1
	s_movk_i32 vcc_lo, 0x80
	v_cmp_eq_u16_e32 vcc, vcc_lo, v14
	s_mov_b64 s[66:67], -1
                                        ; implicit-def: $sgpr70
	s_and_saveexec_b64 s[60:61], vcc
; %bb.3599:                             ;   in Loop: Header=BB94_17 Depth=1
	s_mov_b32 s70, 0x7f800001
	s_xor_b64 s[66:67], exec, -1
; %bb.3600:                             ;   in Loop: Header=BB94_17 Depth=1
	s_or_b64 exec, exec, s[60:61]
	s_and_b64 s[66:67], s[66:67], exec
	s_or_saveexec_b64 s[68:69], s[68:69]
	v_mov_b32_e32 v66, s70
	s_xor_b64 exec, exec, s[68:69]
	s_cbranch_execz .LBB94_2935
.LBB94_3601:                            ;   in Loop: Header=BB94_17 Depth=1
	v_cmp_ne_u16_e32 vcc, 0, v14
	s_andn2_b64 s[60:61], s[66:67], exec
	s_and_b64 vcc, vcc, exec
	v_mov_b32_e32 v66, 0
	s_or_b64 s[66:67], s[60:61], vcc
	s_or_b64 exec, exec, s[68:69]
	s_and_saveexec_b64 s[68:69], s[66:67]
	s_cbranch_execnz .LBB94_2936
	s_branch .LBB94_2937
.LBB94_3602:                            ;   in Loop: Header=BB94_17 Depth=1
	s_movk_i32 vcc_lo, 0x80
	v_cmp_eq_u16_e32 vcc, vcc_lo, v14
	s_mov_b64 s[66:67], -1
                                        ; implicit-def: $sgpr70
	s_and_saveexec_b64 s[60:61], vcc
; %bb.3603:                             ;   in Loop: Header=BB94_17 Depth=1
	s_mov_b32 s70, 0x7f800001
	s_xor_b64 s[66:67], exec, -1
; %bb.3604:                             ;   in Loop: Header=BB94_17 Depth=1
	s_or_b64 exec, exec, s[60:61]
	s_and_b64 s[66:67], s[66:67], exec
	s_or_saveexec_b64 s[68:69], s[68:69]
	v_mov_b32_e32 v65, s70
	s_xor_b64 exec, exec, s[68:69]
	s_cbranch_execz .LBB94_2820
.LBB94_3605:                            ;   in Loop: Header=BB94_17 Depth=1
	v_cmp_ne_u16_e32 vcc, 0, v14
	s_andn2_b64 s[60:61], s[66:67], exec
	s_and_b64 vcc, vcc, exec
	v_mov_b32_e32 v65, 0
	s_or_b64 s[66:67], s[60:61], vcc
	s_or_b64 exec, exec, s[68:69]
	s_and_saveexec_b64 s[68:69], s[66:67]
	s_cbranch_execnz .LBB94_2821
	s_branch .LBB94_2822
.LBB94_3606:                            ;   in Loop: Header=BB94_17 Depth=1
	s_movk_i32 vcc_lo, 0x80
	v_cmp_eq_u16_e32 vcc, vcc_lo, v14
	s_mov_b64 s[66:67], -1
                                        ; implicit-def: $sgpr70
	s_and_saveexec_b64 s[60:61], vcc
; %bb.3607:                             ;   in Loop: Header=BB94_17 Depth=1
	s_mov_b32 s70, 0x7f800001
	s_xor_b64 s[66:67], exec, -1
; %bb.3608:                             ;   in Loop: Header=BB94_17 Depth=1
	s_or_b64 exec, exec, s[60:61]
	s_and_b64 s[66:67], s[66:67], exec
	s_or_saveexec_b64 s[68:69], s[68:69]
	v_mov_b32_e32 v66, s70
	s_xor_b64 exec, exec, s[68:69]
	s_cbranch_execz .LBB94_2946
.LBB94_3609:                            ;   in Loop: Header=BB94_17 Depth=1
	v_cmp_ne_u16_e32 vcc, 0, v14
	s_andn2_b64 s[60:61], s[66:67], exec
	s_and_b64 vcc, vcc, exec
	v_mov_b32_e32 v66, 0
	s_or_b64 s[66:67], s[60:61], vcc
	s_or_b64 exec, exec, s[68:69]
	s_and_saveexec_b64 s[68:69], s[66:67]
	s_cbranch_execnz .LBB94_2947
	s_branch .LBB94_2948
.LBB94_3610:                            ;   in Loop: Header=BB94_17 Depth=1
	s_movk_i32 vcc_lo, 0x80
	v_cmp_eq_u16_e32 vcc, vcc_lo, v14
	s_mov_b64 s[66:67], -1
                                        ; implicit-def: $sgpr70
	s_and_saveexec_b64 s[60:61], vcc
; %bb.3611:                             ;   in Loop: Header=BB94_17 Depth=1
	s_mov_b32 s70, 0x7f800001
	s_xor_b64 s[66:67], exec, -1
; %bb.3612:                             ;   in Loop: Header=BB94_17 Depth=1
	s_or_b64 exec, exec, s[60:61]
	s_and_b64 s[66:67], s[66:67], exec
	s_or_saveexec_b64 s[68:69], s[68:69]
	v_mov_b32_e32 v65, s70
	s_xor_b64 exec, exec, s[68:69]
	s_cbranch_execz .LBB94_3036
.LBB94_3613:                            ;   in Loop: Header=BB94_17 Depth=1
	v_cmp_ne_u16_e32 vcc, 0, v14
	s_andn2_b64 s[60:61], s[66:67], exec
	s_and_b64 vcc, vcc, exec
	v_mov_b32_e32 v65, 0
	s_or_b64 s[66:67], s[60:61], vcc
	s_or_b64 exec, exec, s[68:69]
	s_and_saveexec_b64 s[68:69], s[66:67]
	s_cbranch_execnz .LBB94_3037
	s_branch .LBB94_3038
.LBB94_3614:                            ;   in Loop: Header=BB94_17 Depth=1
	s_movk_i32 vcc_lo, 0x80
	v_cmp_eq_u16_e32 vcc, vcc_lo, v14
	s_mov_b64 s[66:67], -1
                                        ; implicit-def: $sgpr70
	s_and_saveexec_b64 s[60:61], vcc
; %bb.3615:                             ;   in Loop: Header=BB94_17 Depth=1
	s_mov_b32 s70, 0x7f800001
	s_xor_b64 s[66:67], exec, -1
; %bb.3616:                             ;   in Loop: Header=BB94_17 Depth=1
	s_or_b64 exec, exec, s[60:61]
	s_and_b64 s[66:67], s[66:67], exec
	s_or_saveexec_b64 s[68:69], s[68:69]
	v_mov_b32_e32 v66, s70
	s_xor_b64 exec, exec, s[68:69]
	s_cbranch_execz .LBB94_3162
.LBB94_3617:                            ;   in Loop: Header=BB94_17 Depth=1
	v_cmp_ne_u16_e32 vcc, 0, v14
	s_andn2_b64 s[60:61], s[66:67], exec
	s_and_b64 vcc, vcc, exec
	v_mov_b32_e32 v66, 0
	s_or_b64 s[66:67], s[60:61], vcc
	s_or_b64 exec, exec, s[68:69]
	s_and_saveexec_b64 s[68:69], s[66:67]
	s_cbranch_execnz .LBB94_3163
	s_branch .LBB94_3164
.LBB94_3618:                            ;   in Loop: Header=BB94_17 Depth=1
	s_movk_i32 vcc_lo, 0x80
	v_cmp_eq_u16_e32 vcc, vcc_lo, v14
	s_mov_b64 s[66:67], -1
                                        ; implicit-def: $sgpr70
	s_and_saveexec_b64 s[60:61], vcc
; %bb.3619:                             ;   in Loop: Header=BB94_17 Depth=1
	s_mov_b32 s70, 0x7f800001
	s_xor_b64 s[66:67], exec, -1
; %bb.3620:                             ;   in Loop: Header=BB94_17 Depth=1
	s_or_b64 exec, exec, s[60:61]
	s_and_b64 s[66:67], s[66:67], exec
	s_or_saveexec_b64 s[68:69], s[68:69]
	v_mov_b32_e32 v65, s70
	s_xor_b64 exec, exec, s[68:69]
	s_cbranch_execz .LBB94_3047
.LBB94_3621:                            ;   in Loop: Header=BB94_17 Depth=1
	v_cmp_ne_u16_e32 vcc, 0, v14
	s_andn2_b64 s[60:61], s[66:67], exec
	s_and_b64 vcc, vcc, exec
	v_mov_b32_e32 v65, 0
	s_or_b64 s[66:67], s[60:61], vcc
	s_or_b64 exec, exec, s[68:69]
	s_and_saveexec_b64 s[68:69], s[66:67]
	s_cbranch_execnz .LBB94_3048
	s_branch .LBB94_3049
.LBB94_3622:                            ;   in Loop: Header=BB94_17 Depth=1
	s_movk_i32 vcc_lo, 0x80
	v_cmp_eq_u16_e32 vcc, vcc_lo, v14
	s_mov_b64 s[66:67], -1
                                        ; implicit-def: $sgpr70
	s_and_saveexec_b64 s[60:61], vcc
; %bb.3623:                             ;   in Loop: Header=BB94_17 Depth=1
	s_mov_b32 s70, 0x7f800001
	s_xor_b64 s[66:67], exec, -1
; %bb.3624:                             ;   in Loop: Header=BB94_17 Depth=1
	s_or_b64 exec, exec, s[60:61]
	s_and_b64 s[66:67], s[66:67], exec
	s_or_saveexec_b64 s[68:69], s[68:69]
	v_mov_b32_e32 v66, s70
	s_xor_b64 exec, exec, s[68:69]
	s_cbranch_execz .LBB94_3173
.LBB94_3625:                            ;   in Loop: Header=BB94_17 Depth=1
	v_cmp_ne_u16_e32 vcc, 0, v14
	s_andn2_b64 s[60:61], s[66:67], exec
	s_and_b64 vcc, vcc, exec
	v_mov_b32_e32 v66, 0
	s_or_b64 s[66:67], s[60:61], vcc
	s_or_b64 exec, exec, s[68:69]
	s_and_saveexec_b64 s[68:69], s[66:67]
	s_cbranch_execnz .LBB94_3174
	s_branch .LBB94_3175
.LBB94_3626:                            ;   in Loop: Header=BB94_17 Depth=1
	s_movk_i32 vcc_lo, 0x80
	v_cmp_eq_u16_e32 vcc, vcc_lo, v14
	s_mov_b64 s[66:67], -1
                                        ; implicit-def: $sgpr70
	s_and_saveexec_b64 s[60:61], vcc
; %bb.3627:                             ;   in Loop: Header=BB94_17 Depth=1
	s_mov_b32 s70, 0x7f800001
	s_xor_b64 s[66:67], exec, -1
; %bb.3628:                             ;   in Loop: Header=BB94_17 Depth=1
	s_or_b64 exec, exec, s[60:61]
	s_and_b64 s[66:67], s[66:67], exec
	s_or_saveexec_b64 s[68:69], s[68:69]
	v_mov_b32_e32 v65, s70
	s_xor_b64 exec, exec, s[68:69]
	s_cbranch_execz .LBB94_3263
.LBB94_3629:                            ;   in Loop: Header=BB94_17 Depth=1
	v_cmp_ne_u16_e32 vcc, 0, v14
	s_andn2_b64 s[60:61], s[66:67], exec
	s_and_b64 vcc, vcc, exec
	v_mov_b32_e32 v65, 0
	s_or_b64 s[66:67], s[60:61], vcc
	s_or_b64 exec, exec, s[68:69]
	s_and_saveexec_b64 s[68:69], s[66:67]
	s_cbranch_execnz .LBB94_3264
	s_branch .LBB94_3265
.LBB94_3630:                            ;   in Loop: Header=BB94_17 Depth=1
	s_movk_i32 vcc_lo, 0x80
	v_cmp_eq_u16_e32 vcc, vcc_lo, v14
	s_mov_b64 s[66:67], -1
                                        ; implicit-def: $sgpr70
	s_and_saveexec_b64 s[60:61], vcc
; %bb.3631:                             ;   in Loop: Header=BB94_17 Depth=1
	s_mov_b32 s70, 0x7f800001
	s_xor_b64 s[66:67], exec, -1
; %bb.3632:                             ;   in Loop: Header=BB94_17 Depth=1
	s_or_b64 exec, exec, s[60:61]
	s_and_b64 s[66:67], s[66:67], exec
	s_or_saveexec_b64 s[68:69], s[68:69]
	v_mov_b32_e32 v66, s70
	s_xor_b64 exec, exec, s[68:69]
	s_cbranch_execz .LBB94_3389
.LBB94_3633:                            ;   in Loop: Header=BB94_17 Depth=1
	v_cmp_ne_u16_e32 vcc, 0, v14
	s_andn2_b64 s[60:61], s[66:67], exec
	s_and_b64 vcc, vcc, exec
	v_mov_b32_e32 v66, 0
	s_or_b64 s[66:67], s[60:61], vcc
	s_or_b64 exec, exec, s[68:69]
	s_and_saveexec_b64 s[68:69], s[66:67]
	s_cbranch_execnz .LBB94_3390
	s_branch .LBB94_3391
.LBB94_3634:                            ;   in Loop: Header=BB94_17 Depth=1
	s_movk_i32 vcc_lo, 0x80
	v_cmp_eq_u16_e32 vcc, vcc_lo, v14
	s_mov_b64 s[66:67], -1
                                        ; implicit-def: $sgpr70
	s_and_saveexec_b64 s[60:61], vcc
; %bb.3635:                             ;   in Loop: Header=BB94_17 Depth=1
	s_mov_b32 s70, 0x7f800001
	s_xor_b64 s[66:67], exec, -1
; %bb.3636:                             ;   in Loop: Header=BB94_17 Depth=1
	s_or_b64 exec, exec, s[60:61]
	s_and_b64 s[66:67], s[66:67], exec
	s_or_saveexec_b64 s[68:69], s[68:69]
	v_mov_b32_e32 v65, s70
	s_xor_b64 exec, exec, s[68:69]
	s_cbranch_execz .LBB94_3274
.LBB94_3637:                            ;   in Loop: Header=BB94_17 Depth=1
	v_cmp_ne_u16_e32 vcc, 0, v14
	s_andn2_b64 s[60:61], s[66:67], exec
	s_and_b64 vcc, vcc, exec
	v_mov_b32_e32 v65, 0
	s_or_b64 s[66:67], s[60:61], vcc
	s_or_b64 exec, exec, s[68:69]
	s_and_saveexec_b64 s[68:69], s[66:67]
	s_cbranch_execnz .LBB94_3275
	s_branch .LBB94_3276
.LBB94_3638:                            ;   in Loop: Header=BB94_17 Depth=1
	s_movk_i32 vcc_lo, 0x80
	v_cmp_eq_u16_e32 vcc, vcc_lo, v14
	s_mov_b64 s[66:67], -1
                                        ; implicit-def: $sgpr70
	s_and_saveexec_b64 s[60:61], vcc
; %bb.3639:                             ;   in Loop: Header=BB94_17 Depth=1
	s_mov_b32 s70, 0x7f800001
	s_xor_b64 s[66:67], exec, -1
; %bb.3640:                             ;   in Loop: Header=BB94_17 Depth=1
	s_or_b64 exec, exec, s[60:61]
	s_and_b64 s[66:67], s[66:67], exec
	s_or_saveexec_b64 s[68:69], s[68:69]
	v_mov_b32_e32 v66, s70
	s_xor_b64 exec, exec, s[68:69]
	s_cbranch_execz .LBB94_3400
.LBB94_3641:                            ;   in Loop: Header=BB94_17 Depth=1
	v_cmp_ne_u16_e32 vcc, 0, v14
	s_andn2_b64 s[60:61], s[66:67], exec
	s_and_b64 vcc, vcc, exec
	v_mov_b32_e32 v66, 0
	s_or_b64 s[66:67], s[60:61], vcc
	s_or_b64 exec, exec, s[68:69]
	s_and_saveexec_b64 s[68:69], s[66:67]
	s_cbranch_execnz .LBB94_3401
	s_branch .LBB94_3402
.LBB94_3642:                            ;   in Loop: Header=BB94_17 Depth=1
	s_movk_i32 vcc_lo, 0x80
	v_cmp_eq_u16_e32 vcc, vcc_lo, v14
	s_mov_b64 s[66:67], -1
                                        ; implicit-def: $sgpr70
	s_and_saveexec_b64 s[60:61], vcc
; %bb.3643:                             ;   in Loop: Header=BB94_17 Depth=1
	s_mov_b32 s70, 0x7f800001
	s_xor_b64 s[66:67], exec, -1
; %bb.3644:                             ;   in Loop: Header=BB94_17 Depth=1
	s_or_b64 exec, exec, s[60:61]
	s_and_b64 s[66:67], s[66:67], exec
	s_or_saveexec_b64 s[68:69], s[68:69]
	v_mov_b32_e32 v65, s70
	s_xor_b64 exec, exec, s[68:69]
	s_cbranch_execz .LBB94_3513
.LBB94_3645:                            ;   in Loop: Header=BB94_17 Depth=1
	v_cmp_ne_u16_e32 vcc, 0, v14
	s_andn2_b64 s[60:61], s[66:67], exec
	s_and_b64 vcc, vcc, exec
	v_mov_b32_e32 v65, 0
	s_or_b64 s[66:67], s[60:61], vcc
	s_or_b64 exec, exec, s[68:69]
	s_and_saveexec_b64 s[68:69], s[66:67]
	s_cbranch_execnz .LBB94_3514
	s_branch .LBB94_3515
.LBB94_3646:                            ;   in Loop: Header=BB94_17 Depth=1
	s_movk_i32 vcc_lo, 0x80
	v_cmp_eq_u16_e32 vcc, vcc_lo, v14
	s_mov_b64 s[66:67], -1
                                        ; implicit-def: $sgpr70
	s_and_saveexec_b64 s[60:61], vcc
; %bb.3647:                             ;   in Loop: Header=BB94_17 Depth=1
	s_mov_b32 s70, 0x7f800001
	s_xor_b64 s[66:67], exec, -1
; %bb.3648:                             ;   in Loop: Header=BB94_17 Depth=1
	s_or_b64 exec, exec, s[60:61]
	s_and_b64 s[66:67], s[66:67], exec
	s_or_saveexec_b64 s[68:69], s[68:69]
	v_mov_b32_e32 v65, s70
	s_xor_b64 exec, exec, s[68:69]
	s_cbranch_execz .LBB94_3524
.LBB94_3649:                            ;   in Loop: Header=BB94_17 Depth=1
	v_cmp_ne_u16_e32 vcc, 0, v14
	s_andn2_b64 s[60:61], s[66:67], exec
	s_and_b64 vcc, vcc, exec
	v_mov_b32_e32 v65, 0
	s_or_b64 s[66:67], s[60:61], vcc
	s_or_b64 exec, exec, s[68:69]
	s_and_saveexec_b64 s[68:69], s[66:67]
	s_cbranch_execnz .LBB94_3525
	s_branch .LBB94_3526
.LBB94_3650:
	s_or_b64 exec, exec, s[4:5]
	s_xor_b64 s[10:11], s[8:9], -1
	s_xor_b64 s[6:7], s[6:7], -1
	s_mov_b64 s[4:5], 0
	s_and_saveexec_b64 s[8:9], s[6:7]
	s_xor_b64 s[8:9], exec, s[8:9]
	s_cbranch_execnz .LBB94_3655
; %bb.3651:
	s_andn2_saveexec_b64 s[6:7], s[8:9]
	s_cbranch_execnz .LBB94_5255
.LBB94_3652:
	s_or_b64 exec, exec, s[6:7]
	s_and_saveexec_b64 s[6:7], s[4:5]
.LBB94_3653:
	; divergent unreachable
.LBB94_3654:
	s_or_b64 exec, exec, s[6:7]
	v_readlane_b32 s30, v41, 0
	v_readlane_b32 s31, v41, 1
	;; [unrolled: 1-line block ×66, first 2 shown]
	s_or_saveexec_b64 s[4:5], -1
	buffer_load_dword v40, off, s[0:3], s32 offset:256 ; 4-byte Folded Reload
	buffer_load_dword v41, off, s[0:3], s32 offset:260 ; 4-byte Folded Reload
	;; [unrolled: 1-line block ×5, first 2 shown]
	s_mov_b64 exec, s[4:5]
	s_waitcnt vmcnt(0) lgkmcnt(0)
	s_setpc_b64 s[30:31]
.LBB94_3655:
	s_and_saveexec_b64 s[6:7], s[10:11]
	s_xor_b64 s[10:11], exec, s[6:7]
	s_cbranch_execz .LBB94_5253
; %bb.3656:
	buffer_load_dword v113, off, s[0:3], s32 offset:8
	buffer_load_dword v112, off, s[0:3], s32 offset:12
	;; [unrolled: 1-line block ×22, first 2 shown]
	s_waitcnt lgkmcnt(0)
	buffer_load_dword v66, off, s[0:3], s32 offset:96
	buffer_load_dword v65, off, s[0:3], s32 offset:100
	;; [unrolled: 1-line block ×40, first 2 shown]
	v_cmp_lt_i32_e32 vcc, v13, v6
	v_add_u32_e32 v114, 0x200, v13
	s_mov_b64 s[16:17], -1
	s_mov_b64 s[6:7], 0
	s_mov_b64 s[12:13], 0
	v_mov_b32_e32 v14, v13
	s_and_saveexec_b64 s[14:15], vcc
	s_cbranch_execz .LBB94_3782
; %bb.3657:
	buffer_load_dword v4, off, s[0:3], s32
	buffer_load_dword v5, off, s[0:3], s32 offset:4
	v_readlane_b32 s4, v44, 1
	v_or_b32_e32 v2, s4, v13
	v_mul_lo_u32 v2, v2, v12
	s_brev_b32 s16, -2
	v_mov_b32_e32 v3, 10
	v_add_co_u32_e32 v2, vcc, v0, v2
	s_mov_b64 s[4:5], 0
	v_cmp_gt_i16_sdwa s[12:13], v11, v3 src0_sel:BYTE_0 src1_sel:DWORD
	v_addc_co_u32_e32 v3, vcc, 0, v1, vcc
	s_waitcnt vmcnt(0)
	v_bfi_b32 v4, s16, v5, v4
	s_mov_b64 s[16:17], 0
	s_and_saveexec_b64 s[18:19], s[12:13]
	s_xor_b64 s[12:13], exec, s[18:19]
	s_cbranch_execz .LBB94_3739
; %bb.3658:
	v_mov_b32_e32 v14, 25
	v_cmp_gt_i16_sdwa s[18:19], v11, v14 src0_sel:BYTE_0 src1_sel:DWORD
	s_and_saveexec_b64 s[20:21], s[18:19]
	s_xor_b64 s[18:19], exec, s[20:21]
	s_cbranch_execz .LBB94_3694
; %bb.3659:
	v_mov_b32_e32 v14, 28
	v_cmp_gt_i16_sdwa s[16:17], v11, v14 src0_sel:BYTE_0 src1_sel:DWORD
	s_mov_b64 s[20:21], 0
	s_and_saveexec_b64 s[22:23], s[16:17]
	s_xor_b64 s[16:17], exec, s[22:23]
	s_cbranch_execz .LBB94_3677
; %bb.3660:
	v_mov_b32_e32 v5, 43
	v_cmp_gt_i16_sdwa s[20:21], v11, v5 src0_sel:BYTE_0 src1_sel:DWORD
	s_mov_b64 s[24:25], 0
	;; [unrolled: 7-line block ×3, first 2 shown]
	s_and_saveexec_b64 s[26:27], s[4:5]
	s_xor_b64 s[4:5], exec, s[26:27]
	s_cbranch_execz .LBB94_3665
; %bb.3662:
	v_mov_b32_e32 v5, 46
	v_cmp_eq_u16_sdwa s[28:29], v11, v5 src0_sel:BYTE_0 src1_sel:DWORD
	s_mov_b64 s[26:27], -1
	s_and_saveexec_b64 s[24:25], s[28:29]
	s_cbranch_execz .LBB94_3664
; %bb.3663:
	v_bfe_u32 v5, v4, 16, 1
	s_movk_i32 s26, 0x7fff
	v_add3_u32 v5, v4, v5, s26
	v_lshrrev_b32_e32 v5, 16, v5
	v_mov_b32_e32 v14, 0x7fc0
	v_cmp_o_f32_e32 vcc, v4, v4
	v_cndmask_b32_e32 v4, v14, v5, vcc
	s_mov_b64 s[22:23], exec
	flat_store_dword v[2:3], v4
	s_xor_b64 s[26:27], exec, -1
.LBB94_3664:
	s_or_b64 exec, exec, s[24:25]
	s_and_b64 s[24:25], s[26:27], exec
	s_and_b64 s[22:23], s[22:23], exec
                                        ; implicit-def: $vgpr2_vgpr3
                                        ; implicit-def: $vgpr4
.LBB94_3665:
	s_andn2_saveexec_b64 s[26:27], s[4:5]
	s_cbranch_execz .LBB94_3671
; %bb.3666:
	v_mov_b32_e32 v5, 44
	v_cmp_eq_u16_sdwa s[30:31], v11, v5 src0_sel:BYTE_0 src1_sel:DWORD
	s_mov_b64 vcc, -1
	s_mov_b64 s[4:5], s[22:23]
	s_and_saveexec_b64 s[28:29], s[30:31]
	s_cbranch_execz .LBB94_3670
; %bb.3667:
	v_bfe_u32 v5, v4, 23, 8
	s_movk_i32 s4, 0xff
	v_cmp_ne_u32_e32 vcc, s4, v5
	v_mov_b32_e32 v14, 0xff
	s_and_saveexec_b64 s[30:31], vcc
; %bb.3668:
	s_mov_b32 s4, 0x3fffff
	v_lshrrev_b32_e32 v14, 23, v4
	v_and_b32_e32 v103, 0x400000, v4
	v_and_or_b32 v4, v4, s4, v5
	v_cmp_ne_u32_e32 vcc, 0, v103
	v_cmp_ne_u32_e64 s[4:5], 0, v4
	s_and_b64 s[4:5], vcc, s[4:5]
	v_cndmask_b32_e64 v4, 0, 1, s[4:5]
	v_add_u32_e32 v14, v14, v4
; %bb.3669:
	s_or_b64 exec, exec, s[30:31]
	s_xor_b64 vcc, exec, -1
	s_or_b64 s[4:5], s[22:23], exec
	flat_store_byte v[2:3], v14
.LBB94_3670:
	s_or_b64 exec, exec, s[28:29]
	s_andn2_b64 s[24:25], s[24:25], exec
	s_and_b64 s[28:29], vcc, exec
	s_andn2_b64 s[22:23], s[22:23], exec
	s_and_b64 s[4:5], s[4:5], exec
	s_or_b64 s[24:25], s[24:25], s[28:29]
	s_or_b64 s[22:23], s[22:23], s[4:5]
.LBB94_3671:
	s_or_b64 exec, exec, s[26:27]
	s_and_b64 s[24:25], s[24:25], exec
	s_and_b64 s[4:5], s[22:23], exec
                                        ; implicit-def: $vgpr4
                                        ; implicit-def: $vgpr2_vgpr3
.LBB94_3672:
	s_andn2_saveexec_b64 s[20:21], s[20:21]
	s_cbranch_execz .LBB94_3676
; %bb.3673:
	v_mov_b32_e32 v5, 29
	v_cmp_eq_u16_sdwa vcc, v11, v5 src0_sel:BYTE_0 src1_sel:DWORD
	s_mov_b64 s[28:29], -1
	s_mov_b64 s[26:27], s[4:5]
	s_and_saveexec_b64 s[22:23], vcc
	s_cbranch_execz .LBB94_3675
; %bb.3674:
	v_trunc_f32_e32 v4, v4
	v_mul_f32_e32 v5, 0x2f800000, v4
	v_floor_f32_e32 v14, v5
	v_fmac_f32_e32 v4, 0xcf800000, v14
	v_cvt_u32_f32_e32 v5, v14
	v_cvt_u32_f32_e32 v4, v4
	s_xor_b64 s[28:29], exec, -1
	s_or_b64 s[26:27], s[4:5], exec
	flat_store_dwordx2 v[2:3], v[4:5]
.LBB94_3675:
	s_or_b64 exec, exec, s[22:23]
	s_andn2_b64 s[22:23], s[24:25], exec
	s_and_b64 s[24:25], s[28:29], exec
	s_or_b64 s[24:25], s[22:23], s[24:25]
	s_andn2_b64 s[4:5], s[4:5], exec
	s_and_b64 s[22:23], s[26:27], exec
	s_or_b64 s[4:5], s[4:5], s[22:23]
.LBB94_3676:
	s_or_b64 exec, exec, s[20:21]
	s_and_b64 s[20:21], s[24:25], exec
	s_and_b64 s[4:5], s[4:5], exec
                                        ; implicit-def: $vgpr2_vgpr3
                                        ; implicit-def: $vgpr5
                                        ; implicit-def: $vgpr4
.LBB94_3677:
	s_andn2_saveexec_b64 s[16:17], s[16:17]
	s_cbranch_execz .LBB94_3693
; %bb.3678:
	v_mov_b32_e32 v14, 26
	v_cmp_gt_i16_sdwa s[22:23], v11, v14 src0_sel:BYTE_0 src1_sel:DWORD
	s_and_saveexec_b64 s[24:25], s[22:23]
	s_xor_b64 s[22:23], exec, s[24:25]
	s_cbranch_execz .LBB94_3684
; %bb.3679:
	v_cvt_u32_f32_e32 v4, v4
	v_mov_b32_e32 v5, 27
	v_cmp_gt_i16_sdwa s[24:25], v11, v5 src0_sel:BYTE_0 src1_sel:DWORD
	s_and_saveexec_b64 s[26:27], s[24:25]
	s_xor_b64 s[24:25], exec, s[26:27]
	s_cbranch_execz .LBB94_3681
; %bb.3680:
	flat_store_dword v[2:3], v4
                                        ; implicit-def: $vgpr2_vgpr3
                                        ; implicit-def: $vgpr4
.LBB94_3681:
	s_andn2_saveexec_b64 s[24:25], s[24:25]
	s_cbranch_execz .LBB94_3683
; %bb.3682:
	flat_store_short v[2:3], v4
.LBB94_3683:
	s_or_b64 exec, exec, s[24:25]
                                        ; implicit-def: $vgpr2_vgpr3
                                        ; implicit-def: $vgpr5
                                        ; implicit-def: $vgpr4
.LBB94_3684:
	s_andn2_saveexec_b64 s[22:23], s[22:23]
	s_cbranch_execz .LBB94_3692
; %bb.3685:
	v_and_b32_e32 v14, 0x7fffffff, v5
	s_mov_b32 s24, 0x43800000
	v_cmp_gt_u32_e32 vcc, s24, v14
	v_mov_b32_e32 v103, 0x80
	s_and_saveexec_b64 s[24:25], vcc
	s_cbranch_execz .LBB94_3691
; %bb.3686:
	s_mov_b32 s26, 0x3bffffff
	v_cmp_lt_u32_e32 vcc, s26, v14
	s_mov_b64 s[26:27], 0
                                        ; implicit-def: $vgpr14
	s_and_saveexec_b64 s[28:29], vcc
	s_xor_b64 s[28:29], exec, s[28:29]
	s_cbranch_execnz .LBB94_5501
; %bb.3687:
	s_or_saveexec_b64 s[28:29], s[28:29]
                                        ; implicit-def: $sgpr30
	s_xor_b64 exec, exec, s[28:29]
	s_cbranch_execnz .LBB94_5502
.LBB94_3688:
	s_or_b64 exec, exec, s[28:29]
	v_mov_b32_e32 v103, s30
	s_and_saveexec_b64 s[28:29], s[26:27]
.LBB94_3689:
	v_lshrrev_b32_e32 v4, 24, v4
	s_movk_i32 s26, 0x80
	v_and_or_b32 v103, v4, s26, v14
.LBB94_3690:
	s_or_b64 exec, exec, s[28:29]
.LBB94_3691:
	s_or_b64 exec, exec, s[24:25]
	flat_store_byte v[2:3], v103
.LBB94_3692:
	s_or_b64 exec, exec, s[22:23]
	s_or_b64 s[4:5], s[4:5], exec
.LBB94_3693:
	s_or_b64 exec, exec, s[16:17]
	s_and_b64 s[16:17], s[20:21], exec
	s_and_b64 s[4:5], s[4:5], exec
                                        ; implicit-def: $vgpr4
                                        ; implicit-def: $vgpr2_vgpr3
                                        ; implicit-def: $vgpr5
.LBB94_3694:
	s_andn2_saveexec_b64 s[18:19], s[18:19]
	s_cbranch_execz .LBB94_3738
; %bb.3695:
	v_mov_b32_e32 v14, 22
	v_cmp_gt_i16_sdwa s[20:21], v11, v14 src0_sel:BYTE_0 src1_sel:DWORD
	s_mov_b64 s[22:23], s[4:5]
	s_and_saveexec_b64 s[24:25], s[20:21]
	s_xor_b64 s[20:21], exec, s[24:25]
	s_cbranch_execz .LBB94_3727
; %bb.3696:
	v_mov_b32_e32 v14, 23
	v_cmp_gt_i16_sdwa s[22:23], v11, v14 src0_sel:BYTE_0 src1_sel:DWORD
	s_and_saveexec_b64 s[24:25], s[22:23]
	s_xor_b64 s[22:23], exec, s[24:25]
	s_cbranch_execz .LBB94_3716
; %bb.3697:
	v_mov_b32_e32 v14, 24
	v_cmp_gt_i16_sdwa s[24:25], v11, v14 src0_sel:BYTE_0 src1_sel:DWORD
	s_and_saveexec_b64 s[26:27], s[24:25]
	s_xor_b64 s[24:25], exec, s[26:27]
	s_cbranch_execz .LBB94_3705
; %bb.3698:
	v_and_b32_e32 v14, 0x7fffffff, v5
	s_mov_b32 s26, 0x47800000
	v_cmp_gt_u32_e32 vcc, s26, v14
	v_mov_b32_e32 v103, 0x80
	s_and_saveexec_b64 s[26:27], vcc
	s_cbranch_execz .LBB94_3704
; %bb.3699:
	s_mov_b32 s28, 0x37ffffff
	v_cmp_lt_u32_e32 vcc, s28, v14
	s_mov_b64 s[28:29], 0
                                        ; implicit-def: $vgpr14
	s_and_saveexec_b64 s[30:31], vcc
	s_xor_b64 vcc, exec, s[30:31]
	s_cbranch_execnz .LBB94_5625
; %bb.3700:
	s_or_saveexec_b64 s[30:31], vcc
                                        ; implicit-def: $sgpr34
	s_xor_b64 exec, exec, s[30:31]
	s_cbranch_execnz .LBB94_5626
.LBB94_3701:
	s_or_b64 exec, exec, s[30:31]
	v_mov_b32_e32 v103, s34
	s_and_saveexec_b64 vcc, s[28:29]
.LBB94_3702:
	v_lshrrev_b32_e32 v4, 24, v4
	s_movk_i32 s28, 0x80
	v_and_or_b32 v103, v4, s28, v14
.LBB94_3703:
	s_or_b64 exec, exec, vcc
.LBB94_3704:
	s_or_b64 exec, exec, s[26:27]
	flat_store_byte v[2:3], v103
                                        ; implicit-def: $vgpr4
                                        ; implicit-def: $vgpr2_vgpr3
                                        ; implicit-def: $vgpr5
.LBB94_3705:
	s_andn2_saveexec_b64 s[24:25], s[24:25]
	s_cbranch_execz .LBB94_3715
; %bb.3706:
	v_and_b32_e32 v103, 0x7fffffff, v5
	s_mov_b32 s26, 0x43f00000
	v_cmp_gt_u32_e32 vcc, s26, v103
                                        ; implicit-def: $vgpr14
	s_and_saveexec_b64 s[26:27], vcc
	s_xor_b64 s[26:27], exec, s[26:27]
	s_cbranch_execz .LBB94_3712
; %bb.3707:
	s_mov_b32 s28, 0x3c7fffff
	v_cmp_lt_u32_e32 vcc, s28, v103
                                        ; implicit-def: $vgpr14
	s_and_saveexec_b64 s[28:29], vcc
	s_xor_b64 s[28:29], exec, s[28:29]
; %bb.3708:
	v_bfe_u32 v5, v4, 20, 1
	s_mov_b32 vcc_lo, 0x407ffff
	v_add3_u32 v5, v4, v5, vcc_lo
	v_lshrrev_b32_e32 v14, 20, v5
	v_and_b32_e32 v5, 0xff00000, v5
	s_mov_b32 vcc_lo, 0x7f00000
	v_mov_b32_e32 v103, 0x7e
	v_cmp_ne_u32_e32 vcc, vcc_lo, v5
	v_cndmask_b32_e32 v14, v103, v14, vcc
                                        ; implicit-def: $vgpr5
; %bb.3709:
	s_andn2_saveexec_b64 s[28:29], s[28:29]
; %bb.3710:
	s_mov_b32 s30, 0x46800000
	v_add_f32_e64 v14, |v5|, s30
; %bb.3711:
	s_or_b64 exec, exec, s[28:29]
                                        ; implicit-def: $vgpr103
.LBB94_3712:
	s_andn2_saveexec_b64 s[26:27], s[26:27]
; %bb.3713:
	s_mov_b32 s28, 0x7f800000
	v_mov_b32_e32 v5, 0x7e
	v_mov_b32_e32 v14, 0x7f
	v_cmp_lt_u32_e32 vcc, s28, v103
	v_cndmask_b32_e32 v14, v5, v14, vcc
; %bb.3714:
	s_or_b64 exec, exec, s[26:27]
	v_lshrrev_b32_e32 v4, 24, v4
	s_movk_i32 s26, 0x80
	v_and_or_b32 v4, v4, s26, v14
	flat_store_byte v[2:3], v4
.LBB94_3715:
	s_or_b64 exec, exec, s[24:25]
                                        ; implicit-def: $vgpr4
                                        ; implicit-def: $vgpr2_vgpr3
                                        ; implicit-def: $vgpr5
.LBB94_3716:
	s_andn2_saveexec_b64 s[22:23], s[22:23]
	s_cbranch_execz .LBB94_3726
; %bb.3717:
	v_and_b32_e32 v103, 0x7fffffff, v5
	s_mov_b32 s24, 0x47800000
	v_cmp_gt_u32_e32 vcc, s24, v103
                                        ; implicit-def: $vgpr14
	s_and_saveexec_b64 s[24:25], vcc
	s_xor_b64 s[24:25], exec, s[24:25]
	s_cbranch_execz .LBB94_3723
; %bb.3718:
	s_mov_b32 s26, 0x387fffff
	v_cmp_lt_u32_e32 vcc, s26, v103
                                        ; implicit-def: $vgpr14
	s_and_saveexec_b64 s[26:27], vcc
	s_xor_b64 s[26:27], exec, s[26:27]
; %bb.3719:
	v_bfe_u32 v5, v4, 21, 1
	s_mov_b32 s28, 0x80fffff
	v_add3_u32 v5, v4, v5, s28
	v_lshrrev_b32_e32 v14, 21, v5
                                        ; implicit-def: $vgpr5
; %bb.3720:
	s_andn2_saveexec_b64 s[26:27], s[26:27]
; %bb.3721:
	s_mov_b32 s28, 0x43000000
	v_add_f32_e64 v14, |v5|, s28
; %bb.3722:
	s_or_b64 exec, exec, s[26:27]
                                        ; implicit-def: $vgpr103
.LBB94_3723:
	s_andn2_saveexec_b64 s[24:25], s[24:25]
; %bb.3724:
	s_mov_b32 s26, 0x7f800000
	v_mov_b32_e32 v5, 0x7c
	v_mov_b32_e32 v14, 0x7f
	v_cmp_lt_u32_e32 vcc, s26, v103
	v_cndmask_b32_e32 v14, v5, v14, vcc
; %bb.3725:
	s_or_b64 exec, exec, s[24:25]
	v_lshrrev_b32_e32 v4, 24, v4
	s_movk_i32 s24, 0x80
	v_and_or_b32 v4, v4, s24, v14
	flat_store_byte v[2:3], v4
.LBB94_3726:
	s_or_b64 exec, exec, s[22:23]
	s_or_b64 s[22:23], s[4:5], exec
                                        ; implicit-def: $vgpr4
                                        ; implicit-def: $vgpr2_vgpr3
.LBB94_3727:
	s_or_saveexec_b64 s[20:21], s[20:21]
	s_mov_b64 s[26:27], s[16:17]
	s_xor_b64 exec, exec, s[20:21]
	s_cbranch_execz .LBB94_3737
; %bb.3728:
	v_mov_b32_e32 v5, 14
	v_cmp_gt_i16_sdwa s[28:29], v11, v5 src0_sel:BYTE_0 src1_sel:DWORD
	s_mov_b64 s[24:25], s[22:23]
	s_mov_b64 s[26:27], s[16:17]
	s_and_saveexec_b64 vcc, s[28:29]
	s_xor_b64 s[28:29], exec, vcc
	s_cbranch_execz .LBB94_3732
; %bb.3729:
	v_mov_b32_e32 v5, 15
	v_cmp_eq_u16_sdwa s[30:31], v11, v5 src0_sel:BYTE_0 src1_sel:DWORD
	s_mov_b64 s[26:27], -1
	s_mov_b64 vcc, s[22:23]
	s_and_saveexec_b64 s[24:25], s[30:31]
	s_cbranch_execz .LBB94_3731
; %bb.3730:
	v_bfe_u32 v5, v4, 16, 1
	s_movk_i32 s26, 0x7fff
	v_add3_u32 v5, v4, v5, s26
	v_lshrrev_b32_e32 v5, 16, v5
	v_mov_b32_e32 v14, 0x7fc0
	v_cmp_o_f32_e32 vcc, v4, v4
	v_cndmask_b32_e32 v4, v14, v5, vcc
	flat_store_short v[2:3], v4
	s_xor_b64 s[26:27], exec, -1
	s_or_b64 vcc, s[22:23], exec
.LBB94_3731:
	s_or_b64 exec, exec, s[24:25]
	s_andn2_b64 s[24:25], s[16:17], exec
	s_and_b64 s[26:27], s[26:27], exec
	s_or_b64 s[26:27], s[24:25], s[26:27]
	s_andn2_b64 s[24:25], s[22:23], exec
	s_and_b64 vcc, vcc, exec
	s_or_b64 s[24:25], s[24:25], vcc
                                        ; implicit-def: $vgpr4
                                        ; implicit-def: $vgpr2_vgpr3
.LBB94_3732:
	s_andn2_saveexec_b64 s[28:29], s[28:29]
	s_cbranch_execz .LBB94_3736
; %bb.3733:
	v_mov_b32_e32 v5, 11
	v_cmp_eq_u16_sdwa s[36:37], v11, v5 src0_sel:BYTE_0 src1_sel:DWORD
	s_mov_b64 s[30:31], -1
	s_mov_b64 vcc, s[24:25]
	s_and_saveexec_b64 s[34:35], s[36:37]
	s_cbranch_execz .LBB94_3735
; %bb.3734:
	v_cmp_neq_f32_e32 vcc, 0, v4
	v_cndmask_b32_e64 v4, 0, 1, vcc
	flat_store_byte v[2:3], v4
	s_xor_b64 s[30:31], exec, -1
	s_or_b64 vcc, s[24:25], exec
.LBB94_3735:
	s_or_b64 exec, exec, s[34:35]
	s_andn2_b64 s[26:27], s[26:27], exec
	s_and_b64 s[30:31], s[30:31], exec
	s_andn2_b64 s[24:25], s[24:25], exec
	s_and_b64 vcc, vcc, exec
	s_or_b64 s[26:27], s[26:27], s[30:31]
	s_or_b64 s[24:25], s[24:25], vcc
.LBB94_3736:
	s_or_b64 exec, exec, s[28:29]
	s_andn2_b64 s[28:29], s[16:17], exec
	s_and_b64 s[26:27], s[26:27], exec
	s_andn2_b64 s[22:23], s[22:23], exec
	s_and_b64 s[24:25], s[24:25], exec
	s_or_b64 s[26:27], s[28:29], s[26:27]
	s_or_b64 s[22:23], s[22:23], s[24:25]
.LBB94_3737:
	s_or_b64 exec, exec, s[20:21]
	s_andn2_b64 s[16:17], s[16:17], exec
	s_and_b64 s[20:21], s[26:27], exec
	s_or_b64 s[16:17], s[16:17], s[20:21]
	s_andn2_b64 s[4:5], s[4:5], exec
	s_and_b64 s[20:21], s[22:23], exec
	s_or_b64 s[4:5], s[4:5], s[20:21]
.LBB94_3738:
	s_or_b64 exec, exec, s[18:19]
	s_and_b64 s[16:17], s[16:17], exec
	s_and_b64 s[4:5], s[4:5], exec
                                        ; implicit-def: $vgpr4
                                        ; implicit-def: $vgpr2_vgpr3
.LBB94_3739:
	s_andn2_saveexec_b64 s[12:13], s[12:13]
	s_cbranch_execz .LBB94_3781
; %bb.3740:
	v_mov_b32_e32 v5, 4
	v_cmp_gt_i16_sdwa s[18:19], v11, v5 src0_sel:BYTE_0 src1_sel:DWORD
	s_and_saveexec_b64 s[20:21], s[18:19]
	s_xor_b64 s[18:19], exec, s[20:21]
	s_cbranch_execz .LBB94_3762
; %bb.3741:
	v_mov_b32_e32 v5, 7
	v_cmp_gt_i16_sdwa s[20:21], v11, v5 src0_sel:BYTE_0 src1_sel:DWORD
	s_and_saveexec_b64 s[22:23], s[20:21]
	s_xor_b64 s[20:21], exec, s[22:23]
	;; [unrolled: 6-line block ×4, first 2 shown]
	s_cbranch_execz .LBB94_3745
; %bb.3744:
	v_mov_b32_e32 v118, 0
	v_cvt_f64_f32_e32 v[116:117], v4
	v_mov_b32_e32 v119, v118
	flat_store_dwordx4 v[2:3], v[116:119]
                                        ; implicit-def: $vgpr4
                                        ; implicit-def: $vgpr2_vgpr3
.LBB94_3745:
	s_andn2_saveexec_b64 s[24:25], s[24:25]
	s_cbranch_execz .LBB94_3747
; %bb.3746:
	v_mov_b32_e32 v5, 0
	flat_store_dwordx2 v[2:3], v[4:5]
.LBB94_3747:
	s_or_b64 exec, exec, s[24:25]
                                        ; implicit-def: $vgpr4
                                        ; implicit-def: $vgpr2_vgpr3
.LBB94_3748:
	s_andn2_saveexec_b64 s[22:23], s[22:23]
	s_cbranch_execz .LBB94_3750
; %bb.3749:
	v_cvt_f16_f32_e32 v4, v4
	flat_store_dword v[2:3], v4
.LBB94_3750:
	s_or_b64 exec, exec, s[22:23]
                                        ; implicit-def: $vgpr4
                                        ; implicit-def: $vgpr2_vgpr3
.LBB94_3751:
	s_andn2_saveexec_b64 s[20:21], s[20:21]
	s_cbranch_execz .LBB94_3761
; %bb.3752:
	v_mov_b32_e32 v5, 5
	v_cmp_gt_i16_sdwa s[22:23], v11, v5 src0_sel:BYTE_0 src1_sel:DWORD
	s_and_saveexec_b64 s[24:25], s[22:23]
	s_xor_b64 s[22:23], exec, s[24:25]
	s_cbranch_execz .LBB94_3758
; %bb.3753:
	v_mov_b32_e32 v5, 6
	v_cmp_gt_i16_sdwa s[24:25], v11, v5 src0_sel:BYTE_0 src1_sel:DWORD
	s_and_saveexec_b64 s[26:27], s[24:25]
	s_xor_b64 s[24:25], exec, s[26:27]
	s_cbranch_execz .LBB94_3755
; %bb.3754:
	v_cvt_f64_f32_e32 v[4:5], v4
	flat_store_dwordx2 v[2:3], v[4:5]
                                        ; implicit-def: $vgpr2_vgpr3
                                        ; implicit-def: $vgpr4
.LBB94_3755:
	s_andn2_saveexec_b64 s[24:25], s[24:25]
	s_cbranch_execz .LBB94_3757
; %bb.3756:
	flat_store_dword v[2:3], v4
.LBB94_3757:
	s_or_b64 exec, exec, s[24:25]
                                        ; implicit-def: $vgpr4
                                        ; implicit-def: $vgpr2_vgpr3
.LBB94_3758:
	s_andn2_saveexec_b64 s[22:23], s[22:23]
	s_cbranch_execz .LBB94_3760
; %bb.3759:
	v_cvt_f16_f32_e32 v4, v4
	flat_store_short v[2:3], v4
.LBB94_3760:
	s_or_b64 exec, exec, s[22:23]
.LBB94_3761:
	s_or_b64 exec, exec, s[20:21]
                                        ; implicit-def: $vgpr4
                                        ; implicit-def: $vgpr2_vgpr3
.LBB94_3762:
	s_andn2_saveexec_b64 s[18:19], s[18:19]
	s_cbranch_execz .LBB94_3780
; %bb.3763:
	v_mov_b32_e32 v5, 1
	v_cmp_gt_i16_sdwa s[20:21], v11, v5 src0_sel:BYTE_0 src1_sel:DWORD
	s_and_saveexec_b64 s[22:23], s[20:21]
	s_xor_b64 s[20:21], exec, s[22:23]
	s_cbranch_execz .LBB94_3773
; %bb.3764:
	v_mov_b32_e32 v5, 2
	v_cmp_gt_i16_sdwa s[22:23], v11, v5 src0_sel:BYTE_0 src1_sel:DWORD
	s_and_saveexec_b64 s[24:25], s[22:23]
	s_xor_b64 s[22:23], exec, s[24:25]
	;; [unrolled: 6-line block ×3, first 2 shown]
	s_cbranch_execz .LBB94_3767
; %bb.3766:
	v_trunc_f32_e32 v4, v4
	s_mov_b32 s26, 0x2f800000
	v_mul_f32_e64 v5, |v4|, s26
	v_floor_f32_e32 v5, v5
	s_mov_b32 s26, 0xcf800000
	v_cvt_u32_f32_e32 v14, v5
	v_fma_f32 v5, v5, s26, |v4|
	v_cvt_u32_f32_e32 v5, v5
	v_ashrrev_i32_e32 v103, 31, v4
	v_xor_b32_e32 v14, v14, v103
	v_xor_b32_e32 v4, v5, v103
	v_sub_co_u32_e32 v4, vcc, v4, v103
	v_subb_co_u32_e32 v5, vcc, v14, v103, vcc
	flat_store_dwordx2 v[2:3], v[4:5]
                                        ; implicit-def: $vgpr4
                                        ; implicit-def: $vgpr2_vgpr3
.LBB94_3767:
	s_andn2_saveexec_b64 s[24:25], s[24:25]
	s_cbranch_execz .LBB94_3769
; %bb.3768:
	v_cvt_i32_f32_e32 v4, v4
	flat_store_dword v[2:3], v4
.LBB94_3769:
	s_or_b64 exec, exec, s[24:25]
                                        ; implicit-def: $vgpr4
                                        ; implicit-def: $vgpr2_vgpr3
.LBB94_3770:
	s_andn2_saveexec_b64 s[22:23], s[22:23]
	s_cbranch_execz .LBB94_3772
; %bb.3771:
	v_cvt_i32_f32_e32 v4, v4
	flat_store_short v[2:3], v4
.LBB94_3772:
	s_or_b64 exec, exec, s[22:23]
                                        ; implicit-def: $vgpr4
                                        ; implicit-def: $vgpr2_vgpr3
.LBB94_3773:
	s_andn2_saveexec_b64 s[20:21], s[20:21]
	s_cbranch_execz .LBB94_3779
; %bb.3774:
	v_mov_b32_e32 v5, 0
	v_cmp_gt_i16_sdwa s[22:23], v11, v5 src0_sel:BYTE_0 src1_sel:DWORD
	s_and_saveexec_b64 s[24:25], s[22:23]
	s_xor_b64 s[22:23], exec, s[24:25]
	s_cbranch_execz .LBB94_3776
; %bb.3775:
	v_cvt_i32_f32_e32 v4, v4
	flat_store_byte v[2:3], v4
                                        ; implicit-def: $vgpr4
                                        ; implicit-def: $vgpr2_vgpr3
.LBB94_3776:
	s_andn2_saveexec_b64 s[22:23], s[22:23]
	s_cbranch_execz .LBB94_3778
; %bb.3777:
	v_trunc_f32_e32 v4, v4
	s_mov_b32 s24, 0x2f800000
	v_mul_f32_e64 v5, |v4|, s24
	v_floor_f32_e32 v5, v5
	s_mov_b32 s24, 0xcf800000
	v_fma_f32 v5, v5, s24, |v4|
	v_cvt_u32_f32_e32 v5, v5
	v_ashrrev_i32_e32 v4, 31, v4
	v_xor_b32_e32 v5, v5, v4
	v_sub_u32_e32 v4, v5, v4
	flat_store_byte v[2:3], v4
.LBB94_3778:
	s_or_b64 exec, exec, s[22:23]
.LBB94_3779:
	s_or_b64 exec, exec, s[20:21]
.LBB94_3780:
	s_or_b64 exec, exec, s[18:19]
	s_or_b64 s[4:5], s[4:5], exec
.LBB94_3781:
	s_or_b64 exec, exec, s[12:13]
	s_and_b64 s[12:13], s[16:17], exec
	s_orn2_b64 s[16:17], s[4:5], exec
	v_mov_b32_e32 v14, v114
.LBB94_3782:
	s_or_b64 exec, exec, s[14:15]
	s_mov_b64 s[18:19], 0
	s_mov_b64 s[4:5], 0
                                        ; implicit-def: $vgpr2
                                        ; implicit-def: $vgpr103
                                        ; implicit-def: $vgpr4_vgpr5
	s_and_saveexec_b64 s[14:15], s[16:17]
	s_cbranch_execz .LBB94_4962
; %bb.3783:
	v_cmp_lt_i32_e32 vcc, v14, v6
	s_mov_b64 s[4:5], -1
	s_mov_b64 s[16:17], s[12:13]
	s_and_saveexec_b64 s[18:19], vcc
	s_cbranch_execz .LBB94_3789
; %bb.3784:
	v_readlane_b32 s4, v44, 1
	v_add_u32_e32 v2, s4, v14
	v_mul_lo_u32 v2, v2, v12
	v_add_co_u32_e32 v2, vcc, v0, v2
	v_addc_co_u32_e32 v3, vcc, 0, v1, vcc
	s_brev_b32 s4, -2
	v_mov_b32_e32 v5, 10
	v_cmp_lt_i32_e32 vcc, v114, v6
	s_waitcnt vmcnt(0)
	v_bfi_b32 v4, s4, v112, v113
	v_cmp_gt_i16_sdwa s[16:17], v11, v5 src0_sel:BYTE_0 src1_sel:DWORD
	s_mov_b64 s[4:5], s[12:13]
	s_and_saveexec_b64 s[20:21], s[16:17]
	s_xor_b64 s[16:17], exec, s[20:21]
	s_cbranch_execnz .LBB94_4965
; %bb.3785:
	s_andn2_saveexec_b64 s[16:17], s[16:17]
	s_cbranch_execnz .LBB94_5046
.LBB94_3786:
	s_or_b64 exec, exec, s[16:17]
	s_mov_b64 s[20:21], 0
	s_and_saveexec_b64 s[16:17], s[6:7]
.LBB94_3787:
	s_mov_b64 s[20:21], exec
	v_add_u32_e32 v14, 0x200, v14
.LBB94_3788:
	s_or_b64 exec, exec, s[16:17]
	s_andn2_b64 s[6:7], s[12:13], exec
	s_and_b64 s[4:5], s[4:5], exec
	s_or_b64 s[16:17], s[6:7], s[4:5]
	s_orn2_b64 s[4:5], s[20:21], exec
.LBB94_3789:
	s_or_b64 exec, exec, s[18:19]
	s_mov_b64 s[6:7], 0
	s_mov_b64 s[22:23], 0
	;; [unrolled: 1-line block ×3, first 2 shown]
                                        ; implicit-def: $vgpr2
                                        ; implicit-def: $vgpr103
                                        ; implicit-def: $vgpr4_vgpr5
	s_and_saveexec_b64 s[18:19], s[4:5]
	s_cbranch_execz .LBB94_4961
; %bb.3790:
	v_cmp_lt_i32_e32 vcc, v14, v6
	s_mov_b64 s[24:25], -1
	s_mov_b64 s[20:21], s[16:17]
	s_and_saveexec_b64 s[22:23], vcc
	s_cbranch_execz .LBB94_3796
; %bb.3791:
	v_readlane_b32 s4, v44, 1
	v_add_u32_e32 v2, s4, v14
	v_mul_lo_u32 v2, v2, v12
	v_add_co_u32_e32 v2, vcc, v0, v2
	v_addc_co_u32_e32 v3, vcc, 0, v1, vcc
	v_or_b32_e32 v4, 0x400, v13
	s_brev_b32 s4, -2
	v_mov_b32_e32 v5, 10
	v_cmp_lt_i32_e32 vcc, v4, v6
	s_waitcnt vmcnt(0)
	v_bfi_b32 v4, s4, v101, v102
	v_cmp_gt_i16_sdwa s[20:21], v11, v5 src0_sel:BYTE_0 src1_sel:DWORD
	s_mov_b64 s[4:5], s[16:17]
	s_and_saveexec_b64 s[24:25], s[20:21]
	s_xor_b64 s[20:21], exec, s[24:25]
	s_cbranch_execnz .LBB94_5087
; %bb.3792:
	s_andn2_saveexec_b64 s[20:21], s[20:21]
	s_cbranch_execnz .LBB94_5168
.LBB94_3793:
	s_or_b64 exec, exec, s[20:21]
	s_mov_b64 s[24:25], 0
	s_and_saveexec_b64 s[20:21], s[6:7]
.LBB94_3794:
	s_mov_b64 s[24:25], exec
	v_add_u32_e32 v14, 0x200, v14
.LBB94_3795:
	s_or_b64 exec, exec, s[20:21]
	s_andn2_b64 s[6:7], s[16:17], exec
	s_and_b64 s[4:5], s[4:5], exec
	s_or_b64 s[20:21], s[6:7], s[4:5]
	s_orn2_b64 s[24:25], s[24:25], exec
.LBB94_3796:
	s_or_b64 exec, exec, s[22:23]
	s_mov_b64 s[4:5], 0
	s_mov_b64 s[6:7], 0
	;; [unrolled: 1-line block ×3, first 2 shown]
                                        ; implicit-def: $vgpr2
                                        ; implicit-def: $vgpr103
                                        ; implicit-def: $vgpr4_vgpr5
	s_and_saveexec_b64 s[22:23], s[24:25]
	s_cbranch_execz .LBB94_4960
; %bb.3797:
	v_cmp_lt_i32_e32 vcc, v14, v6
	s_mov_b64 s[28:29], -1
	s_mov_b64 s[24:25], s[20:21]
	s_and_saveexec_b64 s[26:27], vcc
	s_cbranch_execz .LBB94_3803
; %bb.3798:
	v_readlane_b32 s4, v44, 1
	v_add_u32_e32 v2, s4, v14
	v_mul_lo_u32 v2, v2, v12
	v_add_co_u32_e32 v2, vcc, v0, v2
	v_addc_co_u32_e32 v3, vcc, 0, v1, vcc
	v_add_u32_e32 v4, 0x600, v13
	s_brev_b32 s4, -2
	v_mov_b32_e32 v5, 10
	v_cmp_lt_i32_e32 vcc, v4, v6
	s_waitcnt vmcnt(0)
	v_bfi_b32 v4, s4, v99, v100
	v_cmp_gt_i16_sdwa s[24:25], v11, v5 src0_sel:BYTE_0 src1_sel:DWORD
	s_mov_b64 s[4:5], s[20:21]
	s_and_saveexec_b64 s[28:29], s[24:25]
	s_xor_b64 s[24:25], exec, s[28:29]
	s_cbranch_execnz .LBB94_5257
; %bb.3799:
	s_andn2_saveexec_b64 s[24:25], s[24:25]
	s_cbranch_execnz .LBB94_5338
.LBB94_3800:
	s_or_b64 exec, exec, s[24:25]
	s_mov_b64 s[28:29], 0
	s_and_saveexec_b64 s[24:25], s[6:7]
.LBB94_3801:
	s_mov_b64 s[28:29], exec
	v_add_u32_e32 v14, 0x200, v14
.LBB94_3802:
	s_or_b64 exec, exec, s[24:25]
	s_andn2_b64 s[6:7], s[20:21], exec
	s_and_b64 s[4:5], s[4:5], exec
	s_or_b64 s[24:25], s[6:7], s[4:5]
	s_orn2_b64 s[28:29], s[28:29], exec
.LBB94_3803:
	s_or_b64 exec, exec, s[26:27]
	s_mov_b64 s[4:5], 0
	s_mov_b64 s[6:7], 0
	s_mov_b64 vcc, 0
                                        ; implicit-def: $vgpr2
                                        ; implicit-def: $vgpr103
                                        ; implicit-def: $vgpr4_vgpr5
	s_and_saveexec_b64 s[26:27], s[28:29]
	s_cbranch_execz .LBB94_4959
; %bb.3804:
	v_cmp_lt_i32_e32 vcc, v14, v6
	s_mov_b64 s[6:7], -1
	s_mov_b64 s[28:29], s[24:25]
	s_and_saveexec_b64 s[30:31], vcc
	s_cbranch_execz .LBB94_3810
; %bb.3805:
	v_readlane_b32 s4, v44, 1
	v_add_u32_e32 v2, s4, v14
	v_mul_lo_u32 v2, v2, v12
	v_add_co_u32_e32 v2, vcc, v0, v2
	v_addc_co_u32_e32 v3, vcc, 0, v1, vcc
	v_or_b32_e32 v4, 0x800, v13
	s_brev_b32 s4, -2
	v_mov_b32_e32 v5, 10
	v_cmp_lt_i32_e32 vcc, v4, v6
	s_waitcnt vmcnt(0)
	v_bfi_b32 v4, s4, v97, v98
	v_cmp_gt_i16_sdwa s[28:29], v11, v5 src0_sel:BYTE_0 src1_sel:DWORD
	s_mov_b64 s[6:7], 0
	s_mov_b64 s[4:5], s[24:25]
	s_and_saveexec_b64 s[34:35], s[28:29]
	s_xor_b64 s[28:29], exec, s[34:35]
	s_cbranch_execnz .LBB94_5379
; %bb.3806:
	s_andn2_saveexec_b64 s[28:29], s[28:29]
	s_cbranch_execnz .LBB94_5460
.LBB94_3807:
	s_or_b64 exec, exec, s[28:29]
	s_mov_b64 vcc, 0
	s_and_saveexec_b64 s[28:29], s[6:7]
.LBB94_3808:
	s_mov_b64 vcc, exec
	v_add_u32_e32 v14, 0x200, v14
.LBB94_3809:
	s_or_b64 exec, exec, s[28:29]
	s_andn2_b64 s[6:7], s[24:25], exec
	s_and_b64 s[4:5], s[4:5], exec
	s_or_b64 s[28:29], s[6:7], s[4:5]
	s_orn2_b64 s[6:7], vcc, exec
.LBB94_3810:
	s_or_b64 exec, exec, s[30:31]
	s_mov_b64 s[4:5], 0
	s_mov_b64 s[30:31], 0
	;; [unrolled: 1-line block ×3, first 2 shown]
                                        ; implicit-def: $vgpr2
                                        ; implicit-def: $vgpr103
                                        ; implicit-def: $vgpr4_vgpr5
	s_and_saveexec_b64 s[42:43], s[6:7]
	s_cbranch_execz .LBB94_4958
; %bb.3811:
	v_cmp_lt_i32_e32 vcc, v14, v6
	s_mov_b64 s[4:5], -1
	s_mov_b64 s[6:7], s[28:29]
	s_and_saveexec_b64 s[30:31], vcc
	s_cbranch_execz .LBB94_3817
; %bb.3812:
	v_readlane_b32 s4, v44, 1
	v_add_u32_e32 v2, s4, v14
	v_mul_lo_u32 v2, v2, v12
	v_add_co_u32_e32 v2, vcc, v0, v2
	v_addc_co_u32_e32 v3, vcc, 0, v1, vcc
	v_add_u32_e32 v4, 0xa00, v13
	s_brev_b32 s4, -2
	v_mov_b32_e32 v5, 10
	v_cmp_lt_i32_e32 vcc, v4, v6
	s_waitcnt vmcnt(0)
	v_bfi_b32 v4, s4, v87, v96
	v_cmp_gt_i16_sdwa s[34:35], v11, v5 src0_sel:BYTE_0 src1_sel:DWORD
	s_mov_b64 s[6:7], 0
	s_mov_b64 s[4:5], s[28:29]
	s_and_saveexec_b64 s[36:37], s[34:35]
	s_xor_b64 s[34:35], exec, s[36:37]
	s_cbranch_execnz .LBB94_5503
; %bb.3813:
	s_andn2_saveexec_b64 s[34:35], s[34:35]
	s_cbranch_execnz .LBB94_5584
.LBB94_3814:
	s_or_b64 exec, exec, s[34:35]
	s_mov_b64 vcc, 0
	s_and_saveexec_b64 s[34:35], s[6:7]
.LBB94_3815:
	s_mov_b64 vcc, exec
	v_add_u32_e32 v14, 0x200, v14
.LBB94_3816:
	s_or_b64 exec, exec, s[34:35]
	s_andn2_b64 s[6:7], s[28:29], exec
	s_and_b64 s[4:5], s[4:5], exec
	s_or_b64 s[6:7], s[6:7], s[4:5]
	s_orn2_b64 s[4:5], vcc, exec
.LBB94_3817:
	s_or_b64 exec, exec, s[30:31]
	s_mov_b64 vcc, 0
	s_mov_b64 s[30:31], 0
	s_mov_b64 s[34:35], 0
                                        ; implicit-def: $vgpr2
                                        ; implicit-def: $vgpr103
                                        ; implicit-def: $vgpr4_vgpr5
	s_and_saveexec_b64 s[44:45], s[4:5]
	s_cbranch_execz .LBB94_4957
; %bb.3818:
	v_cmp_lt_i32_e32 vcc, v14, v6
	s_mov_b64 s[34:35], -1
	s_mov_b64 s[4:5], s[6:7]
	s_and_saveexec_b64 s[30:31], vcc
	s_cbranch_execz .LBB94_3824
; %bb.3819:
	v_readlane_b32 s4, v44, 1
	v_add_u32_e32 v2, s4, v14
	v_mul_lo_u32 v2, v2, v12
	v_add_co_u32_e32 v2, vcc, v0, v2
	v_addc_co_u32_e32 v3, vcc, 0, v1, vcc
	v_or_b32_e32 v4, 0xc00, v13
	s_brev_b32 s4, -2
	v_mov_b32_e32 v5, 10
	v_cmp_lt_i32_e32 vcc, v4, v6
	s_waitcnt vmcnt(0)
	v_bfi_b32 v4, s4, v85, v86
	v_cmp_gt_i16_sdwa s[34:35], v11, v5 src0_sel:BYTE_0 src1_sel:DWORD
	s_mov_b64 s[36:37], 0
	s_mov_b64 s[4:5], s[6:7]
	s_and_saveexec_b64 s[38:39], s[34:35]
	s_xor_b64 s[34:35], exec, s[38:39]
	s_cbranch_execnz .LBB94_5627
; %bb.3820:
	s_andn2_saveexec_b64 s[34:35], s[34:35]
	s_cbranch_execnz .LBB94_5708
.LBB94_3821:
	s_or_b64 exec, exec, s[34:35]
	s_mov_b64 vcc, 0
	s_and_saveexec_b64 s[34:35], s[36:37]
.LBB94_3822:
	s_mov_b64 vcc, exec
	v_add_u32_e32 v14, 0x200, v14
.LBB94_3823:
	s_or_b64 exec, exec, s[34:35]
	s_andn2_b64 s[34:35], s[6:7], exec
	s_and_b64 s[4:5], s[4:5], exec
	s_or_b64 s[4:5], s[34:35], s[4:5]
	s_orn2_b64 s[34:35], vcc, exec
.LBB94_3824:
	s_or_b64 exec, exec, s[30:31]
	s_mov_b64 vcc, 0
	s_mov_b64 s[36:37], 0
	s_mov_b64 s[40:41], 0
                                        ; implicit-def: $vgpr2
                                        ; implicit-def: $vgpr103
                                        ; implicit-def: $vgpr4_vgpr5
	s_and_saveexec_b64 s[30:31], s[34:35]
	s_cbranch_execz .LBB94_4956
; %bb.3825:
	v_cmp_lt_i32_e32 vcc, v14, v6
	s_mov_b64 s[40:41], -1
	s_mov_b64 s[34:35], s[4:5]
	s_and_saveexec_b64 s[36:37], vcc
	s_cbranch_execz .LBB94_3831
; %bb.3826:
	v_readlane_b32 vcc_lo, v44, 1
	v_add_u32_e32 v2, vcc_lo, v14
	v_mul_lo_u32 v2, v2, v12
	v_add_co_u32_e32 v2, vcc, v0, v2
	v_addc_co_u32_e32 v3, vcc, 0, v1, vcc
	v_add_u32_e32 v4, 0xe00, v13
	s_brev_b32 s34, -2
	v_mov_b32_e32 v5, 10
	v_cmp_lt_i32_e32 vcc, v4, v6
	s_waitcnt vmcnt(0)
	v_bfi_b32 v4, s34, v83, v84
	v_cmp_gt_i16_sdwa s[34:35], v11, v5 src0_sel:BYTE_0 src1_sel:DWORD
	s_mov_b64 s[38:39], 0
	s_mov_b64 s[40:41], s[4:5]
	s_and_saveexec_b64 s[46:47], s[34:35]
	s_xor_b64 s[34:35], exec, s[46:47]
	s_cbranch_execnz .LBB94_5751
; %bb.3827:
	s_andn2_saveexec_b64 s[34:35], s[34:35]
	s_cbranch_execnz .LBB94_5832
.LBB94_3828:
	s_or_b64 exec, exec, s[34:35]
	s_mov_b64 vcc, 0
	s_and_saveexec_b64 s[34:35], s[38:39]
.LBB94_3829:
	s_mov_b64 vcc, exec
	v_add_u32_e32 v14, 0x200, v14
.LBB94_3830:
	s_or_b64 exec, exec, s[34:35]
	s_andn2_b64 s[34:35], s[4:5], exec
	s_and_b64 s[38:39], s[40:41], exec
	s_or_b64 s[34:35], s[34:35], s[38:39]
	s_orn2_b64 s[40:41], vcc, exec
.LBB94_3831:
	s_or_b64 exec, exec, s[36:37]
	s_mov_b64 s[38:39], 0
	s_mov_b64 s[46:47], 0
	;; [unrolled: 1-line block ×3, first 2 shown]
                                        ; implicit-def: $vgpr2
                                        ; implicit-def: $vgpr103
                                        ; implicit-def: $vgpr4_vgpr5
	s_and_saveexec_b64 vcc, s[40:41]
	s_cbranch_execz .LBB94_4955
; %bb.3832:
	v_writelane_b32 v44, vcc_lo, 56
	v_writelane_b32 v44, vcc_hi, 57
	v_cmp_lt_i32_e32 vcc, v14, v6
	s_mov_b64 s[50:51], -1
	s_mov_b64 s[36:37], s[34:35]
	s_and_saveexec_b64 s[38:39], vcc
	s_cbranch_execz .LBB94_3838
; %bb.3833:
	v_readlane_b32 vcc_lo, v44, 1
	v_add_u32_e32 v2, vcc_lo, v14
	v_mul_lo_u32 v2, v2, v12
	v_add_co_u32_e32 v2, vcc, v0, v2
	v_addc_co_u32_e32 v3, vcc, 0, v1, vcc
	v_or_b32_e32 v4, 0x1000, v13
	s_brev_b32 s36, -2
	v_mov_b32_e32 v5, 10
	v_cmp_lt_i32_e32 vcc, v4, v6
	s_waitcnt vmcnt(0)
	v_bfi_b32 v4, s36, v81, v82
	v_cmp_gt_i16_sdwa s[36:37], v11, v5 src0_sel:BYTE_0 src1_sel:DWORD
	s_mov_b64 s[40:41], 0
	s_mov_b64 s[46:47], s[34:35]
	s_and_saveexec_b64 s[48:49], s[36:37]
	s_xor_b64 s[36:37], exec, s[48:49]
	s_cbranch_execnz .LBB94_5877
; %bb.3834:
	s_andn2_saveexec_b64 s[36:37], s[36:37]
	s_cbranch_execnz .LBB94_5958
.LBB94_3835:
	s_or_b64 exec, exec, s[36:37]
	s_mov_b64 vcc, 0
	s_and_saveexec_b64 s[36:37], s[40:41]
.LBB94_3836:
	s_mov_b64 vcc, exec
	v_add_u32_e32 v14, 0x200, v14
.LBB94_3837:
	s_or_b64 exec, exec, s[36:37]
	s_andn2_b64 s[36:37], s[34:35], exec
	s_and_b64 s[40:41], s[46:47], exec
	s_or_b64 s[36:37], s[36:37], s[40:41]
	s_orn2_b64 s[50:51], vcc, exec
.LBB94_3838:
	s_or_b64 exec, exec, s[38:39]
	s_mov_b64 s[40:41], 0
	s_mov_b64 s[46:47], 0
	;; [unrolled: 1-line block ×3, first 2 shown]
                                        ; implicit-def: $vgpr2
                                        ; implicit-def: $vgpr103
                                        ; implicit-def: $vgpr4_vgpr5
	s_and_saveexec_b64 s[38:39], s[50:51]
	v_readlane_b32 vcc_lo, v44, 56
	v_readlane_b32 vcc_hi, v44, 57
	s_cbranch_execz .LBB94_4954
; %bb.3839:
	v_writelane_b32 v44, s38, 58
	v_writelane_b32 v44, s39, 59
	v_cmp_lt_i32_e32 vcc, v14, v6
	s_mov_b64 s[52:53], -1
	v_writelane_b32 v44, s36, 60
	v_writelane_b32 v44, s37, 61
	s_and_saveexec_b64 s[38:39], vcc
	s_cbranch_execz .LBB94_3845
; %bb.3840:
	v_readlane_b32 vcc_lo, v44, 1
	v_add_u32_e32 v2, vcc_lo, v14
	v_mul_lo_u32 v2, v2, v12
	v_add_co_u32_e32 v2, vcc, v0, v2
	v_addc_co_u32_e32 v3, vcc, 0, v1, vcc
	v_add_u32_e32 v4, 0x1200, v13
	s_brev_b32 s40, -2
	v_mov_b32_e32 v5, 10
	v_cmp_lt_i32_e32 vcc, v4, v6
	s_waitcnt vmcnt(0)
	v_bfi_b32 v4, s40, v71, v80
	v_cmp_gt_i16_sdwa s[40:41], v11, v5 src0_sel:BYTE_0 src1_sel:DWORD
	s_mov_b64 s[48:49], s[36:37]
	s_and_saveexec_b64 s[50:51], s[40:41]
	s_xor_b64 s[40:41], exec, s[50:51]
	s_cbranch_execnz .LBB94_6003
; %bb.3841:
	s_andn2_saveexec_b64 s[40:41], s[40:41]
	s_cbranch_execnz .LBB94_6084
.LBB94_3842:
	s_or_b64 exec, exec, s[40:41]
	s_mov_b64 vcc, 0
	s_and_saveexec_b64 s[40:41], s[46:47]
.LBB94_3843:
	s_mov_b64 vcc, exec
	v_add_u32_e32 v14, 0x200, v14
.LBB94_3844:
	s_or_b64 exec, exec, s[40:41]
	s_andn2_b64 s[40:41], s[36:37], exec
	s_and_b64 s[46:47], s[48:49], exec
	s_or_b64 s[40:41], s[40:41], s[46:47]
	v_writelane_b32 v44, s40, 60
	v_writelane_b32 v44, s41, 61
	s_orn2_b64 s[52:53], vcc, exec
.LBB94_3845:
	s_or_b64 exec, exec, s[38:39]
	s_mov_b64 s[40:41], 0
	s_mov_b64 s[46:47], 0
	s_mov_b64 s[50:51], 0
                                        ; implicit-def: $vgpr2
                                        ; implicit-def: $vgpr103
                                        ; implicit-def: $vgpr4_vgpr5
	s_and_saveexec_b64 s[48:49], s[52:53]
	v_readlane_b32 vcc_lo, v44, 56
	v_readlane_b32 s38, v44, 58
	v_readlane_b32 vcc_hi, v44, 57
	v_readlane_b32 s39, v44, 59
	s_cbranch_execz .LBB94_4953
; %bb.3846:
	v_writelane_b32 v44, s48, 62
	v_writelane_b32 v44, s49, 63
	v_readlane_b32 s38, v44, 60
	v_readlane_b32 s39, v44, 61
                                        ; implicit-def: $vgpr43 : SGPR spill to VGPR lane
	v_cmp_lt_i32_e32 vcc, v14, v6
	s_mov_b64 s[48:49], -1
	v_writelane_b32 v43, s38, 0
	v_writelane_b32 v43, s39, 1
	s_and_saveexec_b64 s[38:39], vcc
	s_cbranch_execz .LBB94_3852
; %bb.3847:
	v_readlane_b32 vcc_lo, v44, 1
	v_add_u32_e32 v2, vcc_lo, v14
	v_mul_lo_u32 v2, v2, v12
	v_add_co_u32_e32 v2, vcc, v0, v2
	v_addc_co_u32_e32 v3, vcc, 0, v1, vcc
	v_or_b32_e32 v4, 0x1400, v13
	s_brev_b32 s40, -2
	v_mov_b32_e32 v5, 10
	v_readlane_b32 s50, v44, 60
	v_cmp_lt_i32_e32 vcc, v4, v6
	s_waitcnt vmcnt(0)
	v_bfi_b32 v4, s40, v69, v70
	v_cmp_gt_i16_sdwa s[40:41], v11, v5 src0_sel:BYTE_0 src1_sel:DWORD
	s_mov_b64 s[52:53], 0
	v_readlane_b32 s51, v44, 61
	s_and_saveexec_b64 s[46:47], s[40:41]
	s_xor_b64 s[40:41], exec, s[46:47]
	s_cbranch_execnz .LBB94_6129
; %bb.3848:
	s_andn2_saveexec_b64 s[40:41], s[40:41]
	s_cbranch_execnz .LBB94_6210
.LBB94_3849:
	s_or_b64 exec, exec, s[40:41]
	s_mov_b64 vcc, 0
	s_and_saveexec_b64 s[40:41], s[52:53]
.LBB94_3850:
	s_mov_b64 vcc, exec
	v_add_u32_e32 v14, 0x200, v14
.LBB94_3851:
	s_or_b64 exec, exec, s[40:41]
	v_readlane_b32 s40, v44, 60
	v_readlane_b32 s41, v44, 61
	s_andn2_b64 s[40:41], s[40:41], exec
	s_and_b64 s[46:47], s[50:51], exec
	s_or_b64 s[40:41], s[40:41], s[46:47]
	v_writelane_b32 v43, s40, 0
	v_writelane_b32 v43, s41, 1
	s_orn2_b64 s[48:49], vcc, exec
.LBB94_3852:
	s_or_b64 exec, exec, s[38:39]
	s_mov_b64 s[40:41], 0
	s_mov_b64 s[46:47], 0
	;; [unrolled: 1-line block ×3, first 2 shown]
                                        ; implicit-def: $vgpr2
                                        ; implicit-def: $vgpr103
                                        ; implicit-def: $vgpr4_vgpr5
	s_and_saveexec_b64 s[52:53], s[48:49]
	v_readlane_b32 vcc_lo, v44, 56
	v_readlane_b32 s38, v44, 58
	v_readlane_b32 s48, v44, 62
	v_readlane_b32 vcc_hi, v44, 57
	v_readlane_b32 s39, v44, 59
	v_readlane_b32 s49, v44, 63
	s_cbranch_execz .LBB94_4952
; %bb.3853:
	v_writelane_b32 v43, s52, 2
	v_writelane_b32 v43, s53, 3
	v_readlane_b32 s38, v43, 0
	v_cmp_lt_i32_e32 vcc, v14, v6
	s_mov_b64 s[50:51], -1
	v_readlane_b32 s39, v43, 1
	s_and_saveexec_b64 s[40:41], vcc
	s_cbranch_execz .LBB94_3981
; %bb.3854:
	s_mov_b64 s[46:47], s[4:5]
	v_readlane_b32 s4, v44, 1
	v_add_u32_e32 v2, s4, v14
	v_mul_lo_u32 v2, v2, v12
	v_add_co_u32_e32 v2, vcc, v0, v2
	v_readlane_b32 s50, v43, 0
	v_addc_co_u32_e32 v3, vcc, 0, v1, vcc
	v_add_u32_e32 v4, 0x1600, v13
	s_brev_b32 s4, -2
	v_mov_b32_e32 v5, 10
	v_readlane_b32 s51, v43, 1
	s_mov_b64 s[48:49], s[6:7]
	v_cmp_lt_i32_e32 vcc, v4, v6
	s_waitcnt vmcnt(0)
	v_bfi_b32 v4, s4, v67, v68
	v_cmp_gt_i16_sdwa s[38:39], v11, v5 src0_sel:BYTE_0 src1_sel:DWORD
	s_mov_b64 s[6:7], 0
	s_mov_b64 s[4:5], s[50:51]
	s_and_saveexec_b64 s[52:53], s[38:39]
	s_xor_b64 s[38:39], exec, s[52:53]
	s_cbranch_execz .LBB94_3936
; %bb.3855:
	v_mov_b32_e32 v5, 25
	v_cmp_gt_i16_sdwa s[4:5], v11, v5 src0_sel:BYTE_0 src1_sel:DWORD
	s_and_saveexec_b64 s[52:53], s[4:5]
	s_xor_b64 s[52:53], exec, s[52:53]
	s_cbranch_execz .LBB94_3891
; %bb.3856:
	v_mov_b32_e32 v5, 28
	v_readlane_b32 s54, v43, 0
	v_cmp_gt_i16_sdwa s[4:5], v11, v5 src0_sel:BYTE_0 src1_sel:DWORD
	v_readlane_b32 s55, v43, 1
	s_and_saveexec_b64 s[50:51], s[4:5]
	s_xor_b64 s[50:51], exec, s[50:51]
	s_cbranch_execz .LBB94_3874
; %bb.3857:
	v_mov_b32_e32 v5, 43
	v_readlane_b32 s6, v43, 0
	v_cmp_gt_i16_sdwa s[54:55], v11, v5 src0_sel:BYTE_0 src1_sel:DWORD
	s_mov_b64 s[4:5], 0
	v_readlane_b32 s7, v43, 1
	s_and_saveexec_b64 s[56:57], s[54:55]
	s_xor_b64 s[54:55], exec, s[56:57]
	s_cbranch_execz .LBB94_3869
; %bb.3858:
	v_mov_b32_e32 v5, 45
	v_readlane_b32 s58, v43, 0
	v_cmp_gt_i16_sdwa s[4:5], v11, v5 src0_sel:BYTE_0 src1_sel:DWORD
	s_mov_b64 s[56:57], 0
	v_readlane_b32 s59, v43, 1
	s_and_saveexec_b64 s[6:7], s[4:5]
	s_xor_b64 s[6:7], exec, s[6:7]
	s_cbranch_execz .LBB94_3862
; %bb.3859:
	v_mov_b32_e32 v5, 46
	v_cmp_eq_u16_sdwa s[60:61], v11, v5 src0_sel:BYTE_0 src1_sel:DWORD
	s_mov_b64 s[4:5], -1
	s_and_saveexec_b64 s[58:59], s[60:61]
	s_cbranch_execz .LBB94_3861
; %bb.3860:
	v_bfe_u32 v5, v4, 16, 1
	s_movk_i32 s4, 0x7fff
	v_add3_u32 v5, v4, v5, s4
	v_lshrrev_b32_e32 v5, 16, v5
	v_mov_b32_e32 v67, 0x7fc0
	v_cmp_o_f32_e64 s[4:5], v4, v4
	v_cndmask_b32_e64 v4, v67, v5, s[4:5]
	s_mov_b64 s[56:57], exec
	flat_store_dword v[2:3], v4
	s_xor_b64 s[4:5], exec, -1
.LBB94_3861:
	s_or_b64 exec, exec, s[58:59]
	v_readlane_b32 s58, v43, 0
	v_readlane_b32 s59, v43, 1
	s_andn2_b64 s[58:59], s[58:59], exec
	s_and_b64 s[4:5], s[4:5], exec
	s_or_b64 s[58:59], s[58:59], s[4:5]
	s_and_b64 s[56:57], s[56:57], exec
                                        ; implicit-def: $vgpr2_vgpr3
                                        ; implicit-def: $vgpr4
.LBB94_3862:
	s_andn2_saveexec_b64 s[60:61], s[6:7]
	s_cbranch_execz .LBB94_3868
; %bb.3863:
	v_mov_b32_e32 v5, 44
	v_cmp_eq_u16_sdwa s[64:65], v11, v5 src0_sel:BYTE_0 src1_sel:DWORD
	s_mov_b64 s[6:7], -1
	s_mov_b64 s[4:5], s[56:57]
	s_and_saveexec_b64 s[62:63], s[64:65]
	s_cbranch_execz .LBB94_3867
; %bb.3864:
	v_bfe_u32 v5, v4, 23, 8
	s_movk_i32 s4, 0xff
	v_cmp_ne_u32_e64 s[4:5], s4, v5
	v_mov_b32_e32 v67, 0xff
	s_and_saveexec_b64 s[64:65], s[4:5]
; %bb.3865:
	s_mov_b32 s6, 0x3fffff
	v_lshrrev_b32_e32 v67, 23, v4
	v_and_b32_e32 v68, 0x400000, v4
	v_and_or_b32 v4, v4, s6, v5
	v_cmp_ne_u32_e64 s[4:5], 0, v68
	v_cmp_ne_u32_e64 s[6:7], 0, v4
	s_and_b64 s[4:5], s[4:5], s[6:7]
	v_cndmask_b32_e64 v4, 0, 1, s[4:5]
	v_add_u32_e32 v67, v67, v4
; %bb.3866:
	s_or_b64 exec, exec, s[64:65]
	s_xor_b64 s[6:7], exec, -1
	s_or_b64 s[4:5], s[56:57], exec
	flat_store_byte v[2:3], v67
.LBB94_3867:
	s_or_b64 exec, exec, s[62:63]
	s_andn2_b64 s[58:59], s[58:59], exec
	s_and_b64 s[6:7], s[6:7], exec
	s_or_b64 s[58:59], s[58:59], s[6:7]
	s_andn2_b64 s[6:7], s[56:57], exec
	s_and_b64 s[4:5], s[4:5], exec
	s_or_b64 s[56:57], s[6:7], s[4:5]
.LBB94_3868:
	s_or_b64 exec, exec, s[60:61]
	v_readlane_b32 s4, v43, 0
	v_readlane_b32 s5, v43, 1
	s_andn2_b64 s[4:5], s[4:5], exec
	s_and_b64 s[6:7], s[58:59], exec
	s_or_b64 s[6:7], s[4:5], s[6:7]
	s_and_b64 s[4:5], s[56:57], exec
                                        ; implicit-def: $vgpr4
                                        ; implicit-def: $vgpr2_vgpr3
.LBB94_3869:
	s_andn2_saveexec_b64 s[54:55], s[54:55]
	s_cbranch_execz .LBB94_3873
; %bb.3870:
	v_mov_b32_e32 v5, 29
	v_cmp_eq_u16_sdwa s[62:63], v11, v5 src0_sel:BYTE_0 src1_sel:DWORD
	s_mov_b64 s[60:61], -1
	s_mov_b64 s[58:59], s[4:5]
	s_and_saveexec_b64 s[56:57], s[62:63]
	s_cbranch_execz .LBB94_3872
; %bb.3871:
	v_trunc_f32_e32 v4, v4
	v_mul_f32_e32 v5, 0x2f800000, v4
	v_floor_f32_e32 v67, v5
	v_fmac_f32_e32 v4, 0xcf800000, v67
	v_cvt_u32_f32_e32 v5, v67
	v_cvt_u32_f32_e32 v4, v4
	s_xor_b64 s[60:61], exec, -1
	s_or_b64 s[58:59], s[4:5], exec
	flat_store_dwordx2 v[2:3], v[4:5]
.LBB94_3872:
	s_or_b64 exec, exec, s[56:57]
	s_andn2_b64 s[6:7], s[6:7], exec
	s_and_b64 s[56:57], s[60:61], exec
	s_or_b64 s[6:7], s[6:7], s[56:57]
	s_andn2_b64 s[4:5], s[4:5], exec
	s_and_b64 s[56:57], s[58:59], exec
	s_or_b64 s[4:5], s[4:5], s[56:57]
.LBB94_3873:
	s_or_b64 exec, exec, s[54:55]
	v_readlane_b32 s54, v43, 0
	v_readlane_b32 s55, v43, 1
	s_andn2_b64 s[54:55], s[54:55], exec
	s_and_b64 s[6:7], s[6:7], exec
	s_or_b64 s[54:55], s[54:55], s[6:7]
	s_and_b64 s[6:7], s[4:5], exec
                                        ; implicit-def: $vgpr2_vgpr3
                                        ; implicit-def: $vgpr67
                                        ; implicit-def: $vgpr4
.LBB94_3874:
	s_andn2_saveexec_b64 s[50:51], s[50:51]
	s_cbranch_execz .LBB94_3890
; %bb.3875:
	v_mov_b32_e32 v5, 26
	v_cmp_gt_i16_sdwa s[4:5], v11, v5 src0_sel:BYTE_0 src1_sel:DWORD
	s_and_saveexec_b64 s[56:57], s[4:5]
	s_xor_b64 s[4:5], exec, s[56:57]
	s_cbranch_execz .LBB94_3881
; %bb.3876:
	v_cvt_u32_f32_e32 v4, v4
	v_mov_b32_e32 v5, 27
	v_cmp_gt_i16_sdwa s[56:57], v11, v5 src0_sel:BYTE_0 src1_sel:DWORD
	s_and_saveexec_b64 s[58:59], s[56:57]
	s_xor_b64 s[56:57], exec, s[58:59]
	s_cbranch_execz .LBB94_3878
; %bb.3877:
	flat_store_dword v[2:3], v4
                                        ; implicit-def: $vgpr2_vgpr3
                                        ; implicit-def: $vgpr4
.LBB94_3878:
	s_andn2_saveexec_b64 s[56:57], s[56:57]
	s_cbranch_execz .LBB94_3880
; %bb.3879:
	flat_store_short v[2:3], v4
.LBB94_3880:
	s_or_b64 exec, exec, s[56:57]
                                        ; implicit-def: $vgpr2_vgpr3
                                        ; implicit-def: $vgpr67
                                        ; implicit-def: $vgpr4
.LBB94_3881:
	s_andn2_saveexec_b64 s[56:57], s[4:5]
	s_cbranch_execz .LBB94_3889
; %bb.3882:
	v_cndmask_b32_e64 v67, |v0|, |v67|, vcc
	s_mov_b32 s4, 0x43800000
	v_cmp_gt_u32_e64 s[4:5], s4, v67
	v_mov_b32_e32 v68, 0x80
	s_and_saveexec_b64 s[58:59], s[4:5]
	s_cbranch_execz .LBB94_3888
; %bb.3883:
	s_mov_b32 s4, 0x3bffffff
	v_cmp_lt_u32_e64 s[4:5], s4, v67
	s_mov_b64 s[60:61], 0
                                        ; implicit-def: $vgpr5
	s_and_saveexec_b64 s[62:63], s[4:5]
	s_xor_b64 s[4:5], exec, s[62:63]
	s_cbranch_execnz .LBB94_6763
; %bb.3884:
	s_or_saveexec_b64 s[62:63], s[4:5]
                                        ; implicit-def: $sgpr64
	s_xor_b64 exec, exec, s[62:63]
	s_cbranch_execnz .LBB94_6764
.LBB94_3885:
	s_or_b64 exec, exec, s[62:63]
	v_mov_b32_e32 v68, s64
	s_and_saveexec_b64 s[4:5], s[60:61]
.LBB94_3886:
	v_lshrrev_b32_e32 v4, 24, v4
	s_movk_i32 s60, 0x80
	v_and_or_b32 v68, v4, s60, v5
.LBB94_3887:
	s_or_b64 exec, exec, s[4:5]
.LBB94_3888:
	s_or_b64 exec, exec, s[58:59]
	flat_store_byte v[2:3], v68
.LBB94_3889:
	s_or_b64 exec, exec, s[56:57]
	s_or_b64 s[6:7], s[6:7], exec
.LBB94_3890:
	s_or_b64 exec, exec, s[50:51]
	v_readlane_b32 s4, v43, 0
	v_readlane_b32 s5, v43, 1
	s_andn2_b64 s[4:5], s[4:5], exec
	s_and_b64 s[50:51], s[54:55], exec
	s_or_b64 s[50:51], s[4:5], s[50:51]
	s_and_b64 s[6:7], s[6:7], exec
                                        ; implicit-def: $vgpr4
                                        ; implicit-def: $vgpr2_vgpr3
                                        ; implicit-def: $vgpr67
.LBB94_3891:
	s_andn2_saveexec_b64 s[52:53], s[52:53]
	s_cbranch_execz .LBB94_3935
; %bb.3892:
	v_mov_b32_e32 v5, 22
	v_cmp_gt_i16_sdwa s[54:55], v11, v5 src0_sel:BYTE_0 src1_sel:DWORD
	s_mov_b64 s[4:5], s[6:7]
	s_and_saveexec_b64 s[56:57], s[54:55]
	s_xor_b64 s[54:55], exec, s[56:57]
	s_cbranch_execz .LBB94_3924
; %bb.3893:
	v_mov_b32_e32 v5, 23
	v_cmp_gt_i16_sdwa s[4:5], v11, v5 src0_sel:BYTE_0 src1_sel:DWORD
	s_and_saveexec_b64 s[56:57], s[4:5]
	s_xor_b64 s[56:57], exec, s[56:57]
	s_cbranch_execz .LBB94_3913
; %bb.3894:
	v_mov_b32_e32 v5, 24
	v_cmp_gt_i16_sdwa s[4:5], v11, v5 src0_sel:BYTE_0 src1_sel:DWORD
	s_and_saveexec_b64 s[58:59], s[4:5]
	s_xor_b64 s[58:59], exec, s[58:59]
	s_cbranch_execz .LBB94_3902
; %bb.3895:
	v_cndmask_b32_e64 v67, |v0|, |v67|, vcc
	s_mov_b32 s4, 0x47800000
	v_cmp_gt_u32_e64 s[4:5], s4, v67
	v_mov_b32_e32 v68, 0x80
	s_and_saveexec_b64 s[60:61], s[4:5]
	s_cbranch_execz .LBB94_3901
; %bb.3896:
	s_mov_b32 s4, 0x37ffffff
	v_cmp_lt_u32_e64 s[4:5], s4, v67
	s_mov_b64 s[62:63], 0
                                        ; implicit-def: $vgpr5
	s_and_saveexec_b64 s[64:65], s[4:5]
	s_xor_b64 s[4:5], exec, s[64:65]
	s_cbranch_execnz .LBB94_6889
; %bb.3897:
	s_or_saveexec_b64 s[64:65], s[4:5]
                                        ; implicit-def: $sgpr66
	s_xor_b64 exec, exec, s[64:65]
	s_cbranch_execnz .LBB94_6890
.LBB94_3898:
	s_or_b64 exec, exec, s[64:65]
	v_mov_b32_e32 v68, s66
	s_and_saveexec_b64 s[4:5], s[62:63]
.LBB94_3899:
	v_lshrrev_b32_e32 v4, 24, v4
	s_movk_i32 s62, 0x80
	v_and_or_b32 v68, v4, s62, v5
.LBB94_3900:
	s_or_b64 exec, exec, s[4:5]
.LBB94_3901:
	s_or_b64 exec, exec, s[60:61]
	flat_store_byte v[2:3], v68
                                        ; implicit-def: $vgpr4
                                        ; implicit-def: $vgpr2_vgpr3
                                        ; implicit-def: $vgpr67
.LBB94_3902:
	s_andn2_saveexec_b64 s[58:59], s[58:59]
	s_cbranch_execz .LBB94_3912
; %bb.3903:
	v_cndmask_b32_e64 v67, |v0|, |v67|, vcc
	s_mov_b32 s4, 0x43f00000
	v_cmp_gt_u32_e64 s[4:5], s4, v67
                                        ; implicit-def: $vgpr5
	s_and_saveexec_b64 s[60:61], s[4:5]
	s_xor_b64 s[60:61], exec, s[60:61]
	s_cbranch_execz .LBB94_3909
; %bb.3904:
	s_mov_b32 s4, 0x3c7fffff
	v_cmp_lt_u32_e64 s[4:5], s4, v67
                                        ; implicit-def: $vgpr5
	s_and_saveexec_b64 s[62:63], s[4:5]
	s_xor_b64 s[62:63], exec, s[62:63]
; %bb.3905:
	v_bfe_u32 v5, v4, 20, 1
	s_mov_b32 s4, 0x407ffff
	v_add3_u32 v5, v4, v5, s4
	v_lshrrev_b32_e32 v67, 20, v5
	v_and_b32_e32 v5, 0xff00000, v5
	s_mov_b32 s4, 0x7f00000
	v_mov_b32_e32 v68, 0x7e
	v_cmp_ne_u32_e64 s[4:5], s4, v5
	v_cndmask_b32_e64 v5, v68, v67, s[4:5]
                                        ; implicit-def: $vgpr67
; %bb.3906:
	s_andn2_saveexec_b64 s[4:5], s[62:63]
; %bb.3907:
	v_add_f32_e32 v5, 0x46800000, v67
; %bb.3908:
	s_or_b64 exec, exec, s[4:5]
                                        ; implicit-def: $vgpr67
.LBB94_3909:
	s_andn2_saveexec_b64 s[60:61], s[60:61]
; %bb.3910:
	s_mov_b32 s4, 0x7f800000
	v_mov_b32_e32 v5, 0x7e
	v_mov_b32_e32 v68, 0x7f
	v_cmp_lt_u32_e64 s[4:5], s4, v67
	v_cndmask_b32_e64 v5, v5, v68, s[4:5]
; %bb.3911:
	s_or_b64 exec, exec, s[60:61]
	v_lshrrev_b32_e32 v4, 24, v4
	s_movk_i32 s4, 0x80
	v_and_or_b32 v4, v4, s4, v5
	flat_store_byte v[2:3], v4
.LBB94_3912:
	s_or_b64 exec, exec, s[58:59]
                                        ; implicit-def: $vgpr4
                                        ; implicit-def: $vgpr2_vgpr3
                                        ; implicit-def: $vgpr67
.LBB94_3913:
	s_andn2_saveexec_b64 s[4:5], s[56:57]
	s_cbranch_execz .LBB94_3923
; %bb.3914:
	v_cndmask_b32_e64 v67, |v0|, |v67|, vcc
	s_mov_b32 vcc_lo, 0x47800000
	v_cmp_gt_u32_e32 vcc, vcc_lo, v67
                                        ; implicit-def: $vgpr5
	s_and_saveexec_b64 s[56:57], vcc
	s_xor_b64 s[56:57], exec, s[56:57]
	s_cbranch_execz .LBB94_3920
; %bb.3915:
	s_mov_b32 vcc_lo, 0x387fffff
	v_cmp_lt_u32_e32 vcc, vcc_lo, v67
                                        ; implicit-def: $vgpr5
	s_and_saveexec_b64 s[58:59], vcc
	s_xor_b64 vcc, exec, s[58:59]
; %bb.3916:
	v_bfe_u32 v5, v4, 21, 1
	s_mov_b32 s58, 0x80fffff
	v_add3_u32 v5, v4, v5, s58
	v_lshrrev_b32_e32 v5, 21, v5
                                        ; implicit-def: $vgpr67
; %bb.3917:
	s_andn2_saveexec_b64 vcc, vcc
; %bb.3918:
	v_add_f32_e32 v5, 0x43000000, v67
; %bb.3919:
	s_or_b64 exec, exec, vcc
                                        ; implicit-def: $vgpr67
.LBB94_3920:
	s_andn2_saveexec_b64 s[56:57], s[56:57]
; %bb.3921:
	s_mov_b32 vcc_lo, 0x7f800000
	v_mov_b32_e32 v5, 0x7c
	v_mov_b32_e32 v68, 0x7f
	v_cmp_lt_u32_e32 vcc, vcc_lo, v67
	v_cndmask_b32_e32 v5, v5, v68, vcc
; %bb.3922:
	s_or_b64 exec, exec, s[56:57]
	v_lshrrev_b32_e32 v4, 24, v4
	s_movk_i32 vcc_lo, 0x80
	v_and_or_b32 v4, v4, vcc_lo, v5
	flat_store_byte v[2:3], v4
.LBB94_3923:
	s_or_b64 exec, exec, s[4:5]
	s_or_b64 s[4:5], s[6:7], exec
                                        ; implicit-def: $vgpr4
                                        ; implicit-def: $vgpr2_vgpr3
.LBB94_3924:
	s_or_saveexec_b64 s[54:55], s[54:55]
	s_mov_b64 vcc, s[50:51]
	s_xor_b64 exec, exec, s[54:55]
	s_cbranch_execz .LBB94_3934
; %bb.3925:
	v_mov_b32_e32 v5, 14
	v_cmp_gt_i16_sdwa vcc, v11, v5 src0_sel:BYTE_0 src1_sel:DWORD
	s_mov_b64 s[56:57], s[4:5]
	s_mov_b64 s[58:59], s[50:51]
	s_and_saveexec_b64 s[60:61], vcc
	s_xor_b64 s[60:61], exec, s[60:61]
	s_cbranch_execz .LBB94_3929
; %bb.3926:
	v_mov_b32_e32 v5, 15
	v_cmp_eq_u16_sdwa s[62:63], v11, v5 src0_sel:BYTE_0 src1_sel:DWORD
	s_mov_b64 s[58:59], -1
	s_mov_b64 vcc, s[4:5]
	s_and_saveexec_b64 s[56:57], s[62:63]
	s_cbranch_execz .LBB94_3928
; %bb.3927:
	v_bfe_u32 v5, v4, 16, 1
	s_movk_i32 vcc_lo, 0x7fff
	v_add3_u32 v5, v4, v5, vcc_lo
	v_lshrrev_b32_e32 v5, 16, v5
	v_mov_b32_e32 v67, 0x7fc0
	v_cmp_o_f32_e32 vcc, v4, v4
	v_cndmask_b32_e32 v4, v67, v5, vcc
	flat_store_short v[2:3], v4
	s_xor_b64 s[58:59], exec, -1
	s_or_b64 vcc, s[4:5], exec
.LBB94_3928:
	s_or_b64 exec, exec, s[56:57]
	s_andn2_b64 s[56:57], s[50:51], exec
	s_and_b64 s[58:59], s[58:59], exec
	s_or_b64 s[58:59], s[56:57], s[58:59]
	s_andn2_b64 s[56:57], s[4:5], exec
	s_and_b64 vcc, vcc, exec
	s_or_b64 s[56:57], s[56:57], vcc
                                        ; implicit-def: $vgpr4
                                        ; implicit-def: $vgpr2_vgpr3
.LBB94_3929:
	s_andn2_saveexec_b64 s[60:61], s[60:61]
	s_cbranch_execz .LBB94_3933
; %bb.3930:
	v_mov_b32_e32 v5, 11
	v_cmp_eq_u16_sdwa s[66:67], v11, v5 src0_sel:BYTE_0 src1_sel:DWORD
	s_mov_b64 s[62:63], -1
	s_mov_b64 vcc, s[56:57]
	s_and_saveexec_b64 s[64:65], s[66:67]
	s_cbranch_execz .LBB94_3932
; %bb.3931:
	v_cmp_neq_f32_e32 vcc, 0, v4
	v_cndmask_b32_e64 v4, 0, 1, vcc
	flat_store_byte v[2:3], v4
	s_xor_b64 s[62:63], exec, -1
	s_or_b64 vcc, s[56:57], exec
.LBB94_3932:
	s_or_b64 exec, exec, s[64:65]
	s_andn2_b64 s[58:59], s[58:59], exec
	s_and_b64 s[62:63], s[62:63], exec
	s_andn2_b64 s[56:57], s[56:57], exec
	s_and_b64 vcc, vcc, exec
	s_or_b64 s[58:59], s[58:59], s[62:63]
	s_or_b64 s[56:57], s[56:57], vcc
.LBB94_3933:
	s_or_b64 exec, exec, s[60:61]
	s_andn2_b64 vcc, s[50:51], exec
	s_and_b64 s[58:59], s[58:59], exec
	s_andn2_b64 s[4:5], s[4:5], exec
	s_and_b64 s[56:57], s[56:57], exec
	s_or_b64 vcc, vcc, s[58:59]
	s_or_b64 s[4:5], s[4:5], s[56:57]
.LBB94_3934:
	s_or_b64 exec, exec, s[54:55]
	s_andn2_b64 s[50:51], s[50:51], exec
	s_and_b64 vcc, vcc, exec
	s_andn2_b64 s[6:7], s[6:7], exec
	s_and_b64 s[4:5], s[4:5], exec
	s_or_b64 s[50:51], s[50:51], vcc
	s_or_b64 s[6:7], s[6:7], s[4:5]
.LBB94_3935:
	s_or_b64 exec, exec, s[52:53]
	v_readlane_b32 s4, v43, 0
	v_readlane_b32 s5, v43, 1
	s_andn2_b64 s[4:5], s[4:5], exec
	s_and_b64 vcc, s[50:51], exec
	s_or_b64 s[4:5], s[4:5], vcc
	s_and_b64 s[6:7], s[6:7], exec
                                        ; implicit-def: $vgpr4
                                        ; implicit-def: $vgpr2_vgpr3
.LBB94_3936:
	s_andn2_saveexec_b64 s[38:39], s[38:39]
	s_cbranch_execz .LBB94_3978
; %bb.3937:
	v_mov_b32_e32 v5, 4
	v_cmp_gt_i16_sdwa vcc, v11, v5 src0_sel:BYTE_0 src1_sel:DWORD
	s_and_saveexec_b64 s[50:51], vcc
	s_xor_b64 vcc, exec, s[50:51]
	s_cbranch_execz .LBB94_3959
; %bb.3938:
	v_mov_b32_e32 v5, 7
	v_cmp_gt_i16_sdwa s[50:51], v11, v5 src0_sel:BYTE_0 src1_sel:DWORD
	s_and_saveexec_b64 s[52:53], s[50:51]
	s_xor_b64 s[50:51], exec, s[52:53]
	s_cbranch_execz .LBB94_3948
; %bb.3939:
	v_mov_b32_e32 v5, 8
	v_cmp_gt_i16_sdwa s[52:53], v11, v5 src0_sel:BYTE_0 src1_sel:DWORD
	s_and_saveexec_b64 s[54:55], s[52:53]
	s_xor_b64 s[52:53], exec, s[54:55]
	;; [unrolled: 6-line block ×3, first 2 shown]
	s_cbranch_execz .LBB94_3942
; %bb.3941:
	v_mov_b32_e32 v70, 0
	v_cvt_f64_f32_e32 v[68:69], v4
	v_mov_b32_e32 v71, v70
	flat_store_dwordx4 v[2:3], v[68:71]
                                        ; implicit-def: $vgpr4
                                        ; implicit-def: $vgpr2_vgpr3
.LBB94_3942:
	s_andn2_saveexec_b64 s[54:55], s[54:55]
	s_cbranch_execz .LBB94_3944
; %bb.3943:
	v_mov_b32_e32 v5, 0
	flat_store_dwordx2 v[2:3], v[4:5]
.LBB94_3944:
	s_or_b64 exec, exec, s[54:55]
                                        ; implicit-def: $vgpr4
                                        ; implicit-def: $vgpr2_vgpr3
.LBB94_3945:
	s_andn2_saveexec_b64 s[52:53], s[52:53]
	s_cbranch_execz .LBB94_3947
; %bb.3946:
	v_cvt_f16_f32_e32 v4, v4
	flat_store_dword v[2:3], v4
.LBB94_3947:
	s_or_b64 exec, exec, s[52:53]
                                        ; implicit-def: $vgpr4
                                        ; implicit-def: $vgpr2_vgpr3
.LBB94_3948:
	s_andn2_saveexec_b64 s[50:51], s[50:51]
	s_cbranch_execz .LBB94_3958
; %bb.3949:
	v_mov_b32_e32 v5, 5
	v_cmp_gt_i16_sdwa s[52:53], v11, v5 src0_sel:BYTE_0 src1_sel:DWORD
	s_and_saveexec_b64 s[54:55], s[52:53]
	s_xor_b64 s[52:53], exec, s[54:55]
	s_cbranch_execz .LBB94_3955
; %bb.3950:
	v_mov_b32_e32 v5, 6
	v_cmp_gt_i16_sdwa s[54:55], v11, v5 src0_sel:BYTE_0 src1_sel:DWORD
	s_and_saveexec_b64 s[56:57], s[54:55]
	s_xor_b64 s[54:55], exec, s[56:57]
	s_cbranch_execz .LBB94_3952
; %bb.3951:
	v_cvt_f64_f32_e32 v[4:5], v4
	flat_store_dwordx2 v[2:3], v[4:5]
                                        ; implicit-def: $vgpr2_vgpr3
                                        ; implicit-def: $vgpr4
.LBB94_3952:
	s_andn2_saveexec_b64 s[54:55], s[54:55]
	s_cbranch_execz .LBB94_3954
; %bb.3953:
	flat_store_dword v[2:3], v4
.LBB94_3954:
	s_or_b64 exec, exec, s[54:55]
                                        ; implicit-def: $vgpr4
                                        ; implicit-def: $vgpr2_vgpr3
.LBB94_3955:
	s_andn2_saveexec_b64 s[52:53], s[52:53]
	s_cbranch_execz .LBB94_3957
; %bb.3956:
	v_cvt_f16_f32_e32 v4, v4
	flat_store_short v[2:3], v4
.LBB94_3957:
	s_or_b64 exec, exec, s[52:53]
.LBB94_3958:
	s_or_b64 exec, exec, s[50:51]
                                        ; implicit-def: $vgpr4
                                        ; implicit-def: $vgpr2_vgpr3
.LBB94_3959:
	s_andn2_saveexec_b64 s[50:51], vcc
	s_cbranch_execz .LBB94_3977
; %bb.3960:
	v_mov_b32_e32 v5, 1
	v_cmp_gt_i16_sdwa vcc, v11, v5 src0_sel:BYTE_0 src1_sel:DWORD
	s_and_saveexec_b64 s[52:53], vcc
	s_xor_b64 s[52:53], exec, s[52:53]
	s_cbranch_execz .LBB94_3970
; %bb.3961:
	v_mov_b32_e32 v5, 2
	v_cmp_gt_i16_sdwa vcc, v11, v5 src0_sel:BYTE_0 src1_sel:DWORD
	s_and_saveexec_b64 s[54:55], vcc
	s_xor_b64 s[54:55], exec, s[54:55]
	;; [unrolled: 6-line block ×3, first 2 shown]
	s_cbranch_execz .LBB94_3964
; %bb.3963:
	v_trunc_f32_e32 v4, v4
	s_mov_b32 s58, 0x2f800000
	v_mul_f32_e64 v5, |v4|, s58
	v_floor_f32_e32 v5, v5
	s_mov_b32 s58, 0xcf800000
	v_cvt_u32_f32_e32 v67, v5
	v_fma_f32 v5, v5, s58, |v4|
	v_cvt_u32_f32_e32 v5, v5
	v_ashrrev_i32_e32 v68, 31, v4
	v_xor_b32_e32 v67, v67, v68
	v_xor_b32_e32 v4, v5, v68
	v_sub_co_u32_e32 v4, vcc, v4, v68
	v_subb_co_u32_e32 v5, vcc, v67, v68, vcc
	flat_store_dwordx2 v[2:3], v[4:5]
                                        ; implicit-def: $vgpr4
                                        ; implicit-def: $vgpr2_vgpr3
.LBB94_3964:
	s_andn2_saveexec_b64 vcc, s[56:57]
	s_cbranch_execz .LBB94_3966
; %bb.3965:
	v_cvt_i32_f32_e32 v4, v4
	flat_store_dword v[2:3], v4
.LBB94_3966:
	s_or_b64 exec, exec, vcc
                                        ; implicit-def: $vgpr4
                                        ; implicit-def: $vgpr2_vgpr3
.LBB94_3967:
	s_andn2_saveexec_b64 vcc, s[54:55]
	s_cbranch_execz .LBB94_3969
; %bb.3968:
	v_cvt_i32_f32_e32 v4, v4
	flat_store_short v[2:3], v4
.LBB94_3969:
	s_or_b64 exec, exec, vcc
                                        ; implicit-def: $vgpr4
                                        ; implicit-def: $vgpr2_vgpr3
.LBB94_3970:
	s_andn2_saveexec_b64 vcc, s[52:53]
	s_cbranch_execz .LBB94_3976
; %bb.3971:
	v_mov_b32_e32 v5, 0
	v_cmp_gt_i16_sdwa s[52:53], v11, v5 src0_sel:BYTE_0 src1_sel:DWORD
	s_and_saveexec_b64 s[54:55], s[52:53]
	s_xor_b64 s[52:53], exec, s[54:55]
	s_cbranch_execz .LBB94_3973
; %bb.3972:
	v_cvt_i32_f32_e32 v4, v4
	flat_store_byte v[2:3], v4
                                        ; implicit-def: $vgpr4
                                        ; implicit-def: $vgpr2_vgpr3
.LBB94_3973:
	s_andn2_saveexec_b64 s[52:53], s[52:53]
	s_cbranch_execz .LBB94_3975
; %bb.3974:
	v_trunc_f32_e32 v4, v4
	s_mov_b32 s54, 0x2f800000
	v_mul_f32_e64 v5, |v4|, s54
	v_floor_f32_e32 v5, v5
	s_mov_b32 s54, 0xcf800000
	v_fma_f32 v5, v5, s54, |v4|
	v_cvt_u32_f32_e32 v5, v5
	v_ashrrev_i32_e32 v4, 31, v4
	v_xor_b32_e32 v5, v5, v4
	v_sub_u32_e32 v4, v5, v4
	flat_store_byte v[2:3], v4
.LBB94_3975:
	s_or_b64 exec, exec, s[52:53]
.LBB94_3976:
	s_or_b64 exec, exec, vcc
.LBB94_3977:
	s_or_b64 exec, exec, s[50:51]
	s_or_b64 s[6:7], s[6:7], exec
.LBB94_3978:
	s_or_b64 exec, exec, s[38:39]
	s_mov_b64 vcc, 0
	s_and_saveexec_b64 s[38:39], s[6:7]
; %bb.3979:
	s_mov_b64 vcc, exec
	v_add_u32_e32 v14, 0x200, v14
; %bb.3980:
	s_or_b64 exec, exec, s[38:39]
	v_readlane_b32 s6, v43, 0
	v_readlane_b32 s7, v43, 1
	s_andn2_b64 s[6:7], s[6:7], exec
	s_and_b64 s[4:5], s[4:5], exec
	s_or_b64 s[38:39], s[6:7], s[4:5]
	s_orn2_b64 s[50:51], vcc, exec
	s_mov_b64 s[6:7], s[48:49]
	s_mov_b64 s[4:5], s[46:47]
.LBB94_3981:
	s_or_b64 exec, exec, s[40:41]
	s_mov_b64 vcc, 0
	s_mov_b64 s[46:47], 0
	s_mov_b64 s[48:49], 0
                                        ; implicit-def: $vgpr2
                                        ; implicit-def: $vgpr103
                                        ; implicit-def: $vgpr4_vgpr5
	s_and_saveexec_b64 s[40:41], s[50:51]
	s_cbranch_execz .LBB94_4951
; %bb.3982:
	v_writelane_b32 v43, s4, 4
	v_writelane_b32 v43, s5, 5
	;; [unrolled: 1-line block ×7, first 2 shown]
	v_cmp_lt_i32_e32 vcc, v14, v6
	s_mov_b64 s[46:47], -1
	s_mov_b64 s[4:5], s[38:39]
	v_writelane_b32 v43, s43, 11
	s_and_saveexec_b64 s[42:43], vcc
	s_cbranch_execz .LBB94_3988
; %bb.3983:
	v_readlane_b32 s4, v44, 1
	v_add_u32_e32 v2, s4, v14
	v_mul_lo_u32 v2, v2, v12
	v_add_co_u32_e32 v2, vcc, v0, v2
	v_addc_co_u32_e32 v3, vcc, 0, v1, vcc
	v_or_b32_e32 v4, 0x1800, v13
	s_brev_b32 s4, -2
	v_mov_b32_e32 v5, 10
	v_cmp_lt_i32_e32 vcc, v4, v6
	s_waitcnt vmcnt(0)
	v_bfi_b32 v4, s4, v65, v66
	v_cmp_gt_i16_sdwa s[44:45], v11, v5 src0_sel:BYTE_0 src1_sel:DWORD
	s_mov_b64 s[6:7], 0
	s_mov_b64 s[4:5], s[38:39]
	s_and_saveexec_b64 s[46:47], s[44:45]
	s_xor_b64 s[44:45], exec, s[46:47]
	s_cbranch_execnz .LBB94_6259
; %bb.3984:
	s_andn2_saveexec_b64 s[44:45], s[44:45]
	s_cbranch_execnz .LBB94_6340
.LBB94_3985:
	s_or_b64 exec, exec, s[44:45]
	s_mov_b64 vcc, 0
	s_and_saveexec_b64 s[44:45], s[6:7]
.LBB94_3986:
	s_mov_b64 vcc, exec
	v_add_u32_e32 v14, 0x200, v14
.LBB94_3987:
	s_or_b64 exec, exec, s[44:45]
	s_andn2_b64 s[6:7], s[38:39], exec
	s_and_b64 s[4:5], s[4:5], exec
	s_or_b64 s[4:5], s[6:7], s[4:5]
	s_orn2_b64 s[46:47], vcc, exec
.LBB94_3988:
	s_or_b64 exec, exec, s[42:43]
	s_mov_b64 s[6:7], 0
	s_mov_b64 vcc, 0
	s_mov_b64 s[44:45], 0
                                        ; implicit-def: $vgpr2
                                        ; implicit-def: $vgpr103
                                        ; implicit-def: $vgpr4_vgpr5
	s_and_saveexec_b64 s[42:43], s[46:47]
	s_cbranch_execz .LBB94_4950
; %bb.3989:
	v_writelane_b32 v43, s42, 12
	v_writelane_b32 v43, s43, 13
	v_cmp_lt_i32_e32 vcc, v14, v6
	s_mov_b64 s[46:47], -1
	v_writelane_b32 v43, s4, 14
	s_mov_b64 s[42:43], s[4:5]
	v_writelane_b32 v43, s5, 15
	s_and_saveexec_b64 s[44:45], vcc
	s_cbranch_execz .LBB94_3995
; %bb.3990:
	v_readlane_b32 s4, v44, 1
	v_add_u32_e32 v2, s4, v14
	v_mul_lo_u32 v2, v2, v12
	v_add_co_u32_e32 v2, vcc, v0, v2
	v_addc_co_u32_e32 v3, vcc, 0, v1, vcc
	v_add_u32_e32 v4, 0x1a00, v13
	s_brev_b32 s4, -2
	v_cmp_lt_i32_e32 vcc, v4, v6
	s_waitcnt vmcnt(0)
	v_bfi_b32 v4, s4, v55, v64
	v_mov_b32_e32 v5, 10
	v_readlane_b32 s4, v43, 14
	v_cmp_gt_i16_sdwa s[42:43], v11, v5 src0_sel:BYTE_0 src1_sel:DWORD
	v_readlane_b32 s5, v43, 15
	s_and_saveexec_b64 s[46:47], s[42:43]
	s_xor_b64 s[42:43], exec, s[46:47]
	s_cbranch_execnz .LBB94_6385
; %bb.3991:
	s_andn2_saveexec_b64 s[42:43], s[42:43]
	s_cbranch_execnz .LBB94_6466
.LBB94_3992:
	s_or_b64 exec, exec, s[42:43]
	s_mov_b64 vcc, 0
	s_and_saveexec_b64 s[42:43], s[6:7]
.LBB94_3993:
	s_mov_b64 vcc, exec
	v_add_u32_e32 v14, 0x200, v14
.LBB94_3994:
	s_or_b64 exec, exec, s[42:43]
	v_readlane_b32 s6, v43, 14
	v_readlane_b32 s7, v43, 15
	s_andn2_b64 s[6:7], s[6:7], exec
	s_and_b64 s[4:5], s[4:5], exec
	s_or_b64 s[42:43], s[6:7], s[4:5]
	s_orn2_b64 s[46:47], vcc, exec
.LBB94_3995:
	s_or_b64 exec, exec, s[44:45]
	s_mov_b64 s[4:5], 0
	s_mov_b64 s[6:7], 0
	s_mov_b64 vcc, 0
                                        ; implicit-def: $vgpr2
                                        ; implicit-def: $vgpr103
                                        ; implicit-def: $vgpr4_vgpr5
	s_and_saveexec_b64 s[44:45], s[46:47]
	s_cbranch_execz .LBB94_4949
; %bb.3996:
	v_cmp_lt_i32_e32 vcc, v14, v6
	s_mov_b64 s[50:51], -1
	s_mov_b64 s[46:47], s[42:43]
	s_and_saveexec_b64 s[48:49], vcc
	s_cbranch_execz .LBB94_4002
; %bb.3997:
	v_readlane_b32 s4, v44, 1
	v_add_u32_e32 v2, s4, v14
	v_mul_lo_u32 v2, v2, v12
	v_add_co_u32_e32 v2, vcc, v0, v2
	v_addc_co_u32_e32 v3, vcc, 0, v1, vcc
	v_or_b32_e32 v4, 0x1c00, v13
	s_brev_b32 s4, -2
	v_mov_b32_e32 v5, 10
	v_cmp_lt_i32_e32 vcc, v4, v6
	s_waitcnt vmcnt(0)
	v_bfi_b32 v4, s4, v53, v54
	v_cmp_gt_i16_sdwa s[46:47], v11, v5 src0_sel:BYTE_0 src1_sel:DWORD
	s_mov_b64 s[4:5], s[42:43]
	s_and_saveexec_b64 s[50:51], s[46:47]
	s_xor_b64 s[46:47], exec, s[50:51]
	s_cbranch_execnz .LBB94_6511
; %bb.3998:
	s_andn2_saveexec_b64 s[46:47], s[46:47]
	s_cbranch_execnz .LBB94_6592
.LBB94_3999:
	s_or_b64 exec, exec, s[46:47]
	s_mov_b64 vcc, 0
	s_and_saveexec_b64 s[46:47], s[6:7]
.LBB94_4000:
	s_mov_b64 vcc, exec
	v_add_u32_e32 v14, 0x200, v14
.LBB94_4001:
	s_or_b64 exec, exec, s[46:47]
	s_andn2_b64 s[6:7], s[42:43], exec
	s_and_b64 s[4:5], s[4:5], exec
	s_or_b64 s[46:47], s[6:7], s[4:5]
	s_orn2_b64 s[50:51], vcc, exec
.LBB94_4002:
	s_or_b64 exec, exec, s[48:49]
	s_mov_b64 s[4:5], 0
	s_mov_b64 s[6:7], 0
	s_mov_b64 vcc, 0
                                        ; implicit-def: $vgpr2
                                        ; implicit-def: $vgpr103
                                        ; implicit-def: $vgpr4_vgpr5
	s_and_saveexec_b64 s[48:49], s[50:51]
	s_cbranch_execz .LBB94_4948
; %bb.4003:
	v_cmp_lt_i32_e32 vcc, v14, v6
	s_mov_b64 s[54:55], -1
	s_mov_b64 s[50:51], s[46:47]
	s_and_saveexec_b64 s[52:53], vcc
	s_cbranch_execz .LBB94_4009
; %bb.4004:
	v_readlane_b32 s4, v44, 1
	v_add_u32_e32 v2, s4, v14
	v_mul_lo_u32 v2, v2, v12
	v_add_co_u32_e32 v2, vcc, v0, v2
	v_addc_co_u32_e32 v3, vcc, 0, v1, vcc
	v_add_u32_e32 v4, 0x1e00, v13
	s_brev_b32 s4, -2
	v_mov_b32_e32 v5, 10
	v_cmp_lt_i32_e32 vcc, v4, v6
	s_waitcnt vmcnt(0)
	v_bfi_b32 v4, s4, v51, v52
	v_cmp_gt_i16_sdwa s[50:51], v11, v5 src0_sel:BYTE_0 src1_sel:DWORD
	s_mov_b64 s[4:5], s[46:47]
	s_and_saveexec_b64 s[54:55], s[50:51]
	s_xor_b64 s[50:51], exec, s[54:55]
	s_cbranch_execnz .LBB94_6637
; %bb.4005:
	s_andn2_saveexec_b64 s[50:51], s[50:51]
	s_cbranch_execnz .LBB94_6718
.LBB94_4006:
	s_or_b64 exec, exec, s[50:51]
	s_mov_b64 vcc, 0
	s_and_saveexec_b64 s[50:51], s[6:7]
.LBB94_4007:
	s_mov_b64 vcc, exec
	v_add_u32_e32 v14, 0x200, v14
.LBB94_4008:
	s_or_b64 exec, exec, s[50:51]
	s_andn2_b64 s[6:7], s[46:47], exec
	s_and_b64 s[4:5], s[4:5], exec
	s_or_b64 s[50:51], s[6:7], s[4:5]
	s_orn2_b64 s[54:55], vcc, exec
.LBB94_4009:
	s_or_b64 exec, exec, s[52:53]
	s_mov_b64 s[4:5], 0
	s_mov_b64 s[6:7], 0
	s_mov_b64 vcc, 0
                                        ; implicit-def: $vgpr2
                                        ; implicit-def: $vgpr103
                                        ; implicit-def: $vgpr4_vgpr5
	s_and_saveexec_b64 s[52:53], s[54:55]
	s_cbranch_execz .LBB94_4947
; %bb.4010:
	v_cmp_lt_i32_e32 vcc, v14, v6
	s_mov_b64 s[58:59], -1
	s_mov_b64 s[54:55], s[50:51]
	s_and_saveexec_b64 s[56:57], vcc
	s_cbranch_execz .LBB94_4016
; %bb.4011:
	v_readlane_b32 s4, v44, 1
	v_add_u32_e32 v2, s4, v14
	v_mul_lo_u32 v2, v2, v12
	v_add_co_u32_e32 v2, vcc, v0, v2
	v_addc_co_u32_e32 v3, vcc, 0, v1, vcc
	v_or_b32_e32 v4, 0x2000, v13
	s_brev_b32 s4, -2
	v_mov_b32_e32 v5, 10
	v_cmp_lt_i32_e32 vcc, v4, v6
	s_waitcnt vmcnt(0)
	v_bfi_b32 v4, s4, v49, v50
	v_cmp_gt_i16_sdwa s[54:55], v11, v5 src0_sel:BYTE_0 src1_sel:DWORD
	s_mov_b64 s[4:5], s[50:51]
	s_and_saveexec_b64 s[58:59], s[54:55]
	s_xor_b64 s[54:55], exec, s[58:59]
	s_cbranch_execnz .LBB94_6765
; %bb.4012:
	s_andn2_saveexec_b64 s[54:55], s[54:55]
	s_cbranch_execnz .LBB94_6846
.LBB94_4013:
	s_or_b64 exec, exec, s[54:55]
	s_mov_b64 vcc, 0
	s_and_saveexec_b64 s[54:55], s[6:7]
.LBB94_4014:
	s_mov_b64 vcc, exec
	v_add_u32_e32 v14, 0x200, v14
.LBB94_4015:
	s_or_b64 exec, exec, s[54:55]
	s_andn2_b64 s[6:7], s[50:51], exec
	s_and_b64 s[4:5], s[4:5], exec
	s_or_b64 s[54:55], s[6:7], s[4:5]
	s_orn2_b64 s[58:59], vcc, exec
.LBB94_4016:
	s_or_b64 exec, exec, s[56:57]
	s_mov_b64 s[4:5], 0
	s_mov_b64 s[6:7], 0
	s_mov_b64 vcc, 0
                                        ; implicit-def: $vgpr2
                                        ; implicit-def: $vgpr103
                                        ; implicit-def: $vgpr4_vgpr5
	s_and_saveexec_b64 s[56:57], s[58:59]
	s_cbranch_execz .LBB94_4946
; %bb.4017:
	v_cmp_lt_i32_e32 vcc, v14, v6
	s_mov_b64 s[62:63], -1
	s_mov_b64 s[58:59], s[54:55]
	s_and_saveexec_b64 s[60:61], vcc
	s_cbranch_execz .LBB94_4023
; %bb.4018:
	v_readlane_b32 s4, v44, 1
	v_add_u32_e32 v2, s4, v14
	v_mul_lo_u32 v2, v2, v12
	v_add_co_u32_e32 v2, vcc, v0, v2
	v_addc_co_u32_e32 v3, vcc, 0, v1, vcc
	v_add_u32_e32 v4, 0x2200, v13
	s_brev_b32 s4, -2
	v_mov_b32_e32 v5, 10
	v_cmp_lt_i32_e32 vcc, v4, v6
	s_waitcnt vmcnt(0)
	v_bfi_b32 v4, s4, v39, v48
	v_cmp_gt_i16_sdwa s[58:59], v11, v5 src0_sel:BYTE_0 src1_sel:DWORD
	s_mov_b64 s[4:5], s[54:55]
	s_and_saveexec_b64 s[62:63], s[58:59]
	s_xor_b64 s[58:59], exec, s[62:63]
	s_cbranch_execnz .LBB94_6891
; %bb.4019:
	s_andn2_saveexec_b64 s[58:59], s[58:59]
	s_cbranch_execnz .LBB94_6972
.LBB94_4020:
	s_or_b64 exec, exec, s[58:59]
	s_mov_b64 vcc, 0
	s_and_saveexec_b64 s[58:59], s[6:7]
.LBB94_4021:
	s_mov_b64 vcc, exec
	v_add_u32_e32 v14, 0x200, v14
.LBB94_4022:
	s_or_b64 exec, exec, s[58:59]
	s_andn2_b64 s[6:7], s[54:55], exec
	s_and_b64 s[4:5], s[4:5], exec
	s_or_b64 s[58:59], s[6:7], s[4:5]
	s_orn2_b64 s[62:63], vcc, exec
.LBB94_4023:
	s_or_b64 exec, exec, s[60:61]
	s_mov_b64 s[4:5], 0
	s_mov_b64 s[6:7], 0
	s_mov_b64 vcc, 0
                                        ; implicit-def: $vgpr2
                                        ; implicit-def: $vgpr103
                                        ; implicit-def: $vgpr4_vgpr5
	s_and_saveexec_b64 s[60:61], s[62:63]
	s_cbranch_execz .LBB94_4945
; %bb.4024:
	v_cmp_lt_i32_e32 vcc, v14, v6
	s_mov_b64 s[66:67], -1
	s_mov_b64 s[62:63], s[58:59]
	s_and_saveexec_b64 s[64:65], vcc
	s_cbranch_execz .LBB94_4030
; %bb.4025:
	v_readlane_b32 s4, v44, 1
	v_add_u32_e32 v2, s4, v14
	v_mul_lo_u32 v2, v2, v12
	v_add_co_u32_e32 v2, vcc, v0, v2
	v_addc_co_u32_e32 v3, vcc, 0, v1, vcc
	v_or_b32_e32 v4, 0x2400, v13
	s_brev_b32 s4, -2
	v_mov_b32_e32 v5, 10
	v_cmp_lt_i32_e32 vcc, v4, v6
	s_waitcnt vmcnt(0)
	v_bfi_b32 v4, s4, v37, v38
	v_cmp_gt_i16_sdwa s[62:63], v11, v5 src0_sel:BYTE_0 src1_sel:DWORD
	s_mov_b64 s[4:5], s[58:59]
	s_and_saveexec_b64 s[66:67], s[62:63]
	s_xor_b64 s[62:63], exec, s[66:67]
	s_cbranch_execnz .LBB94_7015
; %bb.4026:
	s_andn2_saveexec_b64 s[62:63], s[62:63]
	s_cbranch_execnz .LBB94_7096
.LBB94_4027:
	s_or_b64 exec, exec, s[62:63]
	s_mov_b64 vcc, 0
	s_and_saveexec_b64 s[62:63], s[6:7]
.LBB94_4028:
	s_mov_b64 vcc, exec
	v_add_u32_e32 v14, 0x200, v14
.LBB94_4029:
	s_or_b64 exec, exec, s[62:63]
	s_andn2_b64 s[6:7], s[58:59], exec
	s_and_b64 s[4:5], s[4:5], exec
	s_or_b64 s[62:63], s[6:7], s[4:5]
	s_orn2_b64 s[66:67], vcc, exec
.LBB94_4030:
	s_or_b64 exec, exec, s[64:65]
	s_mov_b64 s[4:5], 0
	s_mov_b64 s[6:7], 0
	s_mov_b64 vcc, 0
                                        ; implicit-def: $vgpr2
                                        ; implicit-def: $vgpr103
                                        ; implicit-def: $vgpr4_vgpr5
	s_and_saveexec_b64 s[64:65], s[66:67]
	s_cbranch_execz .LBB94_4944
; %bb.4031:
	v_cmp_lt_i32_e32 vcc, v14, v6
	s_mov_b64 s[70:71], -1
	s_mov_b64 s[66:67], s[62:63]
	s_and_saveexec_b64 s[68:69], vcc
	s_cbranch_execz .LBB94_4037
; %bb.4032:
	v_readlane_b32 s4, v44, 1
	v_add_u32_e32 v2, s4, v14
	v_mul_lo_u32 v2, v2, v12
	v_add_co_u32_e32 v2, vcc, v0, v2
	v_addc_co_u32_e32 v3, vcc, 0, v1, vcc
	v_add_u32_e32 v4, 0x2600, v13
	s_brev_b32 s4, -2
	v_mov_b32_e32 v5, 10
	v_cmp_lt_i32_e32 vcc, v4, v6
	s_waitcnt vmcnt(0)
	v_bfi_b32 v4, s4, v35, v36
	v_cmp_gt_i16_sdwa s[66:67], v11, v5 src0_sel:BYTE_0 src1_sel:DWORD
	s_mov_b64 s[4:5], s[62:63]
	s_and_saveexec_b64 s[70:71], s[66:67]
	s_xor_b64 s[66:67], exec, s[70:71]
	s_cbranch_execnz .LBB94_7141
; %bb.4033:
	s_andn2_saveexec_b64 s[66:67], s[66:67]
	s_cbranch_execnz .LBB94_7222
.LBB94_4034:
	s_or_b64 exec, exec, s[66:67]
	s_mov_b64 vcc, 0
	s_and_saveexec_b64 s[66:67], s[6:7]
.LBB94_4035:
	s_mov_b64 vcc, exec
	v_add_u32_e32 v14, 0x200, v14
.LBB94_4036:
	s_or_b64 exec, exec, s[66:67]
	s_andn2_b64 s[6:7], s[62:63], exec
	s_and_b64 s[4:5], s[4:5], exec
	s_or_b64 s[66:67], s[6:7], s[4:5]
	s_orn2_b64 s[70:71], vcc, exec
.LBB94_4037:
	s_or_b64 exec, exec, s[68:69]
	s_mov_b64 s[4:5], 0
	s_mov_b64 s[6:7], 0
	s_mov_b64 vcc, 0
                                        ; implicit-def: $vgpr2
                                        ; implicit-def: $vgpr103
                                        ; implicit-def: $vgpr4_vgpr5
	s_and_saveexec_b64 s[68:69], s[70:71]
	s_cbranch_execz .LBB94_4943
; %bb.4038:
	v_cmp_lt_i32_e32 vcc, v14, v6
	s_mov_b64 s[74:75], -1
	s_mov_b64 s[70:71], s[66:67]
	s_and_saveexec_b64 s[72:73], vcc
	s_cbranch_execz .LBB94_4044
; %bb.4039:
	v_readlane_b32 s4, v44, 1
	v_add_u32_e32 v2, s4, v14
	v_mul_lo_u32 v2, v2, v12
	v_add_co_u32_e32 v2, vcc, v0, v2
	v_addc_co_u32_e32 v3, vcc, 0, v1, vcc
	v_or_b32_e32 v4, 0x2800, v13
	s_brev_b32 s4, -2
	v_mov_b32_e32 v5, 10
	v_cmp_lt_i32_e32 vcc, v4, v6
	s_waitcnt vmcnt(0)
	v_bfi_b32 v4, s4, v33, v34
	v_cmp_gt_i16_sdwa s[70:71], v11, v5 src0_sel:BYTE_0 src1_sel:DWORD
	s_mov_b64 s[4:5], s[66:67]
	s_and_saveexec_b64 s[74:75], s[70:71]
	s_xor_b64 s[70:71], exec, s[74:75]
	s_cbranch_execnz .LBB94_7267
; %bb.4040:
	s_andn2_saveexec_b64 s[70:71], s[70:71]
	s_cbranch_execnz .LBB94_7348
.LBB94_4041:
	s_or_b64 exec, exec, s[70:71]
	s_mov_b64 vcc, 0
	s_and_saveexec_b64 s[70:71], s[6:7]
.LBB94_4042:
	s_mov_b64 vcc, exec
	v_add_u32_e32 v14, 0x200, v14
.LBB94_4043:
	s_or_b64 exec, exec, s[70:71]
	s_andn2_b64 s[6:7], s[66:67], exec
	s_and_b64 s[4:5], s[4:5], exec
	s_or_b64 s[70:71], s[6:7], s[4:5]
	s_orn2_b64 s[74:75], vcc, exec
.LBB94_4044:
	s_or_b64 exec, exec, s[72:73]
	s_mov_b64 s[4:5], 0
	s_mov_b64 s[6:7], 0
	s_mov_b64 vcc, 0
                                        ; implicit-def: $vgpr2
                                        ; implicit-def: $vgpr103
                                        ; implicit-def: $vgpr4_vgpr5
	s_and_saveexec_b64 s[72:73], s[74:75]
	s_cbranch_execz .LBB94_4942
; %bb.4045:
	v_cmp_lt_i32_e32 vcc, v14, v6
	s_mov_b64 s[78:79], -1
	s_mov_b64 s[74:75], s[70:71]
	s_and_saveexec_b64 s[76:77], vcc
	s_cbranch_execz .LBB94_4051
; %bb.4046:
	v_readlane_b32 s4, v44, 1
	v_add_u32_e32 v2, s4, v14
	v_mul_lo_u32 v2, v2, v12
	v_add_co_u32_e32 v2, vcc, v0, v2
	v_addc_co_u32_e32 v3, vcc, 0, v1, vcc
	v_add_u32_e32 v4, 0x2a00, v13
	s_brev_b32 s4, -2
	v_mov_b32_e32 v5, 10
	v_cmp_lt_i32_e32 vcc, v4, v6
	s_waitcnt vmcnt(0)
	v_bfi_b32 v4, s4, v31, v32
	v_cmp_gt_i16_sdwa s[74:75], v11, v5 src0_sel:BYTE_0 src1_sel:DWORD
	s_mov_b64 s[4:5], s[70:71]
	s_and_saveexec_b64 s[78:79], s[74:75]
	s_xor_b64 s[74:75], exec, s[78:79]
	s_cbranch_execnz .LBB94_7393
; %bb.4047:
	s_andn2_saveexec_b64 s[74:75], s[74:75]
	s_cbranch_execnz .LBB94_7474
.LBB94_4048:
	s_or_b64 exec, exec, s[74:75]
	s_mov_b64 vcc, 0
	s_and_saveexec_b64 s[74:75], s[6:7]
.LBB94_4049:
	s_mov_b64 vcc, exec
	v_add_u32_e32 v14, 0x200, v14
.LBB94_4050:
	s_or_b64 exec, exec, s[74:75]
	s_andn2_b64 s[6:7], s[70:71], exec
	s_and_b64 s[4:5], s[4:5], exec
	s_or_b64 s[74:75], s[6:7], s[4:5]
	s_orn2_b64 s[78:79], vcc, exec
.LBB94_4051:
	s_or_b64 exec, exec, s[76:77]
	s_mov_b64 s[4:5], 0
	s_mov_b64 s[6:7], 0
	s_mov_b64 vcc, 0
                                        ; implicit-def: $vgpr2
                                        ; implicit-def: $vgpr103
                                        ; implicit-def: $vgpr4_vgpr5
	s_mov_b64 s[76:77], exec
	v_writelane_b32 v43, s76, 16
	s_and_b64 s[78:79], s[76:77], s[78:79]
	v_writelane_b32 v43, s77, 17
	s_mov_b64 exec, s[78:79]
	s_cbranch_execz .LBB94_4941
; %bb.4052:
	v_cmp_lt_i32_e32 vcc, v14, v6
	s_mov_b64 s[82:83], -1
	v_writelane_b32 v43, s74, 18
	v_writelane_b32 v43, s75, 19
	s_and_saveexec_b64 s[80:81], vcc
	s_cbranch_execz .LBB94_4058
; %bb.4053:
	v_readlane_b32 s4, v44, 1
	v_add_u32_e32 v2, s4, v14
	v_mul_lo_u32 v2, v2, v12
	v_add_co_u32_e32 v2, vcc, v0, v2
	v_addc_co_u32_e32 v3, vcc, 0, v1, vcc
	v_or_b32_e32 v4, 0x2c00, v13
	s_brev_b32 s4, -2
	v_mov_b32_e32 v5, 10
	v_cmp_lt_i32_e32 vcc, v4, v6
	s_waitcnt vmcnt(0)
	v_bfi_b32 v4, s4, v29, v30
	v_cmp_gt_i16_sdwa s[78:79], v11, v5 src0_sel:BYTE_0 src1_sel:DWORD
	s_mov_b64 s[4:5], s[74:75]
	s_and_saveexec_b64 s[82:83], s[78:79]
	s_xor_b64 s[78:79], exec, s[82:83]
	s_cbranch_execnz .LBB94_7519
; %bb.4054:
	s_andn2_saveexec_b64 s[78:79], s[78:79]
	s_cbranch_execnz .LBB94_7602
.LBB94_4055:
	s_or_b64 exec, exec, s[78:79]
	s_mov_b64 vcc, 0
	s_and_saveexec_b64 s[78:79], s[6:7]
.LBB94_4056:
	s_mov_b64 vcc, exec
	v_add_u32_e32 v14, 0x200, v14
.LBB94_4057:
	s_or_b64 exec, exec, s[78:79]
	s_andn2_b64 s[6:7], s[74:75], exec
	s_and_b64 s[4:5], s[4:5], exec
	s_or_b64 s[4:5], s[6:7], s[4:5]
	v_writelane_b32 v43, s4, 18
	v_writelane_b32 v43, s5, 19
	s_orn2_b64 s[82:83], vcc, exec
.LBB94_4058:
	s_or_b64 exec, exec, s[80:81]
	s_mov_b64 s[4:5], 0
	s_mov_b64 s[6:7], 0
	s_mov_b64 vcc, 0
                                        ; implicit-def: $vgpr2
                                        ; implicit-def: $vgpr103
                                        ; implicit-def: $vgpr4_vgpr5
	s_mov_b64 s[76:77], exec
	v_writelane_b32 v43, s76, 20
	s_and_b64 s[78:79], s[76:77], s[82:83]
	v_writelane_b32 v43, s77, 21
	s_mov_b64 exec, s[78:79]
	s_cbranch_execz .LBB94_4940
; %bb.4059:
	v_readlane_b32 s4, v43, 18
	v_readlane_b32 s5, v43, 19
	v_cmp_lt_i32_e32 vcc, v14, v6
	s_mov_b64 s[80:81], -1
	v_writelane_b32 v43, s4, 23
	v_writelane_b32 v43, s5, 24
	s_and_saveexec_b64 s[84:85], vcc
	s_cbranch_execz .LBB94_4065
; %bb.4060:
	v_readlane_b32 s4, v44, 1
	v_add_u32_e32 v2, s4, v14
	v_mul_lo_u32 v2, v2, v12
	v_add_co_u32_e32 v2, vcc, v0, v2
	v_addc_co_u32_e32 v3, vcc, 0, v1, vcc
	v_add_u32_e32 v4, 0x2e00, v13
	s_brev_b32 s4, -2
	v_cmp_lt_i32_e32 vcc, v4, v6
	s_waitcnt vmcnt(0)
	v_bfi_b32 v4, s4, v27, v28
	v_mov_b32_e32 v5, 10
	v_readlane_b32 s4, v43, 18
	v_cmp_gt_i16_sdwa s[76:77], v11, v5 src0_sel:BYTE_0 src1_sel:DWORD
	v_readlane_b32 s5, v43, 19
	s_and_saveexec_b64 s[78:79], s[76:77]
	s_xor_b64 s[82:83], exec, s[78:79]
	s_cbranch_execnz .LBB94_7647
; %bb.4061:
	s_andn2_saveexec_b64 s[82:83], s[82:83]
	s_cbranch_execnz .LBB94_7730
.LBB94_4062:
	s_or_b64 exec, exec, s[82:83]
	s_mov_b64 vcc, 0
	s_and_saveexec_b64 s[78:79], s[6:7]
.LBB94_4063:
	s_mov_b64 vcc, exec
	v_add_u32_e32 v14, 0x200, v14
.LBB94_4064:
	s_or_b64 exec, exec, s[78:79]
	v_readlane_b32 s6, v43, 18
	v_readlane_b32 s7, v43, 19
	s_andn2_b64 s[6:7], s[6:7], exec
	s_and_b64 s[4:5], s[4:5], exec
	s_or_b64 s[4:5], s[6:7], s[4:5]
	v_writelane_b32 v43, s4, 23
	v_writelane_b32 v43, s5, 24
	s_orn2_b64 s[80:81], vcc, exec
.LBB94_4065:
	s_or_b64 exec, exec, s[84:85]
	s_mov_b64 s[4:5], 0
	s_mov_b64 s[6:7], 0
	s_mov_b64 vcc, 0
                                        ; implicit-def: $vgpr2
                                        ; implicit-def: $vgpr103
                                        ; implicit-def: $vgpr4_vgpr5
	s_mov_b64 s[76:77], exec
	v_writelane_b32 v43, s76, 25
	v_writelane_b32 v43, s77, 26
	s_and_b64 s[76:77], s[76:77], s[80:81]
	s_mov_b64 exec, s[76:77]
	s_cbranch_execz .LBB94_4939
; %bb.4066:
	v_readlane_b32 s86, v43, 23
	v_cmp_lt_i32_e32 vcc, v14, v6
	s_mov_b64 s[80:81], -1
	v_readlane_b32 s87, v43, 24
	s_and_saveexec_b64 s[88:89], vcc
	s_cbranch_execz .LBB94_4072
; %bb.4067:
	v_readlane_b32 s4, v44, 1
	v_add_u32_e32 v2, s4, v14
	v_mul_lo_u32 v2, v2, v12
	v_add_co_u32_e32 v2, vcc, v0, v2
	v_addc_co_u32_e32 v3, vcc, 0, v1, vcc
	v_or_b32_e32 v4, 0x3000, v13
	s_brev_b32 s4, -2
	v_cmp_lt_i32_e32 vcc, v4, v6
	s_waitcnt vmcnt(0)
	v_bfi_b32 v4, s4, v25, v26
	v_mov_b32_e32 v5, 10
	v_readlane_b32 s4, v43, 23
	v_cmp_gt_i16_sdwa s[76:77], v11, v5 src0_sel:BYTE_0 src1_sel:DWORD
	v_readlane_b32 s5, v43, 24
	s_and_saveexec_b64 s[78:79], s[76:77]
	s_xor_b64 s[86:87], exec, s[78:79]
	s_cbranch_execnz .LBB94_7775
; %bb.4068:
	s_andn2_saveexec_b64 s[86:87], s[86:87]
	s_cbranch_execnz .LBB94_7856
.LBB94_4069:
	s_or_b64 exec, exec, s[86:87]
	s_mov_b64 vcc, 0
	s_and_saveexec_b64 s[78:79], s[6:7]
.LBB94_4070:
	s_mov_b64 vcc, exec
	v_add_u32_e32 v14, 0x200, v14
.LBB94_4071:
	s_or_b64 exec, exec, s[78:79]
	v_readlane_b32 s6, v43, 23
	v_readlane_b32 s7, v43, 24
	s_andn2_b64 s[6:7], s[6:7], exec
	s_and_b64 s[4:5], s[4:5], exec
	s_or_b64 s[86:87], s[6:7], s[4:5]
	s_orn2_b64 s[80:81], vcc, exec
.LBB94_4072:
	s_or_b64 exec, exec, s[88:89]
	s_mov_b64 s[4:5], 0
	s_mov_b64 s[6:7], 0
	s_mov_b64 vcc, 0
                                        ; implicit-def: $vgpr2
                                        ; implicit-def: $vgpr103
                                        ; implicit-def: $vgpr4_vgpr5
	s_mov_b64 s[76:77], exec
	v_writelane_b32 v43, s76, 29
	v_writelane_b32 v43, s77, 30
	s_and_b64 s[76:77], s[76:77], s[80:81]
	s_mov_b64 exec, s[76:77]
	s_cbranch_execz .LBB94_4938
; %bb.4073:
	v_cmp_lt_i32_e32 vcc, v14, v6
	s_mov_b64 s[80:81], -1
	v_writelane_b32 v43, s86, 33
	v_writelane_b32 v43, s87, 34
	s_and_saveexec_b64 s[92:93], vcc
	s_cbranch_execz .LBB94_4203
; %bb.4074:
	v_readlane_b32 s4, v44, 1
	v_add_u32_e32 v2, s4, v14
	v_mul_lo_u32 v2, v2, v12
	v_add_co_u32_e32 v2, vcc, v0, v2
	v_addc_co_u32_e32 v3, vcc, 0, v1, vcc
	v_add_u32_e32 v4, 0x3200, v13
	s_brev_b32 s4, -2
	v_mov_b32_e32 v5, 10
	v_cmp_lt_i32_e32 vcc, v4, v6
	s_waitcnt vmcnt(0)
	v_bfi_b32 v4, s4, v23, v24
	v_cmp_gt_i16_sdwa s[76:77], v11, v5 src0_sel:BYTE_0 src1_sel:DWORD
	s_mov_b64 s[4:5], s[86:87]
	s_and_saveexec_b64 s[78:79], s[76:77]
	s_xor_b64 s[78:79], exec, s[78:79]
	v_writelane_b32 v43, s78, 37
	v_writelane_b32 v43, s79, 38
	s_cbranch_execz .LBB94_4158
; %bb.4075:
	v_mov_b32_e32 v5, 25
	v_cmp_gt_i16_sdwa s[4:5], v11, v5 src0_sel:BYTE_0 src1_sel:DWORD
	s_mov_b64 s[94:95], s[86:87]
	s_and_saveexec_b64 s[76:77], s[4:5]
	s_xor_b64 s[96:97], exec, s[76:77]
	s_cbranch_execz .LBB94_4111
; %bb.4076:
	v_mov_b32_e32 v5, 28
	v_cmp_gt_i16_sdwa s[4:5], v11, v5 src0_sel:BYTE_0 src1_sel:DWORD
	s_mov_b64 s[94:95], s[86:87]
	s_and_saveexec_b64 s[76:77], s[4:5]
	s_xor_b64 s[88:89], exec, s[76:77]
	s_cbranch_execz .LBB94_4094
; %bb.4077:
	v_mov_b32_e32 v5, 43
	v_cmp_gt_i16_sdwa s[76:77], v11, v5 src0_sel:BYTE_0 src1_sel:DWORD
	s_mov_b64 s[4:5], 0
	s_mov_b64 s[6:7], s[86:87]
	s_and_saveexec_b64 s[78:79], s[76:77]
	s_xor_b64 s[94:95], exec, s[78:79]
	s_cbranch_execz .LBB94_4089
; %bb.4078:
	v_mov_b32_e32 v5, 45
	v_cmp_gt_i16_sdwa s[6:7], v11, v5 src0_sel:BYTE_0 src1_sel:DWORD
	s_mov_b64 s[90:91], 0
	s_mov_b64 s[4:5], s[86:87]
	s_and_saveexec_b64 s[76:77], s[6:7]
	s_xor_b64 s[6:7], exec, s[76:77]
	s_cbranch_execz .LBB94_4082
; %bb.4079:
	v_mov_b32_e32 v5, 46
	v_cmp_eq_u16_sdwa s[76:77], v11, v5 src0_sel:BYTE_0 src1_sel:DWORD
	s_mov_b64 s[80:81], 0
	s_mov_b64 s[4:5], -1
	s_and_saveexec_b64 s[82:83], s[76:77]
	s_cbranch_execz .LBB94_4081
; %bb.4080:
	v_bfe_u32 v5, v4, 16, 1
	s_movk_i32 s4, 0x7fff
	v_add3_u32 v5, v4, v5, s4
	v_lshrrev_b32_e32 v5, 16, v5
	v_mov_b32_e32 v23, 0x7fc0
	v_cmp_o_f32_e64 s[4:5], v4, v4
	v_cndmask_b32_e64 v4, v23, v5, s[4:5]
	s_mov_b64 s[80:81], exec
	flat_store_dword v[2:3], v4
	s_xor_b64 s[4:5], exec, -1
.LBB94_4081:
	s_or_b64 exec, exec, s[82:83]
	s_andn2_b64 s[76:77], s[86:87], exec
	s_and_b64 s[4:5], s[4:5], exec
	s_or_b64 s[4:5], s[76:77], s[4:5]
	s_and_b64 s[90:91], s[80:81], exec
                                        ; implicit-def: $vgpr2_vgpr3
                                        ; implicit-def: $vgpr4
.LBB94_4082:
	s_andn2_saveexec_b64 s[84:85], s[6:7]
	s_cbranch_execz .LBB94_4088
; %bb.4083:
	v_mov_b32_e32 v5, 44
	v_cmp_eq_u16_sdwa s[76:77], v11, v5 src0_sel:BYTE_0 src1_sel:DWORD
	s_mov_b64 s[82:83], -1
	s_mov_b64 s[6:7], s[90:91]
	s_and_saveexec_b64 s[80:81], s[76:77]
	s_cbranch_execz .LBB94_4087
; %bb.4084:
	v_bfe_u32 v5, v4, 23, 8
	s_movk_i32 s6, 0xff
	v_cmp_ne_u32_e64 s[6:7], s6, v5
	v_mov_b32_e32 v23, 0xff
	s_and_saveexec_b64 s[82:83], s[6:7]
; %bb.4085:
	s_mov_b32 s6, 0x3fffff
	v_lshrrev_b32_e32 v23, 23, v4
	v_and_b32_e32 v24, 0x400000, v4
	v_and_or_b32 v4, v4, s6, v5
	v_cmp_ne_u32_e64 s[76:77], 0, v24
	v_cmp_ne_u32_e64 s[6:7], 0, v4
	s_and_b64 s[6:7], s[76:77], s[6:7]
	v_cndmask_b32_e64 v4, 0, 1, s[6:7]
	v_add_u32_e32 v23, v23, v4
; %bb.4086:
	s_or_b64 exec, exec, s[82:83]
	s_xor_b64 s[82:83], exec, -1
	s_or_b64 s[6:7], s[90:91], exec
	flat_store_byte v[2:3], v23
.LBB94_4087:
	s_or_b64 exec, exec, s[80:81]
	s_andn2_b64 s[4:5], s[4:5], exec
	s_and_b64 s[76:77], s[82:83], exec
	s_or_b64 s[4:5], s[4:5], s[76:77]
	s_andn2_b64 s[76:77], s[90:91], exec
	s_and_b64 s[6:7], s[6:7], exec
	s_or_b64 s[90:91], s[76:77], s[6:7]
.LBB94_4088:
	s_or_b64 exec, exec, s[84:85]
	s_andn2_b64 s[6:7], s[86:87], exec
	s_and_b64 s[4:5], s[4:5], exec
	s_or_b64 s[6:7], s[6:7], s[4:5]
	s_and_b64 s[4:5], s[90:91], exec
                                        ; implicit-def: $vgpr4
                                        ; implicit-def: $vgpr2_vgpr3
.LBB94_4089:
	s_andn2_saveexec_b64 s[84:85], s[94:95]
	s_cbranch_execz .LBB94_4093
; %bb.4090:
	v_mov_b32_e32 v5, 29
	v_cmp_eq_u16_sdwa s[76:77], v11, v5 src0_sel:BYTE_0 src1_sel:DWORD
	s_mov_b64 s[90:91], -1
	s_mov_b64 s[82:83], s[4:5]
	s_and_saveexec_b64 s[80:81], s[76:77]
	s_cbranch_execz .LBB94_4092
; %bb.4091:
	v_trunc_f32_e32 v4, v4
	v_mul_f32_e32 v5, 0x2f800000, v4
	v_floor_f32_e32 v23, v5
	v_fmac_f32_e32 v4, 0xcf800000, v23
	v_cvt_u32_f32_e32 v5, v23
	v_cvt_u32_f32_e32 v4, v4
	s_xor_b64 s[90:91], exec, -1
	s_or_b64 s[82:83], s[4:5], exec
	flat_store_dwordx2 v[2:3], v[4:5]
.LBB94_4092:
	s_or_b64 exec, exec, s[80:81]
	s_andn2_b64 s[6:7], s[6:7], exec
	s_and_b64 s[76:77], s[90:91], exec
	s_or_b64 s[6:7], s[6:7], s[76:77]
	s_andn2_b64 s[4:5], s[4:5], exec
	s_and_b64 s[76:77], s[82:83], exec
	s_or_b64 s[4:5], s[4:5], s[76:77]
.LBB94_4093:
	s_or_b64 exec, exec, s[84:85]
	s_andn2_b64 s[76:77], s[86:87], exec
	s_and_b64 s[6:7], s[6:7], exec
	s_or_b64 s[94:95], s[76:77], s[6:7]
	s_and_b64 s[6:7], s[4:5], exec
                                        ; implicit-def: $vgpr2_vgpr3
                                        ; implicit-def: $vgpr23
                                        ; implicit-def: $vgpr4
.LBB94_4094:
	s_andn2_saveexec_b64 s[88:89], s[88:89]
	s_cbranch_execz .LBB94_4110
; %bb.4095:
	v_mov_b32_e32 v5, 26
	v_cmp_gt_i16_sdwa s[4:5], v11, v5 src0_sel:BYTE_0 src1_sel:DWORD
	s_and_saveexec_b64 s[76:77], s[4:5]
	s_xor_b64 s[4:5], exec, s[76:77]
	s_cbranch_execz .LBB94_4101
; %bb.4096:
	v_cvt_u32_f32_e32 v4, v4
	v_mov_b32_e32 v5, 27
	v_cmp_gt_i16_sdwa s[76:77], v11, v5 src0_sel:BYTE_0 src1_sel:DWORD
	s_and_saveexec_b64 s[78:79], s[76:77]
	s_xor_b64 s[78:79], exec, s[78:79]
	s_cbranch_execz .LBB94_4098
; %bb.4097:
	flat_store_dword v[2:3], v4
                                        ; implicit-def: $vgpr2_vgpr3
                                        ; implicit-def: $vgpr4
.LBB94_4098:
	s_andn2_saveexec_b64 s[78:79], s[78:79]
	s_cbranch_execz .LBB94_4100
; %bb.4099:
	flat_store_short v[2:3], v4
.LBB94_4100:
	s_or_b64 exec, exec, s[78:79]
                                        ; implicit-def: $vgpr2_vgpr3
                                        ; implicit-def: $vgpr23
                                        ; implicit-def: $vgpr4
.LBB94_4101:
	s_andn2_saveexec_b64 s[90:91], s[4:5]
	s_cbranch_execz .LBB94_4109
; %bb.4102:
	v_cndmask_b32_e64 v23, |v0|, |v23|, vcc
	s_mov_b32 s4, 0x43800000
	v_cmp_gt_u32_e64 s[4:5], s4, v23
	v_mov_b32_e32 v24, 0x80
	s_and_saveexec_b64 s[84:85], s[4:5]
	s_cbranch_execz .LBB94_4108
; %bb.4103:
	s_mov_b32 s4, 0x3bffffff
	v_cmp_lt_u32_e64 s[4:5], s4, v23
	s_mov_b64 s[82:83], 0
                                        ; implicit-def: $vgpr5
	s_and_saveexec_b64 s[76:77], s[4:5]
	s_xor_b64 s[4:5], exec, s[76:77]
	s_cbranch_execnz .LBB94_7917
; %bb.4104:
	s_or_saveexec_b64 s[80:81], s[4:5]
                                        ; implicit-def: $sgpr78
	s_xor_b64 exec, exec, s[80:81]
	s_cbranch_execnz .LBB94_7918
.LBB94_4105:
	s_or_b64 exec, exec, s[80:81]
	v_mov_b32_e32 v24, s78
	s_and_saveexec_b64 s[4:5], s[82:83]
.LBB94_4106:
	v_lshrrev_b32_e32 v4, 24, v4
	s_movk_i32 s76, 0x80
	v_and_or_b32 v24, v4, s76, v5
.LBB94_4107:
	s_or_b64 exec, exec, s[4:5]
.LBB94_4108:
	s_or_b64 exec, exec, s[84:85]
	flat_store_byte v[2:3], v24
.LBB94_4109:
	s_or_b64 exec, exec, s[90:91]
	s_or_b64 s[6:7], s[6:7], exec
.LBB94_4110:
	s_or_b64 exec, exec, s[88:89]
	s_andn2_b64 s[4:5], s[86:87], exec
	s_and_b64 s[76:77], s[94:95], exec
	s_or_b64 s[94:95], s[4:5], s[76:77]
	s_and_b64 s[6:7], s[6:7], exec
                                        ; implicit-def: $vgpr4
                                        ; implicit-def: $vgpr2_vgpr3
                                        ; implicit-def: $vgpr23
.LBB94_4111:
	s_andn2_saveexec_b64 s[96:97], s[96:97]
	s_cbranch_execz .LBB94_4157
; %bb.4112:
	v_mov_b32_e32 v5, 22
	v_cmp_gt_i16_sdwa s[76:77], v11, v5 src0_sel:BYTE_0 src1_sel:DWORD
	s_mov_b64 s[4:5], s[6:7]
	s_and_saveexec_b64 s[78:79], s[76:77]
	s_xor_b64 s[88:89], exec, s[78:79]
	s_cbranch_execz .LBB94_4146
; %bb.4113:
	v_mov_b32_e32 v5, 23
	v_cmp_gt_i16_sdwa s[4:5], v11, v5 src0_sel:BYTE_0 src1_sel:DWORD
	s_and_saveexec_b64 s[76:77], s[4:5]
	s_xor_b64 s[82:83], exec, s[76:77]
	s_cbranch_execz .LBB94_4135
; %bb.4114:
	v_mov_b32_e32 v5, 24
	v_cmp_gt_i16_sdwa s[4:5], v11, v5 src0_sel:BYTE_0 src1_sel:DWORD
	s_and_saveexec_b64 s[76:77], s[4:5]
	s_xor_b64 s[90:91], exec, s[76:77]
	s_cbranch_execz .LBB94_4124
; %bb.4115:
	v_cndmask_b32_e64 v23, |v0|, |v23|, vcc
	s_mov_b32 s4, 0x47800000
	v_cmp_gt_u32_e64 s[4:5], s4, v23
	v_mov_b32_e32 v24, 0x80
	s_and_saveexec_b64 s[84:85], s[4:5]
	s_cbranch_execz .LBB94_4123
; %bb.4116:
	s_mov_b32 s4, 0x37ffffff
	s_mov_b64 s[76:77], 0
	v_cmp_lt_u32_e64 s[4:5], s4, v23
	v_writelane_b32 v43, s76, 39
	v_writelane_b32 v43, s77, 40
                                        ; implicit-def: $vgpr5
	s_and_saveexec_b64 s[76:77], s[4:5]
	s_xor_b64 s[4:5], exec, s[76:77]
	s_cbranch_execz .LBB94_4118
; %bb.4117:
	s_mov_b64 s[76:77], exec
	v_writelane_b32 v43, s76, 39
	v_writelane_b32 v43, s77, 40
	v_bfe_u32 v5, v4, 21, 1
	s_mov_b32 s76, 0x88fffff
	v_add3_u32 v5, v4, v5, s76
	v_lshrrev_b32_e32 v5, 21, v5
                                        ; implicit-def: $vgpr23
.LBB94_4118:
	s_or_saveexec_b64 s[80:81], s[4:5]
                                        ; implicit-def: $sgpr78
	s_xor_b64 exec, exec, s[80:81]
	s_cbranch_execz .LBB94_4120
; %bb.4119:
	v_add_f32_e32 v5, 0x42800000, v23
	v_and_b32_e32 v5, 0xff, v5
	v_readlane_b32 s76, v43, 39
	v_cmp_ne_u32_e64 s[4:5], 0, v5
	v_readlane_b32 s77, v43, 40
	s_andn2_b64 s[76:77], s[76:77], exec
	s_and_b64 s[4:5], s[4:5], exec
	s_or_b64 s[4:5], s[76:77], s[4:5]
	s_mov_b32 s78, 0
	v_writelane_b32 v43, s4, 39
	v_writelane_b32 v43, s5, 40
.LBB94_4120:
	s_or_b64 exec, exec, s[80:81]
	v_mov_b32_e32 v24, s78
	s_mov_b64 s[4:5], exec
	v_readlane_b32 s76, v43, 39
	v_readlane_b32 s77, v43, 40
	s_and_b64 s[76:77], s[4:5], s[76:77]
	s_mov_b64 exec, s[76:77]
; %bb.4121:
	v_lshrrev_b32_e32 v4, 24, v4
	s_movk_i32 s76, 0x80
	v_and_or_b32 v24, v4, s76, v5
; %bb.4122:
	s_or_b64 exec, exec, s[4:5]
.LBB94_4123:
	s_or_b64 exec, exec, s[84:85]
	flat_store_byte v[2:3], v24
                                        ; implicit-def: $vgpr4
                                        ; implicit-def: $vgpr2_vgpr3
                                        ; implicit-def: $vgpr23
.LBB94_4124:
	s_andn2_saveexec_b64 s[90:91], s[90:91]
	s_cbranch_execz .LBB94_4134
; %bb.4125:
	v_cndmask_b32_e64 v23, |v0|, |v23|, vcc
	s_mov_b32 s4, 0x43f00000
	v_cmp_gt_u32_e64 s[4:5], s4, v23
                                        ; implicit-def: $vgpr5
	s_and_saveexec_b64 s[76:77], s[4:5]
	s_xor_b64 s[84:85], exec, s[76:77]
	s_cbranch_execz .LBB94_4131
; %bb.4126:
	s_mov_b32 s4, 0x3c7fffff
	v_cmp_lt_u32_e64 s[4:5], s4, v23
                                        ; implicit-def: $vgpr5
	s_and_saveexec_b64 s[76:77], s[4:5]
	s_xor_b64 s[80:81], exec, s[76:77]
; %bb.4127:
	v_bfe_u32 v5, v4, 20, 1
	s_mov_b32 s4, 0x407ffff
	v_add3_u32 v5, v4, v5, s4
	v_lshrrev_b32_e32 v23, 20, v5
	v_and_b32_e32 v5, 0xff00000, v5
	s_mov_b32 s4, 0x7f00000
	v_mov_b32_e32 v24, 0x7e
	v_cmp_ne_u32_e64 s[4:5], s4, v5
	v_cndmask_b32_e64 v5, v24, v23, s[4:5]
                                        ; implicit-def: $vgpr23
; %bb.4128:
	s_andn2_saveexec_b64 s[4:5], s[80:81]
; %bb.4129:
	v_add_f32_e32 v5, 0x46800000, v23
; %bb.4130:
	s_or_b64 exec, exec, s[4:5]
                                        ; implicit-def: $vgpr23
.LBB94_4131:
	s_andn2_saveexec_b64 s[80:81], s[84:85]
; %bb.4132:
	s_mov_b32 s4, 0x7f800000
	v_mov_b32_e32 v5, 0x7e
	v_mov_b32_e32 v24, 0x7f
	v_cmp_lt_u32_e64 s[4:5], s4, v23
	v_cndmask_b32_e64 v5, v5, v24, s[4:5]
; %bb.4133:
	s_or_b64 exec, exec, s[80:81]
	v_lshrrev_b32_e32 v4, 24, v4
	s_movk_i32 s4, 0x80
	v_and_or_b32 v4, v4, s4, v5
	flat_store_byte v[2:3], v4
.LBB94_4134:
	s_or_b64 exec, exec, s[90:91]
                                        ; implicit-def: $vgpr4
                                        ; implicit-def: $vgpr2_vgpr3
                                        ; implicit-def: $vgpr23
.LBB94_4135:
	s_andn2_saveexec_b64 s[4:5], s[82:83]
	s_cbranch_execz .LBB94_4145
; %bb.4136:
	v_cndmask_b32_e64 v23, |v0|, |v23|, vcc
	s_mov_b32 vcc_lo, 0x47800000
	v_cmp_gt_u32_e32 vcc, vcc_lo, v23
                                        ; implicit-def: $vgpr5
	s_and_saveexec_b64 s[76:77], vcc
	s_xor_b64 s[82:83], exec, s[76:77]
	s_cbranch_execz .LBB94_4142
; %bb.4137:
	s_mov_b32 vcc_lo, 0x387fffff
	v_cmp_lt_u32_e32 vcc, vcc_lo, v23
                                        ; implicit-def: $vgpr5
	s_and_saveexec_b64 s[76:77], vcc
	s_xor_b64 vcc, exec, s[76:77]
; %bb.4138:
	v_bfe_u32 v5, v4, 21, 1
	s_mov_b32 s76, 0x80fffff
	v_add3_u32 v5, v4, v5, s76
	v_lshrrev_b32_e32 v5, 21, v5
                                        ; implicit-def: $vgpr23
; %bb.4139:
	s_andn2_saveexec_b64 vcc, vcc
; %bb.4140:
	v_add_f32_e32 v5, 0x43000000, v23
; %bb.4141:
	s_or_b64 exec, exec, vcc
                                        ; implicit-def: $vgpr23
.LBB94_4142:
	s_andn2_saveexec_b64 s[80:81], s[82:83]
; %bb.4143:
	s_mov_b32 vcc_lo, 0x7f800000
	v_mov_b32_e32 v5, 0x7c
	v_mov_b32_e32 v24, 0x7f
	v_cmp_lt_u32_e32 vcc, vcc_lo, v23
	v_cndmask_b32_e32 v5, v5, v24, vcc
; %bb.4144:
	s_or_b64 exec, exec, s[80:81]
	v_lshrrev_b32_e32 v4, 24, v4
	s_movk_i32 vcc_lo, 0x80
	v_and_or_b32 v4, v4, vcc_lo, v5
	flat_store_byte v[2:3], v4
.LBB94_4145:
	s_or_b64 exec, exec, s[4:5]
	s_or_b64 s[4:5], s[6:7], exec
                                        ; implicit-def: $vgpr4
                                        ; implicit-def: $vgpr2_vgpr3
.LBB94_4146:
	s_or_saveexec_b64 s[88:89], s[88:89]
	s_mov_b64 vcc, s[94:95]
	s_xor_b64 exec, exec, s[88:89]
	s_cbranch_execz .LBB94_4156
; %bb.4147:
	v_mov_b32_e32 v5, 14
	v_cmp_gt_i16_sdwa vcc, v11, v5 src0_sel:BYTE_0 src1_sel:DWORD
	s_mov_b64 s[84:85], s[4:5]
	s_mov_b64 s[90:91], s[94:95]
	s_and_saveexec_b64 s[76:77], vcc
	s_xor_b64 s[82:83], exec, s[76:77]
	s_cbranch_execz .LBB94_4151
; %bb.4148:
	v_mov_b32_e32 v5, 15
	v_cmp_eq_u16_sdwa s[76:77], v11, v5 src0_sel:BYTE_0 src1_sel:DWORD
	s_mov_b64 s[84:85], -1
	s_mov_b64 vcc, s[4:5]
	s_and_saveexec_b64 s[80:81], s[76:77]
	s_cbranch_execz .LBB94_4150
; %bb.4149:
	v_bfe_u32 v5, v4, 16, 1
	s_movk_i32 vcc_lo, 0x7fff
	v_add3_u32 v5, v4, v5, vcc_lo
	v_lshrrev_b32_e32 v5, 16, v5
	v_mov_b32_e32 v23, 0x7fc0
	v_cmp_o_f32_e32 vcc, v4, v4
	v_cndmask_b32_e32 v4, v23, v5, vcc
	flat_store_short v[2:3], v4
	s_xor_b64 s[84:85], exec, -1
	s_or_b64 vcc, s[4:5], exec
.LBB94_4150:
	s_or_b64 exec, exec, s[80:81]
	s_andn2_b64 s[76:77], s[94:95], exec
	s_and_b64 s[78:79], s[84:85], exec
	s_or_b64 s[90:91], s[76:77], s[78:79]
	s_andn2_b64 s[76:77], s[4:5], exec
	s_and_b64 vcc, vcc, exec
	s_or_b64 s[84:85], s[76:77], vcc
                                        ; implicit-def: $vgpr4
                                        ; implicit-def: $vgpr2_vgpr3
.LBB94_4151:
	s_andn2_saveexec_b64 s[82:83], s[82:83]
	s_cbranch_execz .LBB94_4155
; %bb.4152:
	v_mov_b32_e32 v5, 11
	v_cmp_eq_u16_sdwa s[76:77], v11, v5 src0_sel:BYTE_0 src1_sel:DWORD
	s_mov_b64 s[80:81], -1
	s_mov_b64 vcc, s[84:85]
	s_and_saveexec_b64 s[78:79], s[76:77]
	s_cbranch_execz .LBB94_4154
; %bb.4153:
	v_cmp_neq_f32_e32 vcc, 0, v4
	v_cndmask_b32_e64 v4, 0, 1, vcc
	flat_store_byte v[2:3], v4
	s_xor_b64 s[80:81], exec, -1
	s_or_b64 vcc, s[84:85], exec
.LBB94_4154:
	s_or_b64 exec, exec, s[78:79]
	s_andn2_b64 s[76:77], s[90:91], exec
	s_and_b64 s[78:79], s[80:81], exec
	s_or_b64 s[90:91], s[76:77], s[78:79]
	s_andn2_b64 s[76:77], s[84:85], exec
	s_and_b64 vcc, vcc, exec
	s_or_b64 s[84:85], s[76:77], vcc
.LBB94_4155:
	s_or_b64 exec, exec, s[82:83]
	s_andn2_b64 vcc, s[94:95], exec
	s_and_b64 s[76:77], s[90:91], exec
	s_or_b64 vcc, vcc, s[76:77]
	s_andn2_b64 s[4:5], s[4:5], exec
	s_and_b64 s[76:77], s[84:85], exec
	s_or_b64 s[4:5], s[4:5], s[76:77]
.LBB94_4156:
	s_or_b64 exec, exec, s[88:89]
	s_andn2_b64 s[76:77], s[94:95], exec
	s_and_b64 vcc, vcc, exec
	s_andn2_b64 s[6:7], s[6:7], exec
	s_and_b64 s[4:5], s[4:5], exec
	s_or_b64 s[94:95], s[76:77], vcc
	s_or_b64 s[6:7], s[6:7], s[4:5]
.LBB94_4157:
	s_or_b64 exec, exec, s[96:97]
	s_andn2_b64 s[4:5], s[86:87], exec
	s_and_b64 vcc, s[94:95], exec
	s_or_b64 s[4:5], s[4:5], vcc
	s_and_b64 s[6:7], s[6:7], exec
                                        ; implicit-def: $vgpr4
                                        ; implicit-def: $vgpr2_vgpr3
.LBB94_4158:
	v_readlane_b32 vcc_lo, v43, 37
	v_readlane_b32 vcc_hi, v43, 38
	s_andn2_saveexec_b64 s[90:91], vcc
	s_cbranch_execz .LBB94_4200
; %bb.4159:
	v_mov_b32_e32 v5, 4
	v_cmp_gt_i16_sdwa vcc, v11, v5 src0_sel:BYTE_0 src1_sel:DWORD
	s_and_saveexec_b64 s[76:77], vcc
	s_xor_b64 vcc, exec, s[76:77]
	s_cbranch_execz .LBB94_4181
; %bb.4160:
	v_mov_b32_e32 v5, 7
	v_cmp_gt_i16_sdwa s[76:77], v11, v5 src0_sel:BYTE_0 src1_sel:DWORD
	s_and_saveexec_b64 s[78:79], s[76:77]
	s_xor_b64 s[84:85], exec, s[78:79]
	s_cbranch_execz .LBB94_4170
; %bb.4161:
	v_mov_b32_e32 v5, 8
	v_cmp_gt_i16_sdwa s[76:77], v11, v5 src0_sel:BYTE_0 src1_sel:DWORD
	s_and_saveexec_b64 s[78:79], s[76:77]
	s_xor_b64 s[88:89], exec, s[78:79]
	s_cbranch_execz .LBB94_4167
; %bb.4162:
	v_mov_b32_e32 v5, 9
	v_cmp_gt_i16_sdwa s[76:77], v11, v5 src0_sel:BYTE_0 src1_sel:DWORD
	s_and_saveexec_b64 s[78:79], s[76:77]
	s_xor_b64 s[80:81], exec, s[78:79]
	s_cbranch_execz .LBB94_4164
; %bb.4163:
	v_mov_b32_e32 v26, 0
	v_cvt_f64_f32_e32 v[24:25], v4
	v_mov_b32_e32 v27, v26
	flat_store_dwordx4 v[2:3], v[24:27]
                                        ; implicit-def: $vgpr4
                                        ; implicit-def: $vgpr2_vgpr3
.LBB94_4164:
	s_andn2_saveexec_b64 s[78:79], s[80:81]
	s_cbranch_execz .LBB94_4166
; %bb.4165:
	v_mov_b32_e32 v5, 0
	flat_store_dwordx2 v[2:3], v[4:5]
.LBB94_4166:
	s_or_b64 exec, exec, s[78:79]
                                        ; implicit-def: $vgpr4
                                        ; implicit-def: $vgpr2_vgpr3
.LBB94_4167:
	s_andn2_saveexec_b64 s[78:79], s[88:89]
	s_cbranch_execz .LBB94_4169
; %bb.4168:
	v_cvt_f16_f32_e32 v4, v4
	flat_store_dword v[2:3], v4
.LBB94_4169:
	s_or_b64 exec, exec, s[78:79]
                                        ; implicit-def: $vgpr4
                                        ; implicit-def: $vgpr2_vgpr3
.LBB94_4170:
	s_andn2_saveexec_b64 s[84:85], s[84:85]
	s_cbranch_execz .LBB94_4180
; %bb.4171:
	v_mov_b32_e32 v5, 5
	v_cmp_gt_i16_sdwa s[76:77], v11, v5 src0_sel:BYTE_0 src1_sel:DWORD
	s_and_saveexec_b64 s[78:79], s[76:77]
	s_xor_b64 s[80:81], exec, s[78:79]
	s_cbranch_execz .LBB94_4177
; %bb.4172:
	v_mov_b32_e32 v5, 6
	v_cmp_gt_i16_sdwa s[76:77], v11, v5 src0_sel:BYTE_0 src1_sel:DWORD
	s_and_saveexec_b64 s[78:79], s[76:77]
	s_xor_b64 s[78:79], exec, s[78:79]
	s_cbranch_execz .LBB94_4174
; %bb.4173:
	v_cvt_f64_f32_e32 v[4:5], v4
	flat_store_dwordx2 v[2:3], v[4:5]
                                        ; implicit-def: $vgpr2_vgpr3
                                        ; implicit-def: $vgpr4
.LBB94_4174:
	s_andn2_saveexec_b64 s[78:79], s[78:79]
	s_cbranch_execz .LBB94_4176
; %bb.4175:
	flat_store_dword v[2:3], v4
.LBB94_4176:
	s_or_b64 exec, exec, s[78:79]
                                        ; implicit-def: $vgpr4
                                        ; implicit-def: $vgpr2_vgpr3
.LBB94_4177:
	s_andn2_saveexec_b64 s[78:79], s[80:81]
	s_cbranch_execz .LBB94_4179
; %bb.4178:
	v_cvt_f16_f32_e32 v4, v4
	flat_store_short v[2:3], v4
.LBB94_4179:
	s_or_b64 exec, exec, s[78:79]
.LBB94_4180:
	s_or_b64 exec, exec, s[84:85]
                                        ; implicit-def: $vgpr4
                                        ; implicit-def: $vgpr2_vgpr3
.LBB94_4181:
	s_andn2_saveexec_b64 s[88:89], vcc
	s_cbranch_execz .LBB94_4199
; %bb.4182:
	v_mov_b32_e32 v5, 1
	v_cmp_gt_i16_sdwa vcc, v11, v5 src0_sel:BYTE_0 src1_sel:DWORD
	s_and_saveexec_b64 s[76:77], vcc
	s_xor_b64 s[94:95], exec, s[76:77]
	s_cbranch_execz .LBB94_4192
; %bb.4183:
	v_mov_b32_e32 v5, 2
	v_cmp_gt_i16_sdwa vcc, v11, v5 src0_sel:BYTE_0 src1_sel:DWORD
	s_and_saveexec_b64 s[76:77], vcc
	s_xor_b64 s[84:85], exec, s[76:77]
	s_cbranch_execz .LBB94_4189
; %bb.4184:
	v_mov_b32_e32 v5, 3
	v_cmp_gt_i16_sdwa vcc, v11, v5 src0_sel:BYTE_0 src1_sel:DWORD
	s_and_saveexec_b64 s[76:77], vcc
	s_xor_b64 s[80:81], exec, s[76:77]
	s_cbranch_execz .LBB94_4186
; %bb.4185:
	v_trunc_f32_e32 v4, v4
	s_mov_b32 s76, 0x2f800000
	v_mul_f32_e64 v5, |v4|, s76
	v_floor_f32_e32 v5, v5
	s_mov_b32 s76, 0xcf800000
	v_cvt_u32_f32_e32 v23, v5
	v_fma_f32 v5, v5, s76, |v4|
	v_cvt_u32_f32_e32 v5, v5
	v_ashrrev_i32_e32 v24, 31, v4
	v_xor_b32_e32 v23, v23, v24
	v_xor_b32_e32 v4, v5, v24
	v_sub_co_u32_e32 v4, vcc, v4, v24
	v_subb_co_u32_e32 v5, vcc, v23, v24, vcc
	flat_store_dwordx2 v[2:3], v[4:5]
                                        ; implicit-def: $vgpr4
                                        ; implicit-def: $vgpr2_vgpr3
.LBB94_4186:
	s_andn2_saveexec_b64 vcc, s[80:81]
	s_cbranch_execz .LBB94_4188
; %bb.4187:
	v_cvt_i32_f32_e32 v4, v4
	flat_store_dword v[2:3], v4
.LBB94_4188:
	s_or_b64 exec, exec, vcc
                                        ; implicit-def: $vgpr4
                                        ; implicit-def: $vgpr2_vgpr3
.LBB94_4189:
	s_andn2_saveexec_b64 vcc, s[84:85]
	s_cbranch_execz .LBB94_4191
; %bb.4190:
	v_cvt_i32_f32_e32 v4, v4
	flat_store_short v[2:3], v4
.LBB94_4191:
	s_or_b64 exec, exec, vcc
                                        ; implicit-def: $vgpr4
                                        ; implicit-def: $vgpr2_vgpr3
.LBB94_4192:
	s_andn2_saveexec_b64 vcc, s[94:95]
	s_cbranch_execz .LBB94_4198
; %bb.4193:
	v_mov_b32_e32 v5, 0
	v_cmp_gt_i16_sdwa s[76:77], v11, v5 src0_sel:BYTE_0 src1_sel:DWORD
	s_and_saveexec_b64 s[78:79], s[76:77]
	s_xor_b64 s[78:79], exec, s[78:79]
	s_cbranch_execz .LBB94_4195
; %bb.4194:
	v_cvt_i32_f32_e32 v4, v4
	flat_store_byte v[2:3], v4
                                        ; implicit-def: $vgpr4
                                        ; implicit-def: $vgpr2_vgpr3
.LBB94_4195:
	s_andn2_saveexec_b64 s[80:81], s[78:79]
	s_cbranch_execz .LBB94_4197
; %bb.4196:
	v_trunc_f32_e32 v4, v4
	s_mov_b32 s76, 0x2f800000
	v_mul_f32_e64 v5, |v4|, s76
	v_floor_f32_e32 v5, v5
	s_mov_b32 s76, 0xcf800000
	v_fma_f32 v5, v5, s76, |v4|
	v_cvt_u32_f32_e32 v5, v5
	v_ashrrev_i32_e32 v4, 31, v4
	v_xor_b32_e32 v5, v5, v4
	v_sub_u32_e32 v4, v5, v4
	flat_store_byte v[2:3], v4
.LBB94_4197:
	s_or_b64 exec, exec, s[80:81]
.LBB94_4198:
	s_or_b64 exec, exec, vcc
.LBB94_4199:
	s_or_b64 exec, exec, s[88:89]
	s_or_b64 s[6:7], s[6:7], exec
.LBB94_4200:
	s_or_b64 exec, exec, s[90:91]
	s_mov_b64 vcc, 0
	s_and_saveexec_b64 s[78:79], s[6:7]
; %bb.4201:
	s_mov_b64 vcc, exec
	v_add_u32_e32 v14, 0x200, v14
; %bb.4202:
	s_or_b64 exec, exec, s[78:79]
	s_andn2_b64 s[6:7], s[86:87], exec
	s_and_b64 s[4:5], s[4:5], exec
	s_or_b64 s[4:5], s[6:7], s[4:5]
	v_writelane_b32 v43, s4, 33
	v_writelane_b32 v43, s5, 34
	s_orn2_b64 s[80:81], vcc, exec
.LBB94_4203:
	s_or_b64 exec, exec, s[92:93]
	s_mov_b64 s[4:5], 0
	s_mov_b64 s[6:7], 0
	s_mov_b64 vcc, 0
                                        ; implicit-def: $vgpr2
                                        ; implicit-def: $vgpr103
                                        ; implicit-def: $vgpr4_vgpr5
	s_mov_b64 s[76:77], exec
	v_writelane_b32 v43, s76, 35
	v_writelane_b32 v43, s77, 36
	s_and_b64 s[76:77], s[76:77], s[80:81]
	s_mov_b64 exec, s[76:77]
	s_cbranch_execz .LBB94_4937
; %bb.4204:
	v_readlane_b32 s94, v43, 33
	v_cmp_lt_i32_e32 vcc, v14, v6
	s_mov_b64 s[80:81], -1
	v_readlane_b32 s95, v43, 34
	s_and_saveexec_b64 s[96:97], vcc
	s_cbranch_execz .LBB94_4332
; %bb.4205:
	v_readlane_b32 s4, v44, 1
	v_or_b32_e32 v4, 0x3400, v13
	v_add_u32_e32 v2, s4, v14
	v_cmp_lt_i32_e64 s[4:5], v4, v6
	v_mul_lo_u32 v2, v2, v12
	v_writelane_b32 v43, s4, 43
	v_add_co_u32_e32 v2, vcc, v0, v2
	v_writelane_b32 v43, s5, 44
	s_brev_b32 s4, -2
	v_addc_co_u32_e32 v3, vcc, 0, v1, vcc
	s_waitcnt vmcnt(0)
	v_bfi_b32 v4, s4, v21, v22
	v_mov_b32_e32 v5, 10
	v_readlane_b32 s4, v43, 33
	v_cmp_gt_i16_sdwa vcc, v11, v5 src0_sel:BYTE_0 src1_sel:DWORD
	v_readlane_b32 s5, v43, 34
	s_and_saveexec_b64 s[76:77], vcc
	s_xor_b64 s[76:77], exec, s[76:77]
	v_writelane_b32 v43, s76, 45
	v_writelane_b32 v43, s77, 46
	s_cbranch_execz .LBB94_4287
; %bb.4206:
	v_mov_b32_e32 v5, 25
	v_readlane_b32 s94, v43, 33
	v_cmp_gt_i16_sdwa s[4:5], v11, v5 src0_sel:BYTE_0 src1_sel:DWORD
	v_readlane_b32 s95, v43, 34
	s_and_saveexec_b64 vcc, s[4:5]
	s_xor_b64 vcc, exec, vcc
	v_writelane_b32 v43, vcc_lo, 47
	v_writelane_b32 v43, vcc_hi, 48
	s_cbranch_execz .LBB94_4242
; %bb.4207:
	v_mov_b32_e32 v5, 28
	v_readlane_b32 s90, v43, 33
	v_cmp_gt_i16_sdwa s[4:5], v11, v5 src0_sel:BYTE_0 src1_sel:DWORD
	v_readlane_b32 s91, v43, 34
	s_and_saveexec_b64 vcc, s[4:5]
	s_xor_b64 s[88:89], exec, vcc
	s_cbranch_execz .LBB94_4225
; %bb.4208:
	v_mov_b32_e32 v5, 43
	v_readlane_b32 s6, v43, 33
	v_cmp_gt_i16_sdwa vcc, v11, v5 src0_sel:BYTE_0 src1_sel:DWORD
	s_mov_b64 s[4:5], 0
	v_readlane_b32 s7, v43, 34
	s_and_saveexec_b64 s[76:77], vcc
	s_xor_b64 s[90:91], exec, s[76:77]
	s_cbranch_execz .LBB94_4220
; %bb.4209:
	v_mov_b32_e32 v5, 45
	v_readlane_b32 s4, v43, 33
	v_cmp_gt_i16_sdwa s[6:7], v11, v5 src0_sel:BYTE_0 src1_sel:DWORD
	s_mov_b64 s[92:93], 0
	v_readlane_b32 s5, v43, 34
	s_and_saveexec_b64 vcc, s[6:7]
	s_xor_b64 s[6:7], exec, vcc
	s_cbranch_execz .LBB94_4213
; %bb.4210:
	v_mov_b32_e32 v5, 46
	v_cmp_eq_u16_sdwa s[76:77], v11, v5 src0_sel:BYTE_0 src1_sel:DWORD
	s_mov_b64 vcc, 0
	s_mov_b64 s[4:5], -1
	s_and_saveexec_b64 s[80:81], s[76:77]
	s_cbranch_execz .LBB94_4212
; %bb.4211:
	v_bfe_u32 v5, v4, 16, 1
	s_movk_i32 s4, 0x7fff
	v_add3_u32 v5, v4, v5, s4
	v_lshrrev_b32_e32 v5, 16, v5
	v_mov_b32_e32 v21, 0x7fc0
	v_cmp_o_f32_e64 s[4:5], v4, v4
	v_cndmask_b32_e64 v4, v21, v5, s[4:5]
	s_mov_b64 vcc, exec
	flat_store_dword v[2:3], v4
	s_xor_b64 s[4:5], exec, -1
.LBB94_4212:
	s_or_b64 exec, exec, s[80:81]
	v_readlane_b32 s76, v43, 33
	v_readlane_b32 s77, v43, 34
	s_andn2_b64 s[76:77], s[76:77], exec
	s_and_b64 s[4:5], s[4:5], exec
	s_or_b64 s[4:5], s[76:77], s[4:5]
	s_and_b64 s[92:93], vcc, exec
                                        ; implicit-def: $vgpr2_vgpr3
                                        ; implicit-def: $vgpr4
.LBB94_4213:
	s_andn2_saveexec_b64 s[84:85], s[6:7]
	s_cbranch_execz .LBB94_4219
; %bb.4214:
	v_mov_b32_e32 v5, 44
	v_cmp_eq_u16_sdwa s[76:77], v11, v5 src0_sel:BYTE_0 src1_sel:DWORD
	s_mov_b64 vcc, -1
	s_mov_b64 s[6:7], s[92:93]
	s_and_saveexec_b64 s[80:81], s[76:77]
	s_cbranch_execz .LBB94_4218
; %bb.4215:
	v_bfe_u32 v5, v4, 23, 8
	s_movk_i32 s6, 0xff
	v_cmp_ne_u32_e32 vcc, s6, v5
	v_mov_b32_e32 v21, 0xff
	s_and_saveexec_b64 s[82:83], vcc
; %bb.4216:
	s_mov_b32 s6, 0x3fffff
	v_lshrrev_b32_e32 v21, 23, v4
	v_and_b32_e32 v22, 0x400000, v4
	v_and_or_b32 v4, v4, s6, v5
	v_cmp_ne_u32_e32 vcc, 0, v22
	v_cmp_ne_u32_e64 s[6:7], 0, v4
	s_and_b64 s[6:7], vcc, s[6:7]
	v_cndmask_b32_e64 v4, 0, 1, s[6:7]
	v_add_u32_e32 v21, v21, v4
; %bb.4217:
	s_or_b64 exec, exec, s[82:83]
	s_xor_b64 vcc, exec, -1
	s_or_b64 s[6:7], s[92:93], exec
	flat_store_byte v[2:3], v21
.LBB94_4218:
	s_or_b64 exec, exec, s[80:81]
	s_andn2_b64 s[4:5], s[4:5], exec
	s_and_b64 vcc, vcc, exec
	s_or_b64 s[4:5], s[4:5], vcc
	s_andn2_b64 vcc, s[92:93], exec
	s_and_b64 s[6:7], s[6:7], exec
	s_or_b64 s[92:93], vcc, s[6:7]
.LBB94_4219:
	s_or_b64 exec, exec, s[84:85]
	v_readlane_b32 s6, v43, 33
	v_readlane_b32 s7, v43, 34
	s_andn2_b64 s[6:7], s[6:7], exec
	s_and_b64 s[4:5], s[4:5], exec
	s_or_b64 s[6:7], s[6:7], s[4:5]
	s_and_b64 s[4:5], s[92:93], exec
                                        ; implicit-def: $vgpr4
                                        ; implicit-def: $vgpr2_vgpr3
.LBB94_4220:
	s_andn2_saveexec_b64 vcc, s[90:91]
	s_cbranch_execz .LBB94_4224
; %bb.4221:
	v_mov_b32_e32 v5, 29
	v_cmp_eq_u16_sdwa s[76:77], v11, v5 src0_sel:BYTE_0 src1_sel:DWORD
	s_mov_b64 s[84:85], -1
	s_mov_b64 s[82:83], s[4:5]
	s_and_saveexec_b64 s[80:81], s[76:77]
	s_cbranch_execz .LBB94_4223
; %bb.4222:
	v_trunc_f32_e32 v4, v4
	v_mul_f32_e32 v5, 0x2f800000, v4
	v_floor_f32_e32 v21, v5
	v_fmac_f32_e32 v4, 0xcf800000, v21
	v_cvt_u32_f32_e32 v5, v21
	v_cvt_u32_f32_e32 v4, v4
	s_xor_b64 s[84:85], exec, -1
	s_or_b64 s[82:83], s[4:5], exec
	flat_store_dwordx2 v[2:3], v[4:5]
.LBB94_4223:
	s_or_b64 exec, exec, s[80:81]
	s_andn2_b64 s[6:7], s[6:7], exec
	s_and_b64 s[76:77], s[84:85], exec
	s_or_b64 s[6:7], s[6:7], s[76:77]
	s_andn2_b64 s[4:5], s[4:5], exec
	s_and_b64 s[76:77], s[82:83], exec
	s_or_b64 s[4:5], s[4:5], s[76:77]
.LBB94_4224:
	s_or_b64 exec, exec, vcc
	v_readlane_b32 vcc_lo, v43, 33
	v_readlane_b32 vcc_hi, v43, 34
	s_andn2_b64 vcc, vcc, exec
	s_and_b64 s[6:7], s[6:7], exec
	s_or_b64 s[90:91], vcc, s[6:7]
	s_and_b64 s[6:7], s[4:5], exec
                                        ; implicit-def: $vgpr2_vgpr3
                                        ; implicit-def: $vgpr21
                                        ; implicit-def: $vgpr4
.LBB94_4225:
	s_andn2_saveexec_b64 s[88:89], s[88:89]
	s_cbranch_execz .LBB94_4241
; %bb.4226:
	v_mov_b32_e32 v5, 26
	v_cmp_gt_i16_sdwa s[4:5], v11, v5 src0_sel:BYTE_0 src1_sel:DWORD
	s_and_saveexec_b64 vcc, s[4:5]
	s_xor_b64 s[4:5], exec, vcc
	s_cbranch_execz .LBB94_4232
; %bb.4227:
	v_cvt_u32_f32_e32 v4, v4
	v_mov_b32_e32 v5, 27
	v_cmp_gt_i16_sdwa vcc, v11, v5 src0_sel:BYTE_0 src1_sel:DWORD
	s_and_saveexec_b64 s[76:77], vcc
	s_xor_b64 vcc, exec, s[76:77]
	s_cbranch_execz .LBB94_4229
; %bb.4228:
	flat_store_dword v[2:3], v4
                                        ; implicit-def: $vgpr2_vgpr3
                                        ; implicit-def: $vgpr4
.LBB94_4229:
	s_andn2_saveexec_b64 vcc, vcc
	s_cbranch_execz .LBB94_4231
; %bb.4230:
	flat_store_short v[2:3], v4
.LBB94_4231:
	s_or_b64 exec, exec, vcc
                                        ; implicit-def: $vgpr2_vgpr3
                                        ; implicit-def: $vgpr21
                                        ; implicit-def: $vgpr4
.LBB94_4232:
	s_andn2_saveexec_b64 s[92:93], s[4:5]
	s_cbranch_execz .LBB94_4240
; %bb.4233:
	v_readlane_b32 s4, v43, 43
	v_readlane_b32 s5, v43, 44
	v_cndmask_b32_e64 v21, |v0|, |v21|, s[4:5]
	s_mov_b32 s4, 0x43800000
	v_cmp_gt_u32_e64 s[4:5], s4, v21
	v_mov_b32_e32 v22, 0x80
	s_and_saveexec_b64 vcc, s[4:5]
	s_cbranch_execz .LBB94_4239
; %bb.4234:
	s_mov_b32 s4, 0x3bffffff
	v_cmp_lt_u32_e64 s[4:5], s4, v21
	s_mov_b64 s[84:85], 0
                                        ; implicit-def: $vgpr5
	s_and_saveexec_b64 s[76:77], s[4:5]
	s_xor_b64 s[4:5], exec, s[76:77]
	s_cbranch_execnz .LBB94_7921
; %bb.4235:
	s_or_saveexec_b64 s[80:81], s[4:5]
                                        ; implicit-def: $sgpr78
	s_xor_b64 exec, exec, s[80:81]
	s_cbranch_execnz .LBB94_7922
.LBB94_4236:
	s_or_b64 exec, exec, s[80:81]
	v_mov_b32_e32 v22, s78
	s_and_saveexec_b64 s[4:5], s[84:85]
.LBB94_4237:
	v_lshrrev_b32_e32 v4, 24, v4
	s_movk_i32 s76, 0x80
	v_and_or_b32 v22, v4, s76, v5
.LBB94_4238:
	s_or_b64 exec, exec, s[4:5]
.LBB94_4239:
	s_or_b64 exec, exec, vcc
	flat_store_byte v[2:3], v22
.LBB94_4240:
	s_or_b64 exec, exec, s[92:93]
	s_or_b64 s[6:7], s[6:7], exec
.LBB94_4241:
	s_or_b64 exec, exec, s[88:89]
	v_readlane_b32 s4, v43, 33
	v_readlane_b32 s5, v43, 34
	s_andn2_b64 s[4:5], s[4:5], exec
	s_and_b64 vcc, s[90:91], exec
	s_or_b64 s[94:95], s[4:5], vcc
	s_and_b64 s[6:7], s[6:7], exec
                                        ; implicit-def: $vgpr4
                                        ; implicit-def: $vgpr2_vgpr3
                                        ; implicit-def: $vgpr21
.LBB94_4242:
	v_readlane_b32 s4, v43, 47
	v_readlane_b32 s5, v43, 48
	s_andn2_saveexec_b64 s[92:93], s[4:5]
	s_cbranch_execz .LBB94_4286
; %bb.4243:
	v_mov_b32_e32 v5, 22
	v_cmp_gt_i16_sdwa vcc, v11, v5 src0_sel:BYTE_0 src1_sel:DWORD
	s_mov_b64 s[4:5], s[6:7]
	s_and_saveexec_b64 s[76:77], vcc
	s_xor_b64 s[88:89], exec, s[76:77]
	s_cbranch_execz .LBB94_4275
; %bb.4244:
	v_mov_b32_e32 v5, 23
	v_cmp_gt_i16_sdwa s[4:5], v11, v5 src0_sel:BYTE_0 src1_sel:DWORD
	s_and_saveexec_b64 vcc, s[4:5]
	s_xor_b64 s[82:83], exec, vcc
	s_cbranch_execz .LBB94_4264
; %bb.4245:
	v_mov_b32_e32 v5, 24
	v_cmp_gt_i16_sdwa s[4:5], v11, v5 src0_sel:BYTE_0 src1_sel:DWORD
	s_and_saveexec_b64 vcc, s[4:5]
	s_xor_b64 vcc, exec, vcc
	s_cbranch_execz .LBB94_4253
; %bb.4246:
	v_readlane_b32 s4, v43, 43
	v_readlane_b32 s5, v43, 44
	v_cndmask_b32_e64 v21, |v0|, |v21|, s[4:5]
	s_mov_b32 s4, 0x47800000
	v_cmp_gt_u32_e64 s[4:5], s4, v21
	v_mov_b32_e32 v22, 0x80
	s_and_saveexec_b64 s[84:85], s[4:5]
	s_cbranch_execz .LBB94_4252
; %bb.4247:
	s_mov_b32 s4, 0x37ffffff
	v_cmp_lt_u32_e64 s[4:5], s4, v21
	s_mov_b64 s[90:91], 0
                                        ; implicit-def: $vgpr5
	s_and_saveexec_b64 s[76:77], s[4:5]
	s_xor_b64 s[4:5], exec, s[76:77]
	s_cbranch_execnz .LBB94_7923
; %bb.4248:
	s_or_saveexec_b64 s[80:81], s[4:5]
                                        ; implicit-def: $sgpr78
	s_xor_b64 exec, exec, s[80:81]
	s_cbranch_execnz .LBB94_7924
.LBB94_4249:
	s_or_b64 exec, exec, s[80:81]
	v_mov_b32_e32 v22, s78
	s_and_saveexec_b64 s[4:5], s[90:91]
.LBB94_4250:
	v_lshrrev_b32_e32 v4, 24, v4
	s_movk_i32 s76, 0x80
	v_and_or_b32 v22, v4, s76, v5
.LBB94_4251:
	s_or_b64 exec, exec, s[4:5]
.LBB94_4252:
	s_or_b64 exec, exec, s[84:85]
	flat_store_byte v[2:3], v22
                                        ; implicit-def: $vgpr4
                                        ; implicit-def: $vgpr2_vgpr3
                                        ; implicit-def: $vgpr21
.LBB94_4253:
	s_andn2_saveexec_b64 vcc, vcc
	s_cbranch_execz .LBB94_4263
; %bb.4254:
	v_readlane_b32 s4, v43, 43
	v_readlane_b32 s5, v43, 44
	v_cndmask_b32_e64 v21, |v0|, |v21|, s[4:5]
	s_mov_b32 s4, 0x43f00000
	v_cmp_gt_u32_e64 s[4:5], s4, v21
                                        ; implicit-def: $vgpr5
	s_and_saveexec_b64 s[76:77], s[4:5]
	s_xor_b64 s[84:85], exec, s[76:77]
	s_cbranch_execz .LBB94_4260
; %bb.4255:
	s_mov_b32 s4, 0x3c7fffff
	v_cmp_lt_u32_e64 s[4:5], s4, v21
                                        ; implicit-def: $vgpr5
	s_and_saveexec_b64 s[76:77], s[4:5]
	s_xor_b64 s[80:81], exec, s[76:77]
; %bb.4256:
	v_bfe_u32 v5, v4, 20, 1
	s_mov_b32 s4, 0x407ffff
	v_add3_u32 v5, v4, v5, s4
	v_lshrrev_b32_e32 v21, 20, v5
	v_and_b32_e32 v5, 0xff00000, v5
	s_mov_b32 s4, 0x7f00000
	v_mov_b32_e32 v22, 0x7e
	v_cmp_ne_u32_e64 s[4:5], s4, v5
	v_cndmask_b32_e64 v5, v22, v21, s[4:5]
                                        ; implicit-def: $vgpr21
; %bb.4257:
	s_andn2_saveexec_b64 s[4:5], s[80:81]
; %bb.4258:
	v_add_f32_e32 v5, 0x46800000, v21
; %bb.4259:
	s_or_b64 exec, exec, s[4:5]
                                        ; implicit-def: $vgpr21
.LBB94_4260:
	s_andn2_saveexec_b64 s[80:81], s[84:85]
; %bb.4261:
	s_mov_b32 s4, 0x7f800000
	v_mov_b32_e32 v5, 0x7e
	v_mov_b32_e32 v22, 0x7f
	v_cmp_lt_u32_e64 s[4:5], s4, v21
	v_cndmask_b32_e64 v5, v5, v22, s[4:5]
; %bb.4262:
	s_or_b64 exec, exec, s[80:81]
	v_lshrrev_b32_e32 v4, 24, v4
	s_movk_i32 s4, 0x80
	v_and_or_b32 v4, v4, s4, v5
	flat_store_byte v[2:3], v4
.LBB94_4263:
	s_or_b64 exec, exec, vcc
                                        ; implicit-def: $vgpr4
                                        ; implicit-def: $vgpr2_vgpr3
                                        ; implicit-def: $vgpr21
.LBB94_4264:
	s_andn2_saveexec_b64 s[4:5], s[82:83]
	s_cbranch_execz .LBB94_4274
; %bb.4265:
	v_readlane_b32 vcc_lo, v43, 43
	v_readlane_b32 vcc_hi, v43, 44
	v_cndmask_b32_e64 v21, |v0|, |v21|, vcc
	s_mov_b32 vcc_lo, 0x47800000
	v_cmp_gt_u32_e32 vcc, vcc_lo, v21
                                        ; implicit-def: $vgpr5
	s_and_saveexec_b64 s[76:77], vcc
	s_xor_b64 s[82:83], exec, s[76:77]
	s_cbranch_execz .LBB94_4271
; %bb.4266:
	s_mov_b32 vcc_lo, 0x387fffff
	v_cmp_lt_u32_e32 vcc, vcc_lo, v21
                                        ; implicit-def: $vgpr5
	s_and_saveexec_b64 s[76:77], vcc
	s_xor_b64 vcc, exec, s[76:77]
; %bb.4267:
	v_bfe_u32 v5, v4, 21, 1
	s_mov_b32 s76, 0x80fffff
	v_add3_u32 v5, v4, v5, s76
	v_lshrrev_b32_e32 v5, 21, v5
                                        ; implicit-def: $vgpr21
; %bb.4268:
	s_andn2_saveexec_b64 vcc, vcc
; %bb.4269:
	v_add_f32_e32 v5, 0x43000000, v21
; %bb.4270:
	s_or_b64 exec, exec, vcc
                                        ; implicit-def: $vgpr21
.LBB94_4271:
	s_andn2_saveexec_b64 s[80:81], s[82:83]
; %bb.4272:
	s_mov_b32 vcc_lo, 0x7f800000
	v_mov_b32_e32 v5, 0x7c
	v_mov_b32_e32 v22, 0x7f
	v_cmp_lt_u32_e32 vcc, vcc_lo, v21
	v_cndmask_b32_e32 v5, v5, v22, vcc
; %bb.4273:
	s_or_b64 exec, exec, s[80:81]
	v_lshrrev_b32_e32 v4, 24, v4
	s_movk_i32 vcc_lo, 0x80
	v_and_or_b32 v4, v4, vcc_lo, v5
	flat_store_byte v[2:3], v4
.LBB94_4274:
	s_or_b64 exec, exec, s[4:5]
	s_or_b64 s[4:5], s[6:7], exec
                                        ; implicit-def: $vgpr4
                                        ; implicit-def: $vgpr2_vgpr3
.LBB94_4275:
	s_or_saveexec_b64 s[88:89], s[88:89]
	s_mov_b64 vcc, s[94:95]
	s_xor_b64 exec, exec, s[88:89]
	s_cbranch_execz .LBB94_4285
; %bb.4276:
	v_mov_b32_e32 v5, 14
	v_cmp_gt_i16_sdwa vcc, v11, v5 src0_sel:BYTE_0 src1_sel:DWORD
	s_mov_b64 s[84:85], s[4:5]
	s_mov_b64 s[90:91], s[94:95]
	s_and_saveexec_b64 s[76:77], vcc
	s_xor_b64 s[82:83], exec, s[76:77]
	s_cbranch_execz .LBB94_4280
; %bb.4277:
	v_mov_b32_e32 v5, 15
	v_cmp_eq_u16_sdwa s[76:77], v11, v5 src0_sel:BYTE_0 src1_sel:DWORD
	s_mov_b64 s[84:85], -1
	s_mov_b64 vcc, s[4:5]
	s_and_saveexec_b64 s[80:81], s[76:77]
	s_cbranch_execz .LBB94_4279
; %bb.4278:
	v_bfe_u32 v5, v4, 16, 1
	s_movk_i32 vcc_lo, 0x7fff
	v_add3_u32 v5, v4, v5, vcc_lo
	v_lshrrev_b32_e32 v5, 16, v5
	v_mov_b32_e32 v21, 0x7fc0
	v_cmp_o_f32_e32 vcc, v4, v4
	v_cndmask_b32_e32 v4, v21, v5, vcc
	flat_store_short v[2:3], v4
	s_xor_b64 s[84:85], exec, -1
	s_or_b64 vcc, s[4:5], exec
.LBB94_4279:
	s_or_b64 exec, exec, s[80:81]
	s_andn2_b64 s[76:77], s[94:95], exec
	s_and_b64 s[78:79], s[84:85], exec
	s_or_b64 s[90:91], s[76:77], s[78:79]
	s_andn2_b64 s[76:77], s[4:5], exec
	s_and_b64 vcc, vcc, exec
	s_or_b64 s[84:85], s[76:77], vcc
                                        ; implicit-def: $vgpr4
                                        ; implicit-def: $vgpr2_vgpr3
.LBB94_4280:
	s_andn2_saveexec_b64 s[82:83], s[82:83]
	s_cbranch_execz .LBB94_4284
; %bb.4281:
	v_mov_b32_e32 v5, 11
	v_cmp_eq_u16_sdwa s[76:77], v11, v5 src0_sel:BYTE_0 src1_sel:DWORD
	s_mov_b64 s[80:81], -1
	s_mov_b64 vcc, s[84:85]
	s_and_saveexec_b64 s[78:79], s[76:77]
	s_cbranch_execz .LBB94_4283
; %bb.4282:
	v_cmp_neq_f32_e32 vcc, 0, v4
	v_cndmask_b32_e64 v4, 0, 1, vcc
	flat_store_byte v[2:3], v4
	s_xor_b64 s[80:81], exec, -1
	s_or_b64 vcc, s[84:85], exec
.LBB94_4283:
	s_or_b64 exec, exec, s[78:79]
	s_andn2_b64 s[76:77], s[90:91], exec
	s_and_b64 s[78:79], s[80:81], exec
	s_or_b64 s[90:91], s[76:77], s[78:79]
	s_andn2_b64 s[76:77], s[84:85], exec
	s_and_b64 vcc, vcc, exec
	s_or_b64 s[84:85], s[76:77], vcc
.LBB94_4284:
	s_or_b64 exec, exec, s[82:83]
	s_andn2_b64 vcc, s[94:95], exec
	s_and_b64 s[76:77], s[90:91], exec
	s_or_b64 vcc, vcc, s[76:77]
	s_andn2_b64 s[4:5], s[4:5], exec
	s_and_b64 s[76:77], s[84:85], exec
	s_or_b64 s[4:5], s[4:5], s[76:77]
.LBB94_4285:
	s_or_b64 exec, exec, s[88:89]
	s_andn2_b64 s[76:77], s[94:95], exec
	s_and_b64 vcc, vcc, exec
	s_andn2_b64 s[6:7], s[6:7], exec
	s_and_b64 s[4:5], s[4:5], exec
	s_or_b64 s[94:95], s[76:77], vcc
	s_or_b64 s[6:7], s[6:7], s[4:5]
.LBB94_4286:
	s_or_b64 exec, exec, s[92:93]
	v_readlane_b32 s4, v43, 33
	v_readlane_b32 s5, v43, 34
	s_andn2_b64 s[4:5], s[4:5], exec
	s_and_b64 vcc, s[94:95], exec
	s_or_b64 s[4:5], s[4:5], vcc
	s_and_b64 s[6:7], s[6:7], exec
                                        ; implicit-def: $vgpr4
                                        ; implicit-def: $vgpr2_vgpr3
.LBB94_4287:
	v_readlane_b32 vcc_lo, v43, 45
	v_readlane_b32 vcc_hi, v43, 46
	s_andn2_saveexec_b64 s[90:91], vcc
	s_cbranch_execz .LBB94_4329
; %bb.4288:
	v_mov_b32_e32 v5, 4
	v_cmp_gt_i16_sdwa vcc, v11, v5 src0_sel:BYTE_0 src1_sel:DWORD
	s_and_saveexec_b64 s[76:77], vcc
	s_xor_b64 vcc, exec, s[76:77]
	s_cbranch_execz .LBB94_4310
; %bb.4289:
	v_mov_b32_e32 v5, 7
	v_cmp_gt_i16_sdwa s[76:77], v11, v5 src0_sel:BYTE_0 src1_sel:DWORD
	s_and_saveexec_b64 s[78:79], s[76:77]
	s_xor_b64 s[84:85], exec, s[78:79]
	s_cbranch_execz .LBB94_4299
; %bb.4290:
	v_mov_b32_e32 v5, 8
	v_cmp_gt_i16_sdwa s[76:77], v11, v5 src0_sel:BYTE_0 src1_sel:DWORD
	s_and_saveexec_b64 s[78:79], s[76:77]
	s_xor_b64 s[88:89], exec, s[78:79]
	;; [unrolled: 6-line block ×3, first 2 shown]
	s_cbranch_execz .LBB94_4293
; %bb.4292:
	v_mov_b32_e32 v24, 0
	v_cvt_f64_f32_e32 v[22:23], v4
	v_mov_b32_e32 v25, v24
	flat_store_dwordx4 v[2:3], v[22:25]
                                        ; implicit-def: $vgpr4
                                        ; implicit-def: $vgpr2_vgpr3
.LBB94_4293:
	s_andn2_saveexec_b64 s[78:79], s[80:81]
	s_cbranch_execz .LBB94_4295
; %bb.4294:
	v_mov_b32_e32 v5, 0
	flat_store_dwordx2 v[2:3], v[4:5]
.LBB94_4295:
	s_or_b64 exec, exec, s[78:79]
                                        ; implicit-def: $vgpr4
                                        ; implicit-def: $vgpr2_vgpr3
.LBB94_4296:
	s_andn2_saveexec_b64 s[78:79], s[88:89]
	s_cbranch_execz .LBB94_4298
; %bb.4297:
	v_cvt_f16_f32_e32 v4, v4
	flat_store_dword v[2:3], v4
.LBB94_4298:
	s_or_b64 exec, exec, s[78:79]
                                        ; implicit-def: $vgpr4
                                        ; implicit-def: $vgpr2_vgpr3
.LBB94_4299:
	s_andn2_saveexec_b64 s[84:85], s[84:85]
	s_cbranch_execz .LBB94_4309
; %bb.4300:
	v_mov_b32_e32 v5, 5
	v_cmp_gt_i16_sdwa s[76:77], v11, v5 src0_sel:BYTE_0 src1_sel:DWORD
	s_and_saveexec_b64 s[78:79], s[76:77]
	s_xor_b64 s[80:81], exec, s[78:79]
	s_cbranch_execz .LBB94_4306
; %bb.4301:
	v_mov_b32_e32 v5, 6
	v_cmp_gt_i16_sdwa s[76:77], v11, v5 src0_sel:BYTE_0 src1_sel:DWORD
	s_and_saveexec_b64 s[78:79], s[76:77]
	s_xor_b64 s[78:79], exec, s[78:79]
	s_cbranch_execz .LBB94_4303
; %bb.4302:
	v_cvt_f64_f32_e32 v[4:5], v4
	flat_store_dwordx2 v[2:3], v[4:5]
                                        ; implicit-def: $vgpr2_vgpr3
                                        ; implicit-def: $vgpr4
.LBB94_4303:
	s_andn2_saveexec_b64 s[78:79], s[78:79]
	s_cbranch_execz .LBB94_4305
; %bb.4304:
	flat_store_dword v[2:3], v4
.LBB94_4305:
	s_or_b64 exec, exec, s[78:79]
                                        ; implicit-def: $vgpr4
                                        ; implicit-def: $vgpr2_vgpr3
.LBB94_4306:
	s_andn2_saveexec_b64 s[78:79], s[80:81]
	s_cbranch_execz .LBB94_4308
; %bb.4307:
	v_cvt_f16_f32_e32 v4, v4
	flat_store_short v[2:3], v4
.LBB94_4308:
	s_or_b64 exec, exec, s[78:79]
.LBB94_4309:
	s_or_b64 exec, exec, s[84:85]
                                        ; implicit-def: $vgpr4
                                        ; implicit-def: $vgpr2_vgpr3
.LBB94_4310:
	s_andn2_saveexec_b64 s[88:89], vcc
	s_cbranch_execz .LBB94_4328
; %bb.4311:
	v_mov_b32_e32 v5, 1
	v_cmp_gt_i16_sdwa vcc, v11, v5 src0_sel:BYTE_0 src1_sel:DWORD
	s_and_saveexec_b64 s[76:77], vcc
	s_xor_b64 s[92:93], exec, s[76:77]
	s_cbranch_execz .LBB94_4321
; %bb.4312:
	v_mov_b32_e32 v5, 2
	v_cmp_gt_i16_sdwa vcc, v11, v5 src0_sel:BYTE_0 src1_sel:DWORD
	s_and_saveexec_b64 s[76:77], vcc
	s_xor_b64 s[84:85], exec, s[76:77]
	;; [unrolled: 6-line block ×3, first 2 shown]
	s_cbranch_execz .LBB94_4315
; %bb.4314:
	v_trunc_f32_e32 v4, v4
	s_mov_b32 s76, 0x2f800000
	v_mul_f32_e64 v5, |v4|, s76
	v_floor_f32_e32 v5, v5
	s_mov_b32 s76, 0xcf800000
	v_cvt_u32_f32_e32 v21, v5
	v_fma_f32 v5, v5, s76, |v4|
	v_cvt_u32_f32_e32 v5, v5
	v_ashrrev_i32_e32 v22, 31, v4
	v_xor_b32_e32 v21, v21, v22
	v_xor_b32_e32 v4, v5, v22
	v_sub_co_u32_e32 v4, vcc, v4, v22
	v_subb_co_u32_e32 v5, vcc, v21, v22, vcc
	flat_store_dwordx2 v[2:3], v[4:5]
                                        ; implicit-def: $vgpr4
                                        ; implicit-def: $vgpr2_vgpr3
.LBB94_4315:
	s_andn2_saveexec_b64 vcc, s[80:81]
	s_cbranch_execz .LBB94_4317
; %bb.4316:
	v_cvt_i32_f32_e32 v4, v4
	flat_store_dword v[2:3], v4
.LBB94_4317:
	s_or_b64 exec, exec, vcc
                                        ; implicit-def: $vgpr4
                                        ; implicit-def: $vgpr2_vgpr3
.LBB94_4318:
	s_andn2_saveexec_b64 vcc, s[84:85]
	s_cbranch_execz .LBB94_4320
; %bb.4319:
	v_cvt_i32_f32_e32 v4, v4
	flat_store_short v[2:3], v4
.LBB94_4320:
	s_or_b64 exec, exec, vcc
                                        ; implicit-def: $vgpr4
                                        ; implicit-def: $vgpr2_vgpr3
.LBB94_4321:
	s_andn2_saveexec_b64 vcc, s[92:93]
	s_cbranch_execz .LBB94_4327
; %bb.4322:
	v_mov_b32_e32 v5, 0
	v_cmp_gt_i16_sdwa s[76:77], v11, v5 src0_sel:BYTE_0 src1_sel:DWORD
	s_and_saveexec_b64 s[78:79], s[76:77]
	s_xor_b64 s[78:79], exec, s[78:79]
	s_cbranch_execz .LBB94_4324
; %bb.4323:
	v_cvt_i32_f32_e32 v4, v4
	flat_store_byte v[2:3], v4
                                        ; implicit-def: $vgpr4
                                        ; implicit-def: $vgpr2_vgpr3
.LBB94_4324:
	s_andn2_saveexec_b64 s[80:81], s[78:79]
	s_cbranch_execz .LBB94_4326
; %bb.4325:
	v_trunc_f32_e32 v4, v4
	s_mov_b32 s76, 0x2f800000
	v_mul_f32_e64 v5, |v4|, s76
	v_floor_f32_e32 v5, v5
	s_mov_b32 s76, 0xcf800000
	v_fma_f32 v5, v5, s76, |v4|
	v_cvt_u32_f32_e32 v5, v5
	v_ashrrev_i32_e32 v4, 31, v4
	v_xor_b32_e32 v5, v5, v4
	v_sub_u32_e32 v4, v5, v4
	flat_store_byte v[2:3], v4
.LBB94_4326:
	s_or_b64 exec, exec, s[80:81]
.LBB94_4327:
	s_or_b64 exec, exec, vcc
.LBB94_4328:
	s_or_b64 exec, exec, s[88:89]
	s_or_b64 s[6:7], s[6:7], exec
.LBB94_4329:
	s_or_b64 exec, exec, s[90:91]
	s_mov_b64 vcc, 0
	s_and_saveexec_b64 s[78:79], s[6:7]
; %bb.4330:
	s_mov_b64 vcc, exec
	v_add_u32_e32 v14, 0x200, v14
; %bb.4331:
	s_or_b64 exec, exec, s[78:79]
	v_readlane_b32 s6, v43, 33
	v_readlane_b32 s7, v43, 34
	s_andn2_b64 s[6:7], s[6:7], exec
	s_and_b64 s[4:5], s[4:5], exec
	s_or_b64 s[94:95], s[6:7], s[4:5]
	s_orn2_b64 s[80:81], vcc, exec
.LBB94_4332:
	s_or_b64 exec, exec, s[96:97]
	s_mov_b64 s[4:5], 0
	s_mov_b64 s[6:7], 0
	s_mov_b64 vcc, 0
                                        ; implicit-def: $vgpr2
                                        ; implicit-def: $vgpr103
                                        ; implicit-def: $vgpr4_vgpr5
	s_mov_b64 s[76:77], exec
	v_writelane_b32 v43, s76, 41
	v_writelane_b32 v43, s77, 42
	s_and_b64 s[76:77], s[76:77], s[80:81]
	s_mov_b64 exec, s[76:77]
	s_cbranch_execz .LBB94_4936
; %bb.4333:
	v_cmp_lt_i32_e32 vcc, v14, v6
	s_mov_b64 s[80:81], -1
	v_writelane_b32 v43, s94, 49
	v_writelane_b32 v43, s95, 50
	s_and_saveexec_b64 s[96:97], vcc
	s_cbranch_execz .LBB94_4461
; %bb.4334:
	v_readlane_b32 s4, v44, 1
	v_add_u32_e32 v2, s4, v14
	v_add_u32_e32 v4, 0x3600, v13
	v_mul_lo_u32 v2, v2, v12
	v_cmp_lt_i32_e64 s[4:5], v4, v6
	v_add_co_u32_e32 v2, vcc, v0, v2
	v_writelane_b32 v43, s4, 53
	v_addc_co_u32_e32 v3, vcc, 0, v1, vcc
	v_writelane_b32 v43, s5, 54
	s_brev_b32 s4, -2
	v_mov_b32_e32 v5, 10
	s_waitcnt vmcnt(0)
	v_bfi_b32 v4, s4, v19, v20
	v_cmp_gt_i16_sdwa vcc, v11, v5 src0_sel:BYTE_0 src1_sel:DWORD
	s_mov_b64 s[4:5], s[94:95]
	s_and_saveexec_b64 s[76:77], vcc
	s_xor_b64 s[76:77], exec, s[76:77]
	v_writelane_b32 v43, s76, 55
	v_writelane_b32 v43, s77, 56
	s_cbranch_execz .LBB94_4416
; %bb.4335:
	v_mov_b32_e32 v5, 25
	v_cmp_gt_i16_sdwa s[4:5], v11, v5 src0_sel:BYTE_0 src1_sel:DWORD
	s_mov_b64 s[92:93], s[94:95]
	s_and_saveexec_b64 vcc, s[4:5]
	s_xor_b64 vcc, exec, vcc
	v_writelane_b32 v43, vcc_lo, 57
	v_writelane_b32 v43, vcc_hi, 58
	s_cbranch_execz .LBB94_4371
; %bb.4336:
	v_mov_b32_e32 v5, 28
	v_cmp_gt_i16_sdwa s[4:5], v11, v5 src0_sel:BYTE_0 src1_sel:DWORD
	s_mov_b64 s[92:93], s[94:95]
	s_and_saveexec_b64 vcc, s[4:5]
	s_xor_b64 s[88:89], exec, vcc
	s_cbranch_execz .LBB94_4354
; %bb.4337:
	v_mov_b32_e32 v5, 43
	v_cmp_gt_i16_sdwa vcc, v11, v5 src0_sel:BYTE_0 src1_sel:DWORD
	s_mov_b64 s[4:5], 0
	s_mov_b64 s[6:7], s[94:95]
	s_and_saveexec_b64 s[76:77], vcc
	s_xor_b64 s[78:79], exec, s[76:77]
	s_cbranch_execz .LBB94_4349
; %bb.4338:
	v_mov_b32_e32 v5, 45
	v_cmp_gt_i16_sdwa s[6:7], v11, v5 src0_sel:BYTE_0 src1_sel:DWORD
	s_mov_b64 s[92:93], 0
	s_mov_b64 s[4:5], s[94:95]
	s_and_saveexec_b64 vcc, s[6:7]
	s_xor_b64 s[6:7], exec, vcc
	s_cbranch_execz .LBB94_4342
; %bb.4339:
	v_mov_b32_e32 v5, 46
	v_cmp_eq_u16_sdwa s[76:77], v11, v5 src0_sel:BYTE_0 src1_sel:DWORD
	s_mov_b64 vcc, 0
	s_mov_b64 s[4:5], -1
	s_and_saveexec_b64 s[80:81], s[76:77]
	s_cbranch_execz .LBB94_4341
; %bb.4340:
	v_bfe_u32 v5, v4, 16, 1
	s_movk_i32 s4, 0x7fff
	v_add3_u32 v5, v4, v5, s4
	v_lshrrev_b32_e32 v5, 16, v5
	v_mov_b32_e32 v19, 0x7fc0
	v_cmp_o_f32_e64 s[4:5], v4, v4
	v_cndmask_b32_e64 v4, v19, v5, s[4:5]
	s_mov_b64 vcc, exec
	flat_store_dword v[2:3], v4
	s_xor_b64 s[4:5], exec, -1
.LBB94_4341:
	s_or_b64 exec, exec, s[80:81]
	s_andn2_b64 s[76:77], s[94:95], exec
	s_and_b64 s[4:5], s[4:5], exec
	s_or_b64 s[4:5], s[76:77], s[4:5]
	s_and_b64 s[92:93], vcc, exec
                                        ; implicit-def: $vgpr2_vgpr3
                                        ; implicit-def: $vgpr4
.LBB94_4342:
	s_andn2_saveexec_b64 s[84:85], s[6:7]
	s_cbranch_execz .LBB94_4348
; %bb.4343:
	v_mov_b32_e32 v5, 44
	v_cmp_eq_u16_sdwa s[76:77], v11, v5 src0_sel:BYTE_0 src1_sel:DWORD
	s_mov_b64 vcc, -1
	s_mov_b64 s[6:7], s[92:93]
	s_and_saveexec_b64 s[80:81], s[76:77]
	s_cbranch_execz .LBB94_4347
; %bb.4344:
	v_bfe_u32 v5, v4, 23, 8
	s_movk_i32 s6, 0xff
	v_cmp_ne_u32_e32 vcc, s6, v5
	v_mov_b32_e32 v19, 0xff
	s_and_saveexec_b64 s[82:83], vcc
; %bb.4345:
	s_mov_b32 s6, 0x3fffff
	v_lshrrev_b32_e32 v19, 23, v4
	v_and_b32_e32 v20, 0x400000, v4
	v_and_or_b32 v4, v4, s6, v5
	v_cmp_ne_u32_e32 vcc, 0, v20
	v_cmp_ne_u32_e64 s[6:7], 0, v4
	s_and_b64 s[6:7], vcc, s[6:7]
	v_cndmask_b32_e64 v4, 0, 1, s[6:7]
	v_add_u32_e32 v19, v19, v4
; %bb.4346:
	s_or_b64 exec, exec, s[82:83]
	s_xor_b64 vcc, exec, -1
	s_or_b64 s[6:7], s[92:93], exec
	flat_store_byte v[2:3], v19
.LBB94_4347:
	s_or_b64 exec, exec, s[80:81]
	s_andn2_b64 s[4:5], s[4:5], exec
	s_and_b64 vcc, vcc, exec
	s_or_b64 s[4:5], s[4:5], vcc
	s_andn2_b64 vcc, s[92:93], exec
	s_and_b64 s[6:7], s[6:7], exec
	s_or_b64 s[92:93], vcc, s[6:7]
.LBB94_4348:
	s_or_b64 exec, exec, s[84:85]
	s_andn2_b64 s[6:7], s[94:95], exec
	s_and_b64 s[4:5], s[4:5], exec
	s_or_b64 s[6:7], s[6:7], s[4:5]
	s_and_b64 s[4:5], s[92:93], exec
                                        ; implicit-def: $vgpr4
                                        ; implicit-def: $vgpr2_vgpr3
.LBB94_4349:
	s_andn2_saveexec_b64 vcc, s[78:79]
	s_cbranch_execz .LBB94_4353
; %bb.4350:
	v_mov_b32_e32 v5, 29
	v_cmp_eq_u16_sdwa s[76:77], v11, v5 src0_sel:BYTE_0 src1_sel:DWORD
	s_mov_b64 s[84:85], -1
	s_mov_b64 s[82:83], s[4:5]
	s_and_saveexec_b64 s[80:81], s[76:77]
	s_cbranch_execz .LBB94_4352
; %bb.4351:
	v_trunc_f32_e32 v4, v4
	v_mul_f32_e32 v5, 0x2f800000, v4
	v_floor_f32_e32 v19, v5
	v_fmac_f32_e32 v4, 0xcf800000, v19
	v_cvt_u32_f32_e32 v5, v19
	v_cvt_u32_f32_e32 v4, v4
	s_xor_b64 s[84:85], exec, -1
	s_or_b64 s[82:83], s[4:5], exec
	flat_store_dwordx2 v[2:3], v[4:5]
.LBB94_4352:
	s_or_b64 exec, exec, s[80:81]
	s_andn2_b64 s[6:7], s[6:7], exec
	s_and_b64 s[76:77], s[84:85], exec
	s_or_b64 s[6:7], s[6:7], s[76:77]
	s_andn2_b64 s[4:5], s[4:5], exec
	s_and_b64 s[76:77], s[82:83], exec
	s_or_b64 s[4:5], s[4:5], s[76:77]
.LBB94_4353:
	s_or_b64 exec, exec, vcc
	s_andn2_b64 vcc, s[94:95], exec
	s_and_b64 s[6:7], s[6:7], exec
	s_or_b64 s[92:93], vcc, s[6:7]
	s_and_b64 s[6:7], s[4:5], exec
                                        ; implicit-def: $vgpr2_vgpr3
                                        ; implicit-def: $vgpr19
                                        ; implicit-def: $vgpr4
.LBB94_4354:
	s_andn2_saveexec_b64 s[88:89], s[88:89]
	s_cbranch_execz .LBB94_4370
; %bb.4355:
	v_mov_b32_e32 v5, 26
	v_cmp_gt_i16_sdwa s[4:5], v11, v5 src0_sel:BYTE_0 src1_sel:DWORD
	s_and_saveexec_b64 vcc, s[4:5]
	s_xor_b64 s[4:5], exec, vcc
	s_cbranch_execz .LBB94_4361
; %bb.4356:
	v_cvt_u32_f32_e32 v4, v4
	v_mov_b32_e32 v5, 27
	v_cmp_gt_i16_sdwa vcc, v11, v5 src0_sel:BYTE_0 src1_sel:DWORD
	s_and_saveexec_b64 s[76:77], vcc
	s_xor_b64 vcc, exec, s[76:77]
	s_cbranch_execz .LBB94_4358
; %bb.4357:
	flat_store_dword v[2:3], v4
                                        ; implicit-def: $vgpr2_vgpr3
                                        ; implicit-def: $vgpr4
.LBB94_4358:
	s_andn2_saveexec_b64 vcc, vcc
	s_cbranch_execz .LBB94_4360
; %bb.4359:
	flat_store_short v[2:3], v4
.LBB94_4360:
	s_or_b64 exec, exec, vcc
                                        ; implicit-def: $vgpr2_vgpr3
                                        ; implicit-def: $vgpr19
                                        ; implicit-def: $vgpr4
.LBB94_4361:
	s_andn2_saveexec_b64 vcc, s[4:5]
	s_cbranch_execz .LBB94_4369
; %bb.4362:
	v_readlane_b32 s4, v43, 53
	v_readlane_b32 s5, v43, 54
	v_cndmask_b32_e64 v19, |v0|, |v19|, s[4:5]
	s_mov_b32 s4, 0x43800000
	v_cmp_gt_u32_e64 s[4:5], s4, v19
	v_mov_b32_e32 v20, 0x80
	s_and_saveexec_b64 s[84:85], s[4:5]
	s_cbranch_execz .LBB94_4368
; %bb.4363:
	s_mov_b32 s4, 0x3bffffff
	v_cmp_lt_u32_e64 s[4:5], s4, v19
	s_mov_b64 s[90:91], 0
                                        ; implicit-def: $vgpr5
	s_and_saveexec_b64 s[76:77], s[4:5]
	s_xor_b64 s[4:5], exec, s[76:77]
	s_cbranch_execnz .LBB94_7925
; %bb.4364:
	s_or_saveexec_b64 s[80:81], s[4:5]
                                        ; implicit-def: $sgpr78
	s_xor_b64 exec, exec, s[80:81]
	s_cbranch_execnz .LBB94_7926
.LBB94_4365:
	s_or_b64 exec, exec, s[80:81]
	v_mov_b32_e32 v20, s78
	s_and_saveexec_b64 s[4:5], s[90:91]
.LBB94_4366:
	v_lshrrev_b32_e32 v4, 24, v4
	s_movk_i32 s76, 0x80
	v_and_or_b32 v20, v4, s76, v5
.LBB94_4367:
	s_or_b64 exec, exec, s[4:5]
.LBB94_4368:
	s_or_b64 exec, exec, s[84:85]
	flat_store_byte v[2:3], v20
.LBB94_4369:
	s_or_b64 exec, exec, vcc
	s_or_b64 s[6:7], s[6:7], exec
.LBB94_4370:
	s_or_b64 exec, exec, s[88:89]
	s_andn2_b64 s[4:5], s[94:95], exec
	s_and_b64 vcc, s[92:93], exec
	s_or_b64 s[92:93], s[4:5], vcc
	s_and_b64 s[6:7], s[6:7], exec
                                        ; implicit-def: $vgpr4
                                        ; implicit-def: $vgpr2_vgpr3
                                        ; implicit-def: $vgpr19
.LBB94_4371:
	v_readlane_b32 s4, v43, 57
	v_readlane_b32 s5, v43, 58
	s_or_saveexec_b64 s[4:5], s[4:5]
	v_writelane_b32 v43, s4, 59
	v_writelane_b32 v43, s5, 60
	s_xor_b64 exec, exec, s[4:5]
	s_cbranch_execz .LBB94_4415
; %bb.4372:
	v_mov_b32_e32 v5, 22
	v_cmp_gt_i16_sdwa vcc, v11, v5 src0_sel:BYTE_0 src1_sel:DWORD
	s_mov_b64 s[4:5], s[6:7]
	s_and_saveexec_b64 s[76:77], vcc
	s_xor_b64 s[88:89], exec, s[76:77]
	s_cbranch_execz .LBB94_4404
; %bb.4373:
	v_mov_b32_e32 v5, 23
	v_cmp_gt_i16_sdwa s[4:5], v11, v5 src0_sel:BYTE_0 src1_sel:DWORD
	s_and_saveexec_b64 vcc, s[4:5]
	s_xor_b64 s[82:83], exec, vcc
	s_cbranch_execz .LBB94_4393
; %bb.4374:
	v_mov_b32_e32 v5, 24
	v_cmp_gt_i16_sdwa s[4:5], v11, v5 src0_sel:BYTE_0 src1_sel:DWORD
	s_and_saveexec_b64 vcc, s[4:5]
	s_xor_b64 s[90:91], exec, vcc
	s_cbranch_execz .LBB94_4382
; %bb.4375:
	v_readlane_b32 s4, v43, 53
	v_readlane_b32 s5, v43, 54
	v_cndmask_b32_e64 v19, |v0|, |v19|, s[4:5]
	s_mov_b32 s4, 0x47800000
	v_cmp_gt_u32_e64 s[4:5], s4, v19
	v_mov_b32_e32 v20, 0x80
	s_and_saveexec_b64 vcc, s[4:5]
	s_cbranch_execz .LBB94_4381
; %bb.4376:
	s_mov_b32 s4, 0x37ffffff
	v_cmp_lt_u32_e64 s[4:5], s4, v19
	s_mov_b64 s[84:85], 0
                                        ; implicit-def: $vgpr5
	s_and_saveexec_b64 s[76:77], s[4:5]
	s_xor_b64 s[4:5], exec, s[76:77]
	s_cbranch_execnz .LBB94_7927
; %bb.4377:
	s_or_saveexec_b64 s[80:81], s[4:5]
                                        ; implicit-def: $sgpr78
	s_xor_b64 exec, exec, s[80:81]
	s_cbranch_execnz .LBB94_7928
.LBB94_4378:
	s_or_b64 exec, exec, s[80:81]
	v_mov_b32_e32 v20, s78
	s_and_saveexec_b64 s[4:5], s[84:85]
.LBB94_4379:
	v_lshrrev_b32_e32 v4, 24, v4
	s_movk_i32 s76, 0x80
	v_and_or_b32 v20, v4, s76, v5
.LBB94_4380:
	s_or_b64 exec, exec, s[4:5]
.LBB94_4381:
	s_or_b64 exec, exec, vcc
	flat_store_byte v[2:3], v20
                                        ; implicit-def: $vgpr4
                                        ; implicit-def: $vgpr2_vgpr3
                                        ; implicit-def: $vgpr19
.LBB94_4382:
	s_andn2_saveexec_b64 vcc, s[90:91]
	s_cbranch_execz .LBB94_4392
; %bb.4383:
	v_readlane_b32 s4, v43, 53
	v_readlane_b32 s5, v43, 54
	v_cndmask_b32_e64 v19, |v0|, |v19|, s[4:5]
	s_mov_b32 s4, 0x43f00000
	v_cmp_gt_u32_e64 s[4:5], s4, v19
                                        ; implicit-def: $vgpr5
	s_and_saveexec_b64 s[76:77], s[4:5]
	s_xor_b64 s[84:85], exec, s[76:77]
	s_cbranch_execz .LBB94_4389
; %bb.4384:
	s_mov_b32 s4, 0x3c7fffff
	v_cmp_lt_u32_e64 s[4:5], s4, v19
                                        ; implicit-def: $vgpr5
	s_and_saveexec_b64 s[76:77], s[4:5]
	s_xor_b64 s[80:81], exec, s[76:77]
; %bb.4385:
	v_bfe_u32 v5, v4, 20, 1
	s_mov_b32 s4, 0x407ffff
	v_add3_u32 v5, v4, v5, s4
	v_lshrrev_b32_e32 v19, 20, v5
	v_and_b32_e32 v5, 0xff00000, v5
	s_mov_b32 s4, 0x7f00000
	v_mov_b32_e32 v20, 0x7e
	v_cmp_ne_u32_e64 s[4:5], s4, v5
	v_cndmask_b32_e64 v5, v20, v19, s[4:5]
                                        ; implicit-def: $vgpr19
; %bb.4386:
	s_andn2_saveexec_b64 s[4:5], s[80:81]
; %bb.4387:
	v_add_f32_e32 v5, 0x46800000, v19
; %bb.4388:
	s_or_b64 exec, exec, s[4:5]
                                        ; implicit-def: $vgpr19
.LBB94_4389:
	s_andn2_saveexec_b64 s[80:81], s[84:85]
; %bb.4390:
	s_mov_b32 s4, 0x7f800000
	v_mov_b32_e32 v5, 0x7e
	v_mov_b32_e32 v20, 0x7f
	v_cmp_lt_u32_e64 s[4:5], s4, v19
	v_cndmask_b32_e64 v5, v5, v20, s[4:5]
; %bb.4391:
	s_or_b64 exec, exec, s[80:81]
	v_lshrrev_b32_e32 v4, 24, v4
	s_movk_i32 s4, 0x80
	v_and_or_b32 v4, v4, s4, v5
	flat_store_byte v[2:3], v4
.LBB94_4392:
	s_or_b64 exec, exec, vcc
                                        ; implicit-def: $vgpr4
                                        ; implicit-def: $vgpr2_vgpr3
                                        ; implicit-def: $vgpr19
.LBB94_4393:
	s_andn2_saveexec_b64 s[4:5], s[82:83]
	s_cbranch_execz .LBB94_4403
; %bb.4394:
	v_readlane_b32 vcc_lo, v43, 53
	v_readlane_b32 vcc_hi, v43, 54
	v_cndmask_b32_e64 v19, |v0|, |v19|, vcc
	s_mov_b32 vcc_lo, 0x47800000
	v_cmp_gt_u32_e32 vcc, vcc_lo, v19
                                        ; implicit-def: $vgpr5
	s_and_saveexec_b64 s[76:77], vcc
	s_xor_b64 s[82:83], exec, s[76:77]
	s_cbranch_execz .LBB94_4400
; %bb.4395:
	s_mov_b32 vcc_lo, 0x387fffff
	v_cmp_lt_u32_e32 vcc, vcc_lo, v19
                                        ; implicit-def: $vgpr5
	s_and_saveexec_b64 s[76:77], vcc
	s_xor_b64 vcc, exec, s[76:77]
; %bb.4396:
	v_bfe_u32 v5, v4, 21, 1
	s_mov_b32 s76, 0x80fffff
	v_add3_u32 v5, v4, v5, s76
	v_lshrrev_b32_e32 v5, 21, v5
                                        ; implicit-def: $vgpr19
; %bb.4397:
	s_andn2_saveexec_b64 vcc, vcc
; %bb.4398:
	v_add_f32_e32 v5, 0x43000000, v19
; %bb.4399:
	s_or_b64 exec, exec, vcc
                                        ; implicit-def: $vgpr19
.LBB94_4400:
	s_andn2_saveexec_b64 s[80:81], s[82:83]
; %bb.4401:
	s_mov_b32 vcc_lo, 0x7f800000
	v_mov_b32_e32 v5, 0x7c
	v_mov_b32_e32 v20, 0x7f
	v_cmp_lt_u32_e32 vcc, vcc_lo, v19
	v_cndmask_b32_e32 v5, v5, v20, vcc
; %bb.4402:
	s_or_b64 exec, exec, s[80:81]
	v_lshrrev_b32_e32 v4, 24, v4
	s_movk_i32 vcc_lo, 0x80
	v_and_or_b32 v4, v4, vcc_lo, v5
	flat_store_byte v[2:3], v4
.LBB94_4403:
	s_or_b64 exec, exec, s[4:5]
	s_or_b64 s[4:5], s[6:7], exec
                                        ; implicit-def: $vgpr4
                                        ; implicit-def: $vgpr2_vgpr3
.LBB94_4404:
	s_or_saveexec_b64 s[88:89], s[88:89]
	s_mov_b64 vcc, s[92:93]
	s_xor_b64 exec, exec, s[88:89]
	s_cbranch_execz .LBB94_4414
; %bb.4405:
	v_mov_b32_e32 v5, 14
	v_cmp_gt_i16_sdwa vcc, v11, v5 src0_sel:BYTE_0 src1_sel:DWORD
	s_mov_b64 s[84:85], s[4:5]
	s_mov_b64 s[90:91], s[92:93]
	s_and_saveexec_b64 s[76:77], vcc
	s_xor_b64 s[82:83], exec, s[76:77]
	s_cbranch_execz .LBB94_4409
; %bb.4406:
	v_mov_b32_e32 v5, 15
	v_cmp_eq_u16_sdwa s[76:77], v11, v5 src0_sel:BYTE_0 src1_sel:DWORD
	s_mov_b64 s[84:85], -1
	s_mov_b64 vcc, s[4:5]
	s_and_saveexec_b64 s[80:81], s[76:77]
	s_cbranch_execz .LBB94_4408
; %bb.4407:
	v_bfe_u32 v5, v4, 16, 1
	s_movk_i32 vcc_lo, 0x7fff
	v_add3_u32 v5, v4, v5, vcc_lo
	v_lshrrev_b32_e32 v5, 16, v5
	v_mov_b32_e32 v19, 0x7fc0
	v_cmp_o_f32_e32 vcc, v4, v4
	v_cndmask_b32_e32 v4, v19, v5, vcc
	flat_store_short v[2:3], v4
	s_xor_b64 s[84:85], exec, -1
	s_or_b64 vcc, s[4:5], exec
.LBB94_4408:
	s_or_b64 exec, exec, s[80:81]
	s_andn2_b64 s[76:77], s[92:93], exec
	s_and_b64 s[78:79], s[84:85], exec
	s_or_b64 s[90:91], s[76:77], s[78:79]
	s_andn2_b64 s[76:77], s[4:5], exec
	s_and_b64 vcc, vcc, exec
	s_or_b64 s[84:85], s[76:77], vcc
                                        ; implicit-def: $vgpr4
                                        ; implicit-def: $vgpr2_vgpr3
.LBB94_4409:
	s_andn2_saveexec_b64 s[82:83], s[82:83]
	s_cbranch_execz .LBB94_4413
; %bb.4410:
	v_mov_b32_e32 v5, 11
	v_cmp_eq_u16_sdwa s[76:77], v11, v5 src0_sel:BYTE_0 src1_sel:DWORD
	s_mov_b64 s[80:81], -1
	s_mov_b64 vcc, s[84:85]
	s_and_saveexec_b64 s[78:79], s[76:77]
	s_cbranch_execz .LBB94_4412
; %bb.4411:
	v_cmp_neq_f32_e32 vcc, 0, v4
	v_cndmask_b32_e64 v4, 0, 1, vcc
	flat_store_byte v[2:3], v4
	s_xor_b64 s[80:81], exec, -1
	s_or_b64 vcc, s[84:85], exec
.LBB94_4412:
	s_or_b64 exec, exec, s[78:79]
	s_andn2_b64 s[76:77], s[90:91], exec
	s_and_b64 s[78:79], s[80:81], exec
	s_or_b64 s[90:91], s[76:77], s[78:79]
	s_andn2_b64 s[76:77], s[84:85], exec
	s_and_b64 vcc, vcc, exec
	s_or_b64 s[84:85], s[76:77], vcc
.LBB94_4413:
	s_or_b64 exec, exec, s[82:83]
	s_andn2_b64 vcc, s[92:93], exec
	s_and_b64 s[76:77], s[90:91], exec
	s_or_b64 vcc, vcc, s[76:77]
	s_andn2_b64 s[4:5], s[4:5], exec
	s_and_b64 s[76:77], s[84:85], exec
	s_or_b64 s[4:5], s[4:5], s[76:77]
.LBB94_4414:
	s_or_b64 exec, exec, s[88:89]
	s_andn2_b64 s[76:77], s[92:93], exec
	s_and_b64 vcc, vcc, exec
	s_andn2_b64 s[6:7], s[6:7], exec
	s_and_b64 s[4:5], s[4:5], exec
	s_or_b64 s[92:93], s[76:77], vcc
	s_or_b64 s[6:7], s[6:7], s[4:5]
.LBB94_4415:
	v_readlane_b32 s4, v43, 59
	v_readlane_b32 s5, v43, 60
	s_or_b64 exec, exec, s[4:5]
	s_andn2_b64 s[4:5], s[94:95], exec
	s_and_b64 vcc, s[92:93], exec
	s_or_b64 s[4:5], s[4:5], vcc
	s_and_b64 s[6:7], s[6:7], exec
                                        ; implicit-def: $vgpr4
                                        ; implicit-def: $vgpr2_vgpr3
.LBB94_4416:
	v_readlane_b32 vcc_lo, v43, 55
	v_readlane_b32 vcc_hi, v43, 56
	s_andn2_saveexec_b64 s[92:93], vcc
	s_cbranch_execz .LBB94_4458
; %bb.4417:
	v_mov_b32_e32 v5, 4
	v_cmp_gt_i16_sdwa vcc, v11, v5 src0_sel:BYTE_0 src1_sel:DWORD
	s_and_saveexec_b64 s[76:77], vcc
	s_xor_b64 vcc, exec, s[76:77]
	s_cbranch_execz .LBB94_4439
; %bb.4418:
	v_mov_b32_e32 v5, 7
	v_cmp_gt_i16_sdwa s[76:77], v11, v5 src0_sel:BYTE_0 src1_sel:DWORD
	s_and_saveexec_b64 s[78:79], s[76:77]
	s_xor_b64 s[84:85], exec, s[78:79]
	s_cbranch_execz .LBB94_4428
; %bb.4419:
	v_mov_b32_e32 v5, 8
	v_cmp_gt_i16_sdwa s[76:77], v11, v5 src0_sel:BYTE_0 src1_sel:DWORD
	s_and_saveexec_b64 s[78:79], s[76:77]
	s_xor_b64 s[88:89], exec, s[78:79]
	;; [unrolled: 6-line block ×3, first 2 shown]
	s_cbranch_execz .LBB94_4422
; %bb.4421:
	v_mov_b32_e32 v22, 0
	v_cvt_f64_f32_e32 v[20:21], v4
	v_mov_b32_e32 v23, v22
	flat_store_dwordx4 v[2:3], v[20:23]
                                        ; implicit-def: $vgpr4
                                        ; implicit-def: $vgpr2_vgpr3
.LBB94_4422:
	s_andn2_saveexec_b64 s[78:79], s[80:81]
	s_cbranch_execz .LBB94_4424
; %bb.4423:
	v_mov_b32_e32 v5, 0
	flat_store_dwordx2 v[2:3], v[4:5]
.LBB94_4424:
	s_or_b64 exec, exec, s[78:79]
                                        ; implicit-def: $vgpr4
                                        ; implicit-def: $vgpr2_vgpr3
.LBB94_4425:
	s_andn2_saveexec_b64 s[78:79], s[88:89]
	s_cbranch_execz .LBB94_4427
; %bb.4426:
	v_cvt_f16_f32_e32 v4, v4
	flat_store_dword v[2:3], v4
.LBB94_4427:
	s_or_b64 exec, exec, s[78:79]
                                        ; implicit-def: $vgpr4
                                        ; implicit-def: $vgpr2_vgpr3
.LBB94_4428:
	s_andn2_saveexec_b64 s[84:85], s[84:85]
	s_cbranch_execz .LBB94_4438
; %bb.4429:
	v_mov_b32_e32 v5, 5
	v_cmp_gt_i16_sdwa s[76:77], v11, v5 src0_sel:BYTE_0 src1_sel:DWORD
	s_and_saveexec_b64 s[78:79], s[76:77]
	s_xor_b64 s[80:81], exec, s[78:79]
	s_cbranch_execz .LBB94_4435
; %bb.4430:
	v_mov_b32_e32 v5, 6
	v_cmp_gt_i16_sdwa s[76:77], v11, v5 src0_sel:BYTE_0 src1_sel:DWORD
	s_and_saveexec_b64 s[78:79], s[76:77]
	s_xor_b64 s[78:79], exec, s[78:79]
	s_cbranch_execz .LBB94_4432
; %bb.4431:
	v_cvt_f64_f32_e32 v[4:5], v4
	flat_store_dwordx2 v[2:3], v[4:5]
                                        ; implicit-def: $vgpr2_vgpr3
                                        ; implicit-def: $vgpr4
.LBB94_4432:
	s_andn2_saveexec_b64 s[78:79], s[78:79]
	s_cbranch_execz .LBB94_4434
; %bb.4433:
	flat_store_dword v[2:3], v4
.LBB94_4434:
	s_or_b64 exec, exec, s[78:79]
                                        ; implicit-def: $vgpr4
                                        ; implicit-def: $vgpr2_vgpr3
.LBB94_4435:
	s_andn2_saveexec_b64 s[78:79], s[80:81]
	s_cbranch_execz .LBB94_4437
; %bb.4436:
	v_cvt_f16_f32_e32 v4, v4
	flat_store_short v[2:3], v4
.LBB94_4437:
	s_or_b64 exec, exec, s[78:79]
.LBB94_4438:
	s_or_b64 exec, exec, s[84:85]
                                        ; implicit-def: $vgpr4
                                        ; implicit-def: $vgpr2_vgpr3
.LBB94_4439:
	s_andn2_saveexec_b64 s[88:89], vcc
	s_cbranch_execz .LBB94_4457
; %bb.4440:
	v_mov_b32_e32 v5, 1
	v_cmp_gt_i16_sdwa vcc, v11, v5 src0_sel:BYTE_0 src1_sel:DWORD
	s_and_saveexec_b64 s[76:77], vcc
	s_xor_b64 s[90:91], exec, s[76:77]
	s_cbranch_execz .LBB94_4450
; %bb.4441:
	v_mov_b32_e32 v5, 2
	v_cmp_gt_i16_sdwa vcc, v11, v5 src0_sel:BYTE_0 src1_sel:DWORD
	s_and_saveexec_b64 s[76:77], vcc
	s_xor_b64 s[84:85], exec, s[76:77]
	;; [unrolled: 6-line block ×3, first 2 shown]
	s_cbranch_execz .LBB94_4444
; %bb.4443:
	v_trunc_f32_e32 v4, v4
	s_mov_b32 s76, 0x2f800000
	v_mul_f32_e64 v5, |v4|, s76
	v_floor_f32_e32 v5, v5
	s_mov_b32 s76, 0xcf800000
	v_cvt_u32_f32_e32 v19, v5
	v_fma_f32 v5, v5, s76, |v4|
	v_cvt_u32_f32_e32 v5, v5
	v_ashrrev_i32_e32 v20, 31, v4
	v_xor_b32_e32 v19, v19, v20
	v_xor_b32_e32 v4, v5, v20
	v_sub_co_u32_e32 v4, vcc, v4, v20
	v_subb_co_u32_e32 v5, vcc, v19, v20, vcc
	flat_store_dwordx2 v[2:3], v[4:5]
                                        ; implicit-def: $vgpr4
                                        ; implicit-def: $vgpr2_vgpr3
.LBB94_4444:
	s_andn2_saveexec_b64 vcc, s[80:81]
	s_cbranch_execz .LBB94_4446
; %bb.4445:
	v_cvt_i32_f32_e32 v4, v4
	flat_store_dword v[2:3], v4
.LBB94_4446:
	s_or_b64 exec, exec, vcc
                                        ; implicit-def: $vgpr4
                                        ; implicit-def: $vgpr2_vgpr3
.LBB94_4447:
	s_andn2_saveexec_b64 vcc, s[84:85]
	s_cbranch_execz .LBB94_4449
; %bb.4448:
	v_cvt_i32_f32_e32 v4, v4
	flat_store_short v[2:3], v4
.LBB94_4449:
	s_or_b64 exec, exec, vcc
                                        ; implicit-def: $vgpr4
                                        ; implicit-def: $vgpr2_vgpr3
.LBB94_4450:
	s_andn2_saveexec_b64 vcc, s[90:91]
	s_cbranch_execz .LBB94_4456
; %bb.4451:
	v_mov_b32_e32 v5, 0
	v_cmp_gt_i16_sdwa s[76:77], v11, v5 src0_sel:BYTE_0 src1_sel:DWORD
	s_and_saveexec_b64 s[78:79], s[76:77]
	s_xor_b64 s[78:79], exec, s[78:79]
	s_cbranch_execz .LBB94_4453
; %bb.4452:
	v_cvt_i32_f32_e32 v4, v4
	flat_store_byte v[2:3], v4
                                        ; implicit-def: $vgpr4
                                        ; implicit-def: $vgpr2_vgpr3
.LBB94_4453:
	s_andn2_saveexec_b64 s[80:81], s[78:79]
	s_cbranch_execz .LBB94_4455
; %bb.4454:
	v_trunc_f32_e32 v4, v4
	s_mov_b32 s76, 0x2f800000
	v_mul_f32_e64 v5, |v4|, s76
	v_floor_f32_e32 v5, v5
	s_mov_b32 s76, 0xcf800000
	v_fma_f32 v5, v5, s76, |v4|
	v_cvt_u32_f32_e32 v5, v5
	v_ashrrev_i32_e32 v4, 31, v4
	v_xor_b32_e32 v5, v5, v4
	v_sub_u32_e32 v4, v5, v4
	flat_store_byte v[2:3], v4
.LBB94_4455:
	s_or_b64 exec, exec, s[80:81]
.LBB94_4456:
	s_or_b64 exec, exec, vcc
.LBB94_4457:
	s_or_b64 exec, exec, s[88:89]
	s_or_b64 s[6:7], s[6:7], exec
.LBB94_4458:
	s_or_b64 exec, exec, s[92:93]
	s_mov_b64 vcc, 0
	s_and_saveexec_b64 s[78:79], s[6:7]
; %bb.4459:
	s_mov_b64 vcc, exec
	v_add_u32_e32 v14, 0x200, v14
; %bb.4460:
	s_or_b64 exec, exec, s[78:79]
	s_andn2_b64 s[6:7], s[94:95], exec
	s_and_b64 s[4:5], s[4:5], exec
	s_or_b64 s[4:5], s[6:7], s[4:5]
	v_writelane_b32 v43, s4, 49
	v_writelane_b32 v43, s5, 50
	s_orn2_b64 s[80:81], vcc, exec
.LBB94_4461:
	s_or_b64 exec, exec, s[96:97]
	s_mov_b64 s[4:5], 0
	s_mov_b64 s[6:7], 0
	s_mov_b64 vcc, 0
                                        ; implicit-def: $vgpr2
                                        ; implicit-def: $vgpr103
                                        ; implicit-def: $vgpr4_vgpr5
	s_mov_b64 s[76:77], exec
	v_writelane_b32 v43, s76, 51
	v_writelane_b32 v43, s77, 52
	s_and_b64 s[76:77], s[76:77], s[80:81]
	s_mov_b64 exec, s[76:77]
	s_cbranch_execz .LBB94_4935
; %bb.4462:
	v_readlane_b32 s4, v43, 49
	v_readlane_b32 s5, v43, 50
	v_cmp_lt_i32_e32 vcc, v14, v6
	s_mov_b64 s[80:81], -1
	v_writelane_b32 v43, s4, 61
	v_writelane_b32 v43, s5, 62
	s_and_saveexec_b64 s[96:97], vcc
                                        ; implicit-def: $vgpr42 : SGPR spill to VGPR lane
	s_cbranch_execz .LBB94_4590
; %bb.4463:
	v_readlane_b32 s4, v44, 1
	v_or_b32_e32 v4, 0x3800, v13
	v_add_u32_e32 v2, s4, v14
	v_cmp_lt_i32_e64 s[4:5], v4, v6
	v_mul_lo_u32 v2, v2, v12
	v_writelane_b32 v42, s4, 1
	v_add_co_u32_e32 v2, vcc, v0, v2
	v_writelane_b32 v42, s5, 2
	s_brev_b32 s4, -2
	v_addc_co_u32_e32 v3, vcc, 0, v1, vcc
	s_waitcnt vmcnt(0)
	v_bfi_b32 v4, s4, v17, v18
	v_mov_b32_e32 v5, 10
	v_readlane_b32 s4, v43, 49
	v_cmp_gt_i16_sdwa vcc, v11, v5 src0_sel:BYTE_0 src1_sel:DWORD
	v_readlane_b32 s5, v43, 50
	s_and_saveexec_b64 s[76:77], vcc
	s_xor_b64 s[76:77], exec, s[76:77]
	v_writelane_b32 v42, s76, 3
	v_writelane_b32 v42, s77, 4
	s_cbranch_execz .LBB94_4545
; %bb.4464:
	v_mov_b32_e32 v5, 25
	v_readlane_b32 s92, v43, 49
	v_cmp_gt_i16_sdwa s[4:5], v11, v5 src0_sel:BYTE_0 src1_sel:DWORD
	v_readlane_b32 s93, v43, 50
	s_and_saveexec_b64 vcc, s[4:5]
	s_xor_b64 vcc, exec, vcc
	v_writelane_b32 v42, vcc_lo, 5
	v_writelane_b32 v42, vcc_hi, 6
	s_cbranch_execz .LBB94_4500
; %bb.4465:
	v_mov_b32_e32 v5, 28
	v_readlane_b32 s92, v43, 49
	v_cmp_gt_i16_sdwa s[4:5], v11, v5 src0_sel:BYTE_0 src1_sel:DWORD
	v_readlane_b32 s93, v43, 50
	s_and_saveexec_b64 vcc, s[4:5]
	s_xor_b64 s[88:89], exec, vcc
	s_cbranch_execz .LBB94_4483
; %bb.4466:
	v_mov_b32_e32 v5, 43
	v_readlane_b32 s6, v43, 49
	v_cmp_gt_i16_sdwa vcc, v11, v5 src0_sel:BYTE_0 src1_sel:DWORD
	s_mov_b64 s[4:5], 0
	v_readlane_b32 s7, v43, 50
	s_and_saveexec_b64 s[76:77], vcc
	s_xor_b64 s[78:79], exec, s[76:77]
	s_cbranch_execz .LBB94_4478
; %bb.4467:
	v_mov_b32_e32 v5, 45
	v_readlane_b32 s4, v43, 49
	v_cmp_gt_i16_sdwa s[6:7], v11, v5 src0_sel:BYTE_0 src1_sel:DWORD
	s_mov_b64 s[92:93], 0
	v_readlane_b32 s5, v43, 50
	s_and_saveexec_b64 vcc, s[6:7]
	s_xor_b64 s[6:7], exec, vcc
	s_cbranch_execz .LBB94_4471
; %bb.4468:
	v_mov_b32_e32 v5, 46
	v_cmp_eq_u16_sdwa s[76:77], v11, v5 src0_sel:BYTE_0 src1_sel:DWORD
	s_mov_b64 vcc, 0
	s_mov_b64 s[4:5], -1
	s_and_saveexec_b64 s[80:81], s[76:77]
	s_cbranch_execz .LBB94_4470
; %bb.4469:
	v_bfe_u32 v5, v4, 16, 1
	s_movk_i32 s4, 0x7fff
	v_add3_u32 v5, v4, v5, s4
	v_lshrrev_b32_e32 v5, 16, v5
	v_mov_b32_e32 v17, 0x7fc0
	v_cmp_o_f32_e64 s[4:5], v4, v4
	v_cndmask_b32_e64 v4, v17, v5, s[4:5]
	s_mov_b64 vcc, exec
	flat_store_dword v[2:3], v4
	s_xor_b64 s[4:5], exec, -1
.LBB94_4470:
	s_or_b64 exec, exec, s[80:81]
	v_readlane_b32 s76, v43, 49
	v_readlane_b32 s77, v43, 50
	s_andn2_b64 s[76:77], s[76:77], exec
	s_and_b64 s[4:5], s[4:5], exec
	s_or_b64 s[4:5], s[76:77], s[4:5]
	s_and_b64 s[92:93], vcc, exec
                                        ; implicit-def: $vgpr2_vgpr3
                                        ; implicit-def: $vgpr4
.LBB94_4471:
	s_andn2_saveexec_b64 s[84:85], s[6:7]
	s_cbranch_execz .LBB94_4477
; %bb.4472:
	v_mov_b32_e32 v5, 44
	v_cmp_eq_u16_sdwa s[76:77], v11, v5 src0_sel:BYTE_0 src1_sel:DWORD
	s_mov_b64 vcc, -1
	s_mov_b64 s[6:7], s[92:93]
	s_and_saveexec_b64 s[80:81], s[76:77]
	s_cbranch_execz .LBB94_4476
; %bb.4473:
	v_bfe_u32 v5, v4, 23, 8
	s_movk_i32 s6, 0xff
	v_cmp_ne_u32_e32 vcc, s6, v5
	v_mov_b32_e32 v17, 0xff
	s_and_saveexec_b64 s[82:83], vcc
; %bb.4474:
	s_mov_b32 s6, 0x3fffff
	v_lshrrev_b32_e32 v17, 23, v4
	v_and_b32_e32 v18, 0x400000, v4
	v_and_or_b32 v4, v4, s6, v5
	v_cmp_ne_u32_e32 vcc, 0, v18
	v_cmp_ne_u32_e64 s[6:7], 0, v4
	s_and_b64 s[6:7], vcc, s[6:7]
	v_cndmask_b32_e64 v4, 0, 1, s[6:7]
	v_add_u32_e32 v17, v17, v4
; %bb.4475:
	s_or_b64 exec, exec, s[82:83]
	s_xor_b64 vcc, exec, -1
	s_or_b64 s[6:7], s[92:93], exec
	flat_store_byte v[2:3], v17
.LBB94_4476:
	s_or_b64 exec, exec, s[80:81]
	s_andn2_b64 s[4:5], s[4:5], exec
	s_and_b64 vcc, vcc, exec
	s_or_b64 s[4:5], s[4:5], vcc
	s_andn2_b64 vcc, s[92:93], exec
	s_and_b64 s[6:7], s[6:7], exec
	s_or_b64 s[92:93], vcc, s[6:7]
.LBB94_4477:
	s_or_b64 exec, exec, s[84:85]
	v_readlane_b32 s6, v43, 49
	v_readlane_b32 s7, v43, 50
	s_andn2_b64 s[6:7], s[6:7], exec
	s_and_b64 s[4:5], s[4:5], exec
	s_or_b64 s[6:7], s[6:7], s[4:5]
	s_and_b64 s[4:5], s[92:93], exec
                                        ; implicit-def: $vgpr4
                                        ; implicit-def: $vgpr2_vgpr3
.LBB94_4478:
	s_andn2_saveexec_b64 vcc, s[78:79]
	s_cbranch_execz .LBB94_4482
; %bb.4479:
	v_mov_b32_e32 v5, 29
	v_cmp_eq_u16_sdwa s[76:77], v11, v5 src0_sel:BYTE_0 src1_sel:DWORD
	s_mov_b64 s[84:85], -1
	s_mov_b64 s[82:83], s[4:5]
	s_and_saveexec_b64 s[80:81], s[76:77]
	s_cbranch_execz .LBB94_4481
; %bb.4480:
	v_trunc_f32_e32 v4, v4
	v_mul_f32_e32 v5, 0x2f800000, v4
	v_floor_f32_e32 v17, v5
	v_fmac_f32_e32 v4, 0xcf800000, v17
	v_cvt_u32_f32_e32 v5, v17
	v_cvt_u32_f32_e32 v4, v4
	s_xor_b64 s[84:85], exec, -1
	s_or_b64 s[82:83], s[4:5], exec
	flat_store_dwordx2 v[2:3], v[4:5]
.LBB94_4481:
	s_or_b64 exec, exec, s[80:81]
	s_andn2_b64 s[6:7], s[6:7], exec
	s_and_b64 s[76:77], s[84:85], exec
	s_or_b64 s[6:7], s[6:7], s[76:77]
	s_andn2_b64 s[4:5], s[4:5], exec
	s_and_b64 s[76:77], s[82:83], exec
	s_or_b64 s[4:5], s[4:5], s[76:77]
.LBB94_4482:
	s_or_b64 exec, exec, vcc
	v_readlane_b32 vcc_lo, v43, 49
	v_readlane_b32 vcc_hi, v43, 50
	s_andn2_b64 vcc, vcc, exec
	s_and_b64 s[6:7], s[6:7], exec
	s_or_b64 s[92:93], vcc, s[6:7]
	s_and_b64 s[6:7], s[4:5], exec
                                        ; implicit-def: $vgpr2_vgpr3
                                        ; implicit-def: $vgpr17
                                        ; implicit-def: $vgpr4
.LBB94_4483:
	s_andn2_saveexec_b64 s[88:89], s[88:89]
	s_cbranch_execz .LBB94_4499
; %bb.4484:
	v_mov_b32_e32 v5, 26
	v_cmp_gt_i16_sdwa s[4:5], v11, v5 src0_sel:BYTE_0 src1_sel:DWORD
	s_and_saveexec_b64 vcc, s[4:5]
	s_xor_b64 s[4:5], exec, vcc
	s_cbranch_execz .LBB94_4490
; %bb.4485:
	v_cvt_u32_f32_e32 v4, v4
	v_mov_b32_e32 v5, 27
	v_cmp_gt_i16_sdwa vcc, v11, v5 src0_sel:BYTE_0 src1_sel:DWORD
	s_and_saveexec_b64 s[76:77], vcc
	s_xor_b64 vcc, exec, s[76:77]
	s_cbranch_execz .LBB94_4487
; %bb.4486:
	flat_store_dword v[2:3], v4
                                        ; implicit-def: $vgpr2_vgpr3
                                        ; implicit-def: $vgpr4
.LBB94_4487:
	s_andn2_saveexec_b64 vcc, vcc
	s_cbranch_execz .LBB94_4489
; %bb.4488:
	flat_store_short v[2:3], v4
.LBB94_4489:
	s_or_b64 exec, exec, vcc
                                        ; implicit-def: $vgpr2_vgpr3
                                        ; implicit-def: $vgpr17
                                        ; implicit-def: $vgpr4
.LBB94_4490:
	s_andn2_saveexec_b64 vcc, s[4:5]
	s_cbranch_execz .LBB94_4498
; %bb.4491:
	v_readlane_b32 s4, v42, 1
	v_readlane_b32 s5, v42, 2
	v_cndmask_b32_e64 v17, |v0|, |v17|, s[4:5]
	s_mov_b32 s4, 0x43800000
	v_cmp_gt_u32_e64 s[4:5], s4, v17
	v_mov_b32_e32 v18, 0x80
	s_and_saveexec_b64 s[84:85], s[4:5]
	s_cbranch_execz .LBB94_4497
; %bb.4492:
	s_mov_b32 s4, 0x3bffffff
	v_cmp_lt_u32_e64 s[4:5], s4, v17
	s_mov_b64 s[90:91], 0
                                        ; implicit-def: $vgpr5
	s_and_saveexec_b64 s[76:77], s[4:5]
	s_xor_b64 s[4:5], exec, s[76:77]
	s_cbranch_execnz .LBB94_7929
; %bb.4493:
	s_or_saveexec_b64 s[80:81], s[4:5]
                                        ; implicit-def: $sgpr78
	s_xor_b64 exec, exec, s[80:81]
	s_cbranch_execnz .LBB94_7930
.LBB94_4494:
	s_or_b64 exec, exec, s[80:81]
	v_mov_b32_e32 v18, s78
	s_and_saveexec_b64 s[4:5], s[90:91]
.LBB94_4495:
	v_lshrrev_b32_e32 v4, 24, v4
	s_movk_i32 s76, 0x80
	v_and_or_b32 v18, v4, s76, v5
.LBB94_4496:
	s_or_b64 exec, exec, s[4:5]
.LBB94_4497:
	s_or_b64 exec, exec, s[84:85]
	flat_store_byte v[2:3], v18
.LBB94_4498:
	s_or_b64 exec, exec, vcc
	s_or_b64 s[6:7], s[6:7], exec
.LBB94_4499:
	s_or_b64 exec, exec, s[88:89]
	v_readlane_b32 s4, v43, 49
	v_readlane_b32 s5, v43, 50
	s_andn2_b64 s[4:5], s[4:5], exec
	s_and_b64 vcc, s[92:93], exec
	s_or_b64 s[92:93], s[4:5], vcc
	s_and_b64 s[6:7], s[6:7], exec
                                        ; implicit-def: $vgpr4
                                        ; implicit-def: $vgpr2_vgpr3
                                        ; implicit-def: $vgpr17
.LBB94_4500:
	v_readlane_b32 s4, v42, 5
	v_readlane_b32 s5, v42, 6
	s_or_saveexec_b64 s[4:5], s[4:5]
	v_writelane_b32 v42, s4, 7
	v_writelane_b32 v42, s5, 8
	s_xor_b64 exec, exec, s[4:5]
	s_cbranch_execz .LBB94_4544
; %bb.4501:
	v_mov_b32_e32 v5, 22
	v_cmp_gt_i16_sdwa vcc, v11, v5 src0_sel:BYTE_0 src1_sel:DWORD
	s_mov_b64 s[4:5], s[6:7]
	s_and_saveexec_b64 s[76:77], vcc
	s_xor_b64 s[88:89], exec, s[76:77]
	s_cbranch_execz .LBB94_4533
; %bb.4502:
	v_mov_b32_e32 v5, 23
	v_cmp_gt_i16_sdwa s[4:5], v11, v5 src0_sel:BYTE_0 src1_sel:DWORD
	s_and_saveexec_b64 vcc, s[4:5]
	s_xor_b64 s[82:83], exec, vcc
	s_cbranch_execz .LBB94_4522
; %bb.4503:
	v_mov_b32_e32 v5, 24
	v_cmp_gt_i16_sdwa s[4:5], v11, v5 src0_sel:BYTE_0 src1_sel:DWORD
	s_and_saveexec_b64 vcc, s[4:5]
	s_xor_b64 s[90:91], exec, vcc
	s_cbranch_execz .LBB94_4511
; %bb.4504:
	v_readlane_b32 s4, v42, 1
	v_readlane_b32 s5, v42, 2
	v_cndmask_b32_e64 v17, |v0|, |v17|, s[4:5]
	s_mov_b32 s4, 0x47800000
	v_cmp_gt_u32_e64 s[4:5], s4, v17
	v_mov_b32_e32 v18, 0x80
	s_and_saveexec_b64 vcc, s[4:5]
	s_cbranch_execz .LBB94_4510
; %bb.4505:
	s_mov_b32 s4, 0x37ffffff
	v_cmp_lt_u32_e64 s[4:5], s4, v17
	s_mov_b64 s[84:85], 0
                                        ; implicit-def: $vgpr5
	s_and_saveexec_b64 s[76:77], s[4:5]
	s_xor_b64 s[4:5], exec, s[76:77]
	s_cbranch_execnz .LBB94_7931
; %bb.4506:
	s_or_saveexec_b64 s[80:81], s[4:5]
                                        ; implicit-def: $sgpr78
	s_xor_b64 exec, exec, s[80:81]
	s_cbranch_execnz .LBB94_7932
.LBB94_4507:
	s_or_b64 exec, exec, s[80:81]
	v_mov_b32_e32 v18, s78
	s_and_saveexec_b64 s[4:5], s[84:85]
.LBB94_4508:
	v_lshrrev_b32_e32 v4, 24, v4
	s_movk_i32 s76, 0x80
	v_and_or_b32 v18, v4, s76, v5
.LBB94_4509:
	s_or_b64 exec, exec, s[4:5]
.LBB94_4510:
	s_or_b64 exec, exec, vcc
	flat_store_byte v[2:3], v18
                                        ; implicit-def: $vgpr4
                                        ; implicit-def: $vgpr2_vgpr3
                                        ; implicit-def: $vgpr17
.LBB94_4511:
	s_andn2_saveexec_b64 vcc, s[90:91]
	s_cbranch_execz .LBB94_4521
; %bb.4512:
	v_readlane_b32 s4, v42, 1
	v_readlane_b32 s5, v42, 2
	v_cndmask_b32_e64 v17, |v0|, |v17|, s[4:5]
	s_mov_b32 s4, 0x43f00000
	v_cmp_gt_u32_e64 s[4:5], s4, v17
                                        ; implicit-def: $vgpr5
	s_and_saveexec_b64 s[76:77], s[4:5]
	s_xor_b64 s[84:85], exec, s[76:77]
	s_cbranch_execz .LBB94_4518
; %bb.4513:
	s_mov_b32 s4, 0x3c7fffff
	v_cmp_lt_u32_e64 s[4:5], s4, v17
                                        ; implicit-def: $vgpr5
	s_and_saveexec_b64 s[76:77], s[4:5]
	s_xor_b64 s[80:81], exec, s[76:77]
; %bb.4514:
	v_bfe_u32 v5, v4, 20, 1
	s_mov_b32 s4, 0x407ffff
	v_add3_u32 v5, v4, v5, s4
	v_lshrrev_b32_e32 v17, 20, v5
	v_and_b32_e32 v5, 0xff00000, v5
	s_mov_b32 s4, 0x7f00000
	v_mov_b32_e32 v18, 0x7e
	v_cmp_ne_u32_e64 s[4:5], s4, v5
	v_cndmask_b32_e64 v5, v18, v17, s[4:5]
                                        ; implicit-def: $vgpr17
; %bb.4515:
	s_andn2_saveexec_b64 s[4:5], s[80:81]
; %bb.4516:
	v_add_f32_e32 v5, 0x46800000, v17
; %bb.4517:
	s_or_b64 exec, exec, s[4:5]
                                        ; implicit-def: $vgpr17
.LBB94_4518:
	s_andn2_saveexec_b64 s[80:81], s[84:85]
; %bb.4519:
	s_mov_b32 s4, 0x7f800000
	v_mov_b32_e32 v5, 0x7e
	v_mov_b32_e32 v18, 0x7f
	v_cmp_lt_u32_e64 s[4:5], s4, v17
	v_cndmask_b32_e64 v5, v5, v18, s[4:5]
; %bb.4520:
	s_or_b64 exec, exec, s[80:81]
	v_lshrrev_b32_e32 v4, 24, v4
	s_movk_i32 s4, 0x80
	v_and_or_b32 v4, v4, s4, v5
	flat_store_byte v[2:3], v4
.LBB94_4521:
	s_or_b64 exec, exec, vcc
                                        ; implicit-def: $vgpr4
                                        ; implicit-def: $vgpr2_vgpr3
                                        ; implicit-def: $vgpr17
.LBB94_4522:
	s_andn2_saveexec_b64 s[4:5], s[82:83]
	s_cbranch_execz .LBB94_4532
; %bb.4523:
	v_readlane_b32 vcc_lo, v42, 1
	v_readlane_b32 vcc_hi, v42, 2
	v_cndmask_b32_e64 v17, |v0|, |v17|, vcc
	s_mov_b32 vcc_lo, 0x47800000
	v_cmp_gt_u32_e32 vcc, vcc_lo, v17
                                        ; implicit-def: $vgpr5
	s_and_saveexec_b64 s[76:77], vcc
	s_xor_b64 s[82:83], exec, s[76:77]
	s_cbranch_execz .LBB94_4529
; %bb.4524:
	s_mov_b32 vcc_lo, 0x387fffff
	v_cmp_lt_u32_e32 vcc, vcc_lo, v17
                                        ; implicit-def: $vgpr5
	s_and_saveexec_b64 s[76:77], vcc
	s_xor_b64 vcc, exec, s[76:77]
; %bb.4525:
	v_bfe_u32 v5, v4, 21, 1
	s_mov_b32 s76, 0x80fffff
	v_add3_u32 v5, v4, v5, s76
	v_lshrrev_b32_e32 v5, 21, v5
                                        ; implicit-def: $vgpr17
; %bb.4526:
	s_andn2_saveexec_b64 vcc, vcc
; %bb.4527:
	v_add_f32_e32 v5, 0x43000000, v17
; %bb.4528:
	s_or_b64 exec, exec, vcc
                                        ; implicit-def: $vgpr17
.LBB94_4529:
	s_andn2_saveexec_b64 s[80:81], s[82:83]
; %bb.4530:
	s_mov_b32 vcc_lo, 0x7f800000
	v_mov_b32_e32 v5, 0x7c
	v_mov_b32_e32 v18, 0x7f
	v_cmp_lt_u32_e32 vcc, vcc_lo, v17
	v_cndmask_b32_e32 v5, v5, v18, vcc
; %bb.4531:
	s_or_b64 exec, exec, s[80:81]
	v_lshrrev_b32_e32 v4, 24, v4
	s_movk_i32 vcc_lo, 0x80
	v_and_or_b32 v4, v4, vcc_lo, v5
	flat_store_byte v[2:3], v4
.LBB94_4532:
	s_or_b64 exec, exec, s[4:5]
	s_or_b64 s[4:5], s[6:7], exec
                                        ; implicit-def: $vgpr4
                                        ; implicit-def: $vgpr2_vgpr3
.LBB94_4533:
	s_or_saveexec_b64 s[88:89], s[88:89]
	s_mov_b64 vcc, s[92:93]
	s_xor_b64 exec, exec, s[88:89]
	s_cbranch_execz .LBB94_4543
; %bb.4534:
	v_mov_b32_e32 v5, 14
	v_cmp_gt_i16_sdwa vcc, v11, v5 src0_sel:BYTE_0 src1_sel:DWORD
	s_mov_b64 s[84:85], s[4:5]
	s_mov_b64 s[90:91], s[92:93]
	s_and_saveexec_b64 s[76:77], vcc
	s_xor_b64 s[82:83], exec, s[76:77]
	s_cbranch_execz .LBB94_4538
; %bb.4535:
	v_mov_b32_e32 v5, 15
	v_cmp_eq_u16_sdwa s[76:77], v11, v5 src0_sel:BYTE_0 src1_sel:DWORD
	s_mov_b64 s[84:85], -1
	s_mov_b64 vcc, s[4:5]
	s_and_saveexec_b64 s[80:81], s[76:77]
	s_cbranch_execz .LBB94_4537
; %bb.4536:
	v_bfe_u32 v5, v4, 16, 1
	s_movk_i32 vcc_lo, 0x7fff
	v_add3_u32 v5, v4, v5, vcc_lo
	v_lshrrev_b32_e32 v5, 16, v5
	v_mov_b32_e32 v17, 0x7fc0
	v_cmp_o_f32_e32 vcc, v4, v4
	v_cndmask_b32_e32 v4, v17, v5, vcc
	flat_store_short v[2:3], v4
	s_xor_b64 s[84:85], exec, -1
	s_or_b64 vcc, s[4:5], exec
.LBB94_4537:
	s_or_b64 exec, exec, s[80:81]
	s_andn2_b64 s[76:77], s[92:93], exec
	s_and_b64 s[78:79], s[84:85], exec
	s_or_b64 s[90:91], s[76:77], s[78:79]
	s_andn2_b64 s[76:77], s[4:5], exec
	s_and_b64 vcc, vcc, exec
	s_or_b64 s[84:85], s[76:77], vcc
                                        ; implicit-def: $vgpr4
                                        ; implicit-def: $vgpr2_vgpr3
.LBB94_4538:
	s_andn2_saveexec_b64 s[82:83], s[82:83]
	s_cbranch_execz .LBB94_4542
; %bb.4539:
	v_mov_b32_e32 v5, 11
	v_cmp_eq_u16_sdwa s[76:77], v11, v5 src0_sel:BYTE_0 src1_sel:DWORD
	s_mov_b64 s[80:81], -1
	s_mov_b64 vcc, s[84:85]
	s_and_saveexec_b64 s[78:79], s[76:77]
	s_cbranch_execz .LBB94_4541
; %bb.4540:
	v_cmp_neq_f32_e32 vcc, 0, v4
	v_cndmask_b32_e64 v4, 0, 1, vcc
	flat_store_byte v[2:3], v4
	s_xor_b64 s[80:81], exec, -1
	s_or_b64 vcc, s[84:85], exec
.LBB94_4541:
	s_or_b64 exec, exec, s[78:79]
	s_andn2_b64 s[76:77], s[90:91], exec
	s_and_b64 s[78:79], s[80:81], exec
	s_or_b64 s[90:91], s[76:77], s[78:79]
	s_andn2_b64 s[76:77], s[84:85], exec
	s_and_b64 vcc, vcc, exec
	s_or_b64 s[84:85], s[76:77], vcc
.LBB94_4542:
	s_or_b64 exec, exec, s[82:83]
	s_andn2_b64 vcc, s[92:93], exec
	s_and_b64 s[76:77], s[90:91], exec
	s_or_b64 vcc, vcc, s[76:77]
	s_andn2_b64 s[4:5], s[4:5], exec
	s_and_b64 s[76:77], s[84:85], exec
	s_or_b64 s[4:5], s[4:5], s[76:77]
.LBB94_4543:
	s_or_b64 exec, exec, s[88:89]
	s_andn2_b64 s[76:77], s[92:93], exec
	s_and_b64 vcc, vcc, exec
	s_andn2_b64 s[6:7], s[6:7], exec
	s_and_b64 s[4:5], s[4:5], exec
	s_or_b64 s[92:93], s[76:77], vcc
	s_or_b64 s[6:7], s[6:7], s[4:5]
.LBB94_4544:
	v_readlane_b32 s4, v42, 7
	v_readlane_b32 s5, v42, 8
	s_or_b64 exec, exec, s[4:5]
	v_readlane_b32 s4, v43, 49
	v_readlane_b32 s5, v43, 50
	s_andn2_b64 s[4:5], s[4:5], exec
	s_and_b64 vcc, s[92:93], exec
	s_or_b64 s[4:5], s[4:5], vcc
	s_and_b64 s[6:7], s[6:7], exec
                                        ; implicit-def: $vgpr4
                                        ; implicit-def: $vgpr2_vgpr3
.LBB94_4545:
	v_readlane_b32 vcc_lo, v42, 3
	v_readlane_b32 vcc_hi, v42, 4
	s_andn2_saveexec_b64 s[92:93], vcc
	s_cbranch_execz .LBB94_4587
; %bb.4546:
	v_mov_b32_e32 v5, 4
	v_cmp_gt_i16_sdwa vcc, v11, v5 src0_sel:BYTE_0 src1_sel:DWORD
	s_and_saveexec_b64 s[76:77], vcc
	s_xor_b64 vcc, exec, s[76:77]
	s_cbranch_execz .LBB94_4568
; %bb.4547:
	v_mov_b32_e32 v5, 7
	v_cmp_gt_i16_sdwa s[76:77], v11, v5 src0_sel:BYTE_0 src1_sel:DWORD
	s_and_saveexec_b64 s[78:79], s[76:77]
	s_xor_b64 s[84:85], exec, s[78:79]
	s_cbranch_execz .LBB94_4557
; %bb.4548:
	v_mov_b32_e32 v5, 8
	v_cmp_gt_i16_sdwa s[76:77], v11, v5 src0_sel:BYTE_0 src1_sel:DWORD
	s_and_saveexec_b64 s[78:79], s[76:77]
	s_xor_b64 s[88:89], exec, s[78:79]
	;; [unrolled: 6-line block ×3, first 2 shown]
	s_cbranch_execz .LBB94_4551
; %bb.4550:
	v_mov_b32_e32 v20, 0
	v_cvt_f64_f32_e32 v[18:19], v4
	v_mov_b32_e32 v21, v20
	flat_store_dwordx4 v[2:3], v[18:21]
                                        ; implicit-def: $vgpr4
                                        ; implicit-def: $vgpr2_vgpr3
.LBB94_4551:
	s_andn2_saveexec_b64 s[78:79], s[80:81]
	s_cbranch_execz .LBB94_4553
; %bb.4552:
	v_mov_b32_e32 v5, 0
	flat_store_dwordx2 v[2:3], v[4:5]
.LBB94_4553:
	s_or_b64 exec, exec, s[78:79]
                                        ; implicit-def: $vgpr4
                                        ; implicit-def: $vgpr2_vgpr3
.LBB94_4554:
	s_andn2_saveexec_b64 s[78:79], s[88:89]
	s_cbranch_execz .LBB94_4556
; %bb.4555:
	v_cvt_f16_f32_e32 v4, v4
	flat_store_dword v[2:3], v4
.LBB94_4556:
	s_or_b64 exec, exec, s[78:79]
                                        ; implicit-def: $vgpr4
                                        ; implicit-def: $vgpr2_vgpr3
.LBB94_4557:
	s_andn2_saveexec_b64 s[84:85], s[84:85]
	s_cbranch_execz .LBB94_4567
; %bb.4558:
	v_mov_b32_e32 v5, 5
	v_cmp_gt_i16_sdwa s[76:77], v11, v5 src0_sel:BYTE_0 src1_sel:DWORD
	s_and_saveexec_b64 s[78:79], s[76:77]
	s_xor_b64 s[80:81], exec, s[78:79]
	s_cbranch_execz .LBB94_4564
; %bb.4559:
	v_mov_b32_e32 v5, 6
	v_cmp_gt_i16_sdwa s[76:77], v11, v5 src0_sel:BYTE_0 src1_sel:DWORD
	s_and_saveexec_b64 s[78:79], s[76:77]
	s_xor_b64 s[78:79], exec, s[78:79]
	s_cbranch_execz .LBB94_4561
; %bb.4560:
	v_cvt_f64_f32_e32 v[4:5], v4
	flat_store_dwordx2 v[2:3], v[4:5]
                                        ; implicit-def: $vgpr2_vgpr3
                                        ; implicit-def: $vgpr4
.LBB94_4561:
	s_andn2_saveexec_b64 s[78:79], s[78:79]
	s_cbranch_execz .LBB94_4563
; %bb.4562:
	flat_store_dword v[2:3], v4
.LBB94_4563:
	s_or_b64 exec, exec, s[78:79]
                                        ; implicit-def: $vgpr4
                                        ; implicit-def: $vgpr2_vgpr3
.LBB94_4564:
	s_andn2_saveexec_b64 s[78:79], s[80:81]
	s_cbranch_execz .LBB94_4566
; %bb.4565:
	v_cvt_f16_f32_e32 v4, v4
	flat_store_short v[2:3], v4
.LBB94_4566:
	s_or_b64 exec, exec, s[78:79]
.LBB94_4567:
	s_or_b64 exec, exec, s[84:85]
                                        ; implicit-def: $vgpr4
                                        ; implicit-def: $vgpr2_vgpr3
.LBB94_4568:
	s_andn2_saveexec_b64 s[88:89], vcc
	s_cbranch_execz .LBB94_4586
; %bb.4569:
	v_mov_b32_e32 v5, 1
	v_cmp_gt_i16_sdwa vcc, v11, v5 src0_sel:BYTE_0 src1_sel:DWORD
	s_and_saveexec_b64 s[76:77], vcc
	s_xor_b64 s[90:91], exec, s[76:77]
	s_cbranch_execz .LBB94_4579
; %bb.4570:
	v_mov_b32_e32 v5, 2
	v_cmp_gt_i16_sdwa vcc, v11, v5 src0_sel:BYTE_0 src1_sel:DWORD
	s_and_saveexec_b64 s[76:77], vcc
	s_xor_b64 s[84:85], exec, s[76:77]
	;; [unrolled: 6-line block ×3, first 2 shown]
	s_cbranch_execz .LBB94_4573
; %bb.4572:
	v_trunc_f32_e32 v4, v4
	s_mov_b32 s76, 0x2f800000
	v_mul_f32_e64 v5, |v4|, s76
	v_floor_f32_e32 v5, v5
	s_mov_b32 s76, 0xcf800000
	v_cvt_u32_f32_e32 v17, v5
	v_fma_f32 v5, v5, s76, |v4|
	v_cvt_u32_f32_e32 v5, v5
	v_ashrrev_i32_e32 v18, 31, v4
	v_xor_b32_e32 v17, v17, v18
	v_xor_b32_e32 v4, v5, v18
	v_sub_co_u32_e32 v4, vcc, v4, v18
	v_subb_co_u32_e32 v5, vcc, v17, v18, vcc
	flat_store_dwordx2 v[2:3], v[4:5]
                                        ; implicit-def: $vgpr4
                                        ; implicit-def: $vgpr2_vgpr3
.LBB94_4573:
	s_andn2_saveexec_b64 vcc, s[80:81]
	s_cbranch_execz .LBB94_4575
; %bb.4574:
	v_cvt_i32_f32_e32 v4, v4
	flat_store_dword v[2:3], v4
.LBB94_4575:
	s_or_b64 exec, exec, vcc
                                        ; implicit-def: $vgpr4
                                        ; implicit-def: $vgpr2_vgpr3
.LBB94_4576:
	s_andn2_saveexec_b64 vcc, s[84:85]
	s_cbranch_execz .LBB94_4578
; %bb.4577:
	v_cvt_i32_f32_e32 v4, v4
	flat_store_short v[2:3], v4
.LBB94_4578:
	s_or_b64 exec, exec, vcc
                                        ; implicit-def: $vgpr4
                                        ; implicit-def: $vgpr2_vgpr3
.LBB94_4579:
	s_andn2_saveexec_b64 vcc, s[90:91]
	s_cbranch_execz .LBB94_4585
; %bb.4580:
	v_mov_b32_e32 v5, 0
	v_cmp_gt_i16_sdwa s[76:77], v11, v5 src0_sel:BYTE_0 src1_sel:DWORD
	s_and_saveexec_b64 s[78:79], s[76:77]
	s_xor_b64 s[78:79], exec, s[78:79]
	s_cbranch_execz .LBB94_4582
; %bb.4581:
	v_cvt_i32_f32_e32 v4, v4
	flat_store_byte v[2:3], v4
                                        ; implicit-def: $vgpr4
                                        ; implicit-def: $vgpr2_vgpr3
.LBB94_4582:
	s_andn2_saveexec_b64 s[80:81], s[78:79]
	s_cbranch_execz .LBB94_4584
; %bb.4583:
	v_trunc_f32_e32 v4, v4
	s_mov_b32 s76, 0x2f800000
	v_mul_f32_e64 v5, |v4|, s76
	v_floor_f32_e32 v5, v5
	s_mov_b32 s76, 0xcf800000
	v_fma_f32 v5, v5, s76, |v4|
	v_cvt_u32_f32_e32 v5, v5
	v_ashrrev_i32_e32 v4, 31, v4
	v_xor_b32_e32 v5, v5, v4
	v_sub_u32_e32 v4, v5, v4
	flat_store_byte v[2:3], v4
.LBB94_4584:
	s_or_b64 exec, exec, s[80:81]
.LBB94_4585:
	s_or_b64 exec, exec, vcc
.LBB94_4586:
	s_or_b64 exec, exec, s[88:89]
	s_or_b64 s[6:7], s[6:7], exec
.LBB94_4587:
	s_or_b64 exec, exec, s[92:93]
	s_mov_b64 vcc, 0
	s_and_saveexec_b64 s[78:79], s[6:7]
; %bb.4588:
	s_mov_b64 vcc, exec
	v_add_u32_e32 v14, 0x200, v14
; %bb.4589:
	s_or_b64 exec, exec, s[78:79]
	v_readlane_b32 s6, v43, 49
	v_readlane_b32 s7, v43, 50
	s_andn2_b64 s[6:7], s[6:7], exec
	s_and_b64 s[4:5], s[4:5], exec
	s_or_b64 s[4:5], s[6:7], s[4:5]
	v_writelane_b32 v43, s4, 61
	v_writelane_b32 v43, s5, 62
	s_orn2_b64 s[80:81], vcc, exec
.LBB94_4590:
	s_or_b64 exec, exec, s[96:97]
	s_mov_b64 s[4:5], 0
	s_mov_b64 s[6:7], 0
	s_mov_b64 vcc, 0
                                        ; implicit-def: $vgpr2
                                        ; implicit-def: $vgpr103
                                        ; implicit-def: $vgpr4_vgpr5
	s_mov_b64 s[76:77], exec
	v_writelane_b32 v43, s76, 63
	v_writelane_b32 v42, s77, 0
	s_and_b64 s[76:77], s[76:77], s[80:81]
	s_mov_b64 exec, s[76:77]
	s_cbranch_execz .LBB94_4934
; %bb.4591:
	v_readlane_b32 s4, v43, 61
	v_readlane_b32 s5, v43, 62
	v_cmp_lt_i32_e32 vcc, v14, v6
	s_mov_b64 s[80:81], -1
	v_writelane_b32 v42, s4, 9
	v_writelane_b32 v42, s5, 10
	s_and_saveexec_b64 s[96:97], vcc
	s_cbranch_execz .LBB94_4719
; %bb.4592:
	v_readlane_b32 s4, v44, 1
	v_add_u32_e32 v4, 0x3a00, v13
	v_add_u32_e32 v2, s4, v14
	v_cmp_lt_i32_e64 s[4:5], v4, v6
	v_mul_lo_u32 v2, v2, v12
	v_writelane_b32 v42, s4, 13
	v_add_co_u32_e32 v2, vcc, v0, v2
	v_writelane_b32 v42, s5, 14
	s_brev_b32 s4, -2
	v_addc_co_u32_e32 v3, vcc, 0, v1, vcc
	s_waitcnt vmcnt(0)
	v_bfi_b32 v4, s4, v15, v16
	v_mov_b32_e32 v5, 10
	v_readlane_b32 s4, v43, 61
	v_cmp_gt_i16_sdwa vcc, v11, v5 src0_sel:BYTE_0 src1_sel:DWORD
	v_readlane_b32 s5, v43, 62
	s_and_saveexec_b64 s[76:77], vcc
	s_xor_b64 s[76:77], exec, s[76:77]
	v_writelane_b32 v42, s76, 15
	v_writelane_b32 v42, s77, 16
	s_cbranch_execz .LBB94_4674
; %bb.4593:
	v_mov_b32_e32 v5, 25
	v_readlane_b32 s92, v43, 61
	v_cmp_gt_i16_sdwa s[4:5], v11, v5 src0_sel:BYTE_0 src1_sel:DWORD
	v_readlane_b32 s93, v43, 62
	s_and_saveexec_b64 vcc, s[4:5]
	s_xor_b64 vcc, exec, vcc
	v_writelane_b32 v42, vcc_lo, 17
	v_writelane_b32 v42, vcc_hi, 18
	s_cbranch_execz .LBB94_4629
; %bb.4594:
	v_mov_b32_e32 v5, 28
	v_readlane_b32 s92, v43, 61
	v_cmp_gt_i16_sdwa s[4:5], v11, v5 src0_sel:BYTE_0 src1_sel:DWORD
	v_readlane_b32 s93, v43, 62
	s_and_saveexec_b64 vcc, s[4:5]
	s_xor_b64 s[88:89], exec, vcc
	s_cbranch_execz .LBB94_4612
; %bb.4595:
	v_mov_b32_e32 v5, 43
	v_readlane_b32 s6, v43, 61
	v_cmp_gt_i16_sdwa vcc, v11, v5 src0_sel:BYTE_0 src1_sel:DWORD
	s_mov_b64 s[4:5], 0
	v_readlane_b32 s7, v43, 62
	s_and_saveexec_b64 s[76:77], vcc
	s_xor_b64 s[78:79], exec, s[76:77]
	s_cbranch_execz .LBB94_4607
; %bb.4596:
	v_mov_b32_e32 v5, 45
	v_readlane_b32 s4, v43, 61
	v_cmp_gt_i16_sdwa s[6:7], v11, v5 src0_sel:BYTE_0 src1_sel:DWORD
	s_mov_b64 s[92:93], 0
	v_readlane_b32 s5, v43, 62
	s_and_saveexec_b64 vcc, s[6:7]
	s_xor_b64 s[6:7], exec, vcc
	s_cbranch_execz .LBB94_4600
; %bb.4597:
	v_mov_b32_e32 v5, 46
	v_cmp_eq_u16_sdwa s[76:77], v11, v5 src0_sel:BYTE_0 src1_sel:DWORD
	s_mov_b64 vcc, 0
	s_mov_b64 s[4:5], -1
	s_and_saveexec_b64 s[80:81], s[76:77]
	s_cbranch_execz .LBB94_4599
; %bb.4598:
	v_bfe_u32 v5, v4, 16, 1
	s_movk_i32 s4, 0x7fff
	v_add3_u32 v5, v4, v5, s4
	v_lshrrev_b32_e32 v5, 16, v5
	v_mov_b32_e32 v15, 0x7fc0
	v_cmp_o_f32_e64 s[4:5], v4, v4
	v_cndmask_b32_e64 v4, v15, v5, s[4:5]
	s_mov_b64 vcc, exec
	flat_store_dword v[2:3], v4
	s_xor_b64 s[4:5], exec, -1
.LBB94_4599:
	s_or_b64 exec, exec, s[80:81]
	v_readlane_b32 s76, v43, 61
	v_readlane_b32 s77, v43, 62
	s_andn2_b64 s[76:77], s[76:77], exec
	s_and_b64 s[4:5], s[4:5], exec
	s_or_b64 s[4:5], s[76:77], s[4:5]
	s_and_b64 s[92:93], vcc, exec
                                        ; implicit-def: $vgpr2_vgpr3
                                        ; implicit-def: $vgpr4
.LBB94_4600:
	s_andn2_saveexec_b64 s[84:85], s[6:7]
	s_cbranch_execz .LBB94_4606
; %bb.4601:
	v_mov_b32_e32 v5, 44
	v_cmp_eq_u16_sdwa s[76:77], v11, v5 src0_sel:BYTE_0 src1_sel:DWORD
	s_mov_b64 vcc, -1
	s_mov_b64 s[6:7], s[92:93]
	s_and_saveexec_b64 s[80:81], s[76:77]
	s_cbranch_execz .LBB94_4605
; %bb.4602:
	v_bfe_u32 v5, v4, 23, 8
	s_movk_i32 s6, 0xff
	v_cmp_ne_u32_e32 vcc, s6, v5
	v_mov_b32_e32 v15, 0xff
	s_and_saveexec_b64 s[82:83], vcc
; %bb.4603:
	s_mov_b32 s6, 0x3fffff
	v_lshrrev_b32_e32 v15, 23, v4
	v_and_b32_e32 v16, 0x400000, v4
	v_and_or_b32 v4, v4, s6, v5
	v_cmp_ne_u32_e32 vcc, 0, v16
	v_cmp_ne_u32_e64 s[6:7], 0, v4
	s_and_b64 s[6:7], vcc, s[6:7]
	v_cndmask_b32_e64 v4, 0, 1, s[6:7]
	v_add_u32_e32 v15, v15, v4
; %bb.4604:
	s_or_b64 exec, exec, s[82:83]
	s_xor_b64 vcc, exec, -1
	s_or_b64 s[6:7], s[92:93], exec
	flat_store_byte v[2:3], v15
.LBB94_4605:
	s_or_b64 exec, exec, s[80:81]
	s_andn2_b64 s[4:5], s[4:5], exec
	s_and_b64 vcc, vcc, exec
	s_or_b64 s[4:5], s[4:5], vcc
	s_andn2_b64 vcc, s[92:93], exec
	s_and_b64 s[6:7], s[6:7], exec
	s_or_b64 s[92:93], vcc, s[6:7]
.LBB94_4606:
	s_or_b64 exec, exec, s[84:85]
	v_readlane_b32 s6, v43, 61
	v_readlane_b32 s7, v43, 62
	s_andn2_b64 s[6:7], s[6:7], exec
	s_and_b64 s[4:5], s[4:5], exec
	s_or_b64 s[6:7], s[6:7], s[4:5]
	s_and_b64 s[4:5], s[92:93], exec
                                        ; implicit-def: $vgpr4
                                        ; implicit-def: $vgpr2_vgpr3
.LBB94_4607:
	s_andn2_saveexec_b64 vcc, s[78:79]
	s_cbranch_execz .LBB94_4611
; %bb.4608:
	v_mov_b32_e32 v5, 29
	v_cmp_eq_u16_sdwa s[76:77], v11, v5 src0_sel:BYTE_0 src1_sel:DWORD
	s_mov_b64 s[84:85], -1
	s_mov_b64 s[82:83], s[4:5]
	s_and_saveexec_b64 s[80:81], s[76:77]
	s_cbranch_execz .LBB94_4610
; %bb.4609:
	v_trunc_f32_e32 v4, v4
	v_mul_f32_e32 v5, 0x2f800000, v4
	v_floor_f32_e32 v15, v5
	v_fmac_f32_e32 v4, 0xcf800000, v15
	v_cvt_u32_f32_e32 v5, v15
	v_cvt_u32_f32_e32 v4, v4
	s_xor_b64 s[84:85], exec, -1
	s_or_b64 s[82:83], s[4:5], exec
	flat_store_dwordx2 v[2:3], v[4:5]
.LBB94_4610:
	s_or_b64 exec, exec, s[80:81]
	s_andn2_b64 s[6:7], s[6:7], exec
	s_and_b64 s[76:77], s[84:85], exec
	s_or_b64 s[6:7], s[6:7], s[76:77]
	s_andn2_b64 s[4:5], s[4:5], exec
	s_and_b64 s[76:77], s[82:83], exec
	s_or_b64 s[4:5], s[4:5], s[76:77]
.LBB94_4611:
	s_or_b64 exec, exec, vcc
	v_readlane_b32 vcc_lo, v43, 61
	v_readlane_b32 vcc_hi, v43, 62
	s_andn2_b64 vcc, vcc, exec
	s_and_b64 s[6:7], s[6:7], exec
	s_or_b64 s[92:93], vcc, s[6:7]
	s_and_b64 s[6:7], s[4:5], exec
                                        ; implicit-def: $vgpr2_vgpr3
                                        ; implicit-def: $vgpr15
                                        ; implicit-def: $vgpr4
.LBB94_4612:
	s_andn2_saveexec_b64 s[88:89], s[88:89]
	s_cbranch_execz .LBB94_4628
; %bb.4613:
	v_mov_b32_e32 v5, 26
	v_cmp_gt_i16_sdwa s[4:5], v11, v5 src0_sel:BYTE_0 src1_sel:DWORD
	s_and_saveexec_b64 vcc, s[4:5]
	s_xor_b64 s[4:5], exec, vcc
	s_cbranch_execz .LBB94_4619
; %bb.4614:
	v_cvt_u32_f32_e32 v4, v4
	v_mov_b32_e32 v5, 27
	v_cmp_gt_i16_sdwa vcc, v11, v5 src0_sel:BYTE_0 src1_sel:DWORD
	s_and_saveexec_b64 s[76:77], vcc
	s_xor_b64 vcc, exec, s[76:77]
	s_cbranch_execz .LBB94_4616
; %bb.4615:
	flat_store_dword v[2:3], v4
                                        ; implicit-def: $vgpr2_vgpr3
                                        ; implicit-def: $vgpr4
.LBB94_4616:
	s_andn2_saveexec_b64 vcc, vcc
	s_cbranch_execz .LBB94_4618
; %bb.4617:
	flat_store_short v[2:3], v4
.LBB94_4618:
	s_or_b64 exec, exec, vcc
                                        ; implicit-def: $vgpr2_vgpr3
                                        ; implicit-def: $vgpr15
                                        ; implicit-def: $vgpr4
.LBB94_4619:
	s_andn2_saveexec_b64 vcc, s[4:5]
	s_cbranch_execz .LBB94_4627
; %bb.4620:
	v_readlane_b32 s4, v42, 13
	v_readlane_b32 s5, v42, 14
	v_cndmask_b32_e64 v15, |v0|, |v15|, s[4:5]
	s_mov_b32 s4, 0x43800000
	v_cmp_gt_u32_e64 s[4:5], s4, v15
	v_mov_b32_e32 v16, 0x80
	s_and_saveexec_b64 s[84:85], s[4:5]
	s_cbranch_execz .LBB94_4626
; %bb.4621:
	s_mov_b32 s4, 0x3bffffff
	v_cmp_lt_u32_e64 s[4:5], s4, v15
	s_mov_b64 s[90:91], 0
                                        ; implicit-def: $vgpr5
	s_and_saveexec_b64 s[76:77], s[4:5]
	s_xor_b64 s[4:5], exec, s[76:77]
	s_cbranch_execnz .LBB94_7933
; %bb.4622:
	s_or_saveexec_b64 s[80:81], s[4:5]
                                        ; implicit-def: $sgpr78
	s_xor_b64 exec, exec, s[80:81]
	s_cbranch_execnz .LBB94_7934
.LBB94_4623:
	s_or_b64 exec, exec, s[80:81]
	v_mov_b32_e32 v16, s78
	s_and_saveexec_b64 s[4:5], s[90:91]
.LBB94_4624:
	v_lshrrev_b32_e32 v4, 24, v4
	s_movk_i32 s76, 0x80
	v_and_or_b32 v16, v4, s76, v5
.LBB94_4625:
	s_or_b64 exec, exec, s[4:5]
.LBB94_4626:
	s_or_b64 exec, exec, s[84:85]
	flat_store_byte v[2:3], v16
.LBB94_4627:
	s_or_b64 exec, exec, vcc
	s_or_b64 s[6:7], s[6:7], exec
.LBB94_4628:
	s_or_b64 exec, exec, s[88:89]
	v_readlane_b32 s4, v43, 61
	v_readlane_b32 s5, v43, 62
	s_andn2_b64 s[4:5], s[4:5], exec
	s_and_b64 vcc, s[92:93], exec
	s_or_b64 s[92:93], s[4:5], vcc
	s_and_b64 s[6:7], s[6:7], exec
                                        ; implicit-def: $vgpr4
                                        ; implicit-def: $vgpr2_vgpr3
                                        ; implicit-def: $vgpr15
.LBB94_4629:
	v_readlane_b32 s4, v42, 17
	v_readlane_b32 s5, v42, 18
	s_or_saveexec_b64 s[4:5], s[4:5]
	v_writelane_b32 v42, s4, 19
	v_writelane_b32 v42, s5, 20
	s_xor_b64 exec, exec, s[4:5]
	s_cbranch_execz .LBB94_4673
; %bb.4630:
	v_mov_b32_e32 v5, 22
	v_cmp_gt_i16_sdwa vcc, v11, v5 src0_sel:BYTE_0 src1_sel:DWORD
	s_mov_b64 s[4:5], s[6:7]
	s_and_saveexec_b64 s[76:77], vcc
	s_xor_b64 s[88:89], exec, s[76:77]
	s_cbranch_execz .LBB94_4662
; %bb.4631:
	v_mov_b32_e32 v5, 23
	v_cmp_gt_i16_sdwa s[4:5], v11, v5 src0_sel:BYTE_0 src1_sel:DWORD
	s_and_saveexec_b64 vcc, s[4:5]
	s_xor_b64 s[82:83], exec, vcc
	s_cbranch_execz .LBB94_4651
; %bb.4632:
	v_mov_b32_e32 v5, 24
	v_cmp_gt_i16_sdwa s[4:5], v11, v5 src0_sel:BYTE_0 src1_sel:DWORD
	s_and_saveexec_b64 vcc, s[4:5]
	s_xor_b64 s[90:91], exec, vcc
	s_cbranch_execz .LBB94_4640
; %bb.4633:
	v_readlane_b32 s4, v42, 13
	v_readlane_b32 s5, v42, 14
	v_cndmask_b32_e64 v15, |v0|, |v15|, s[4:5]
	s_mov_b32 s4, 0x47800000
	v_cmp_gt_u32_e64 s[4:5], s4, v15
	v_mov_b32_e32 v16, 0x80
	s_and_saveexec_b64 vcc, s[4:5]
	s_cbranch_execz .LBB94_4639
; %bb.4634:
	s_mov_b32 s4, 0x37ffffff
	v_cmp_lt_u32_e64 s[4:5], s4, v15
	s_mov_b64 s[84:85], 0
                                        ; implicit-def: $vgpr5
	s_and_saveexec_b64 s[76:77], s[4:5]
	s_xor_b64 s[4:5], exec, s[76:77]
	s_cbranch_execnz .LBB94_7935
; %bb.4635:
	s_or_saveexec_b64 s[80:81], s[4:5]
                                        ; implicit-def: $sgpr78
	s_xor_b64 exec, exec, s[80:81]
	s_cbranch_execnz .LBB94_7936
.LBB94_4636:
	s_or_b64 exec, exec, s[80:81]
	v_mov_b32_e32 v16, s78
	s_and_saveexec_b64 s[4:5], s[84:85]
.LBB94_4637:
	v_lshrrev_b32_e32 v4, 24, v4
	s_movk_i32 s76, 0x80
	v_and_or_b32 v16, v4, s76, v5
.LBB94_4638:
	s_or_b64 exec, exec, s[4:5]
.LBB94_4639:
	s_or_b64 exec, exec, vcc
	flat_store_byte v[2:3], v16
                                        ; implicit-def: $vgpr4
                                        ; implicit-def: $vgpr2_vgpr3
                                        ; implicit-def: $vgpr15
.LBB94_4640:
	s_andn2_saveexec_b64 vcc, s[90:91]
	s_cbranch_execz .LBB94_4650
; %bb.4641:
	v_readlane_b32 s4, v42, 13
	v_readlane_b32 s5, v42, 14
	v_cndmask_b32_e64 v15, |v0|, |v15|, s[4:5]
	s_mov_b32 s4, 0x43f00000
	v_cmp_gt_u32_e64 s[4:5], s4, v15
                                        ; implicit-def: $vgpr5
	s_and_saveexec_b64 s[76:77], s[4:5]
	s_xor_b64 s[84:85], exec, s[76:77]
	s_cbranch_execz .LBB94_4647
; %bb.4642:
	s_mov_b32 s4, 0x3c7fffff
	v_cmp_lt_u32_e64 s[4:5], s4, v15
                                        ; implicit-def: $vgpr5
	s_and_saveexec_b64 s[76:77], s[4:5]
	s_xor_b64 s[80:81], exec, s[76:77]
; %bb.4643:
	v_bfe_u32 v5, v4, 20, 1
	s_mov_b32 s4, 0x407ffff
	v_add3_u32 v5, v4, v5, s4
	v_lshrrev_b32_e32 v15, 20, v5
	v_and_b32_e32 v5, 0xff00000, v5
	s_mov_b32 s4, 0x7f00000
	v_mov_b32_e32 v16, 0x7e
	v_cmp_ne_u32_e64 s[4:5], s4, v5
	v_cndmask_b32_e64 v5, v16, v15, s[4:5]
                                        ; implicit-def: $vgpr15
; %bb.4644:
	s_andn2_saveexec_b64 s[4:5], s[80:81]
; %bb.4645:
	v_add_f32_e32 v5, 0x46800000, v15
; %bb.4646:
	s_or_b64 exec, exec, s[4:5]
                                        ; implicit-def: $vgpr15
.LBB94_4647:
	s_andn2_saveexec_b64 s[80:81], s[84:85]
; %bb.4648:
	s_mov_b32 s4, 0x7f800000
	v_mov_b32_e32 v5, 0x7e
	v_mov_b32_e32 v16, 0x7f
	v_cmp_lt_u32_e64 s[4:5], s4, v15
	v_cndmask_b32_e64 v5, v5, v16, s[4:5]
; %bb.4649:
	s_or_b64 exec, exec, s[80:81]
	v_lshrrev_b32_e32 v4, 24, v4
	s_movk_i32 s4, 0x80
	v_and_or_b32 v4, v4, s4, v5
	flat_store_byte v[2:3], v4
.LBB94_4650:
	s_or_b64 exec, exec, vcc
                                        ; implicit-def: $vgpr4
                                        ; implicit-def: $vgpr2_vgpr3
                                        ; implicit-def: $vgpr15
.LBB94_4651:
	s_andn2_saveexec_b64 s[4:5], s[82:83]
	s_cbranch_execz .LBB94_4661
; %bb.4652:
	v_readlane_b32 vcc_lo, v42, 13
	v_readlane_b32 vcc_hi, v42, 14
	v_cndmask_b32_e64 v15, |v0|, |v15|, vcc
	s_mov_b32 vcc_lo, 0x47800000
	v_cmp_gt_u32_e32 vcc, vcc_lo, v15
                                        ; implicit-def: $vgpr5
	s_and_saveexec_b64 s[76:77], vcc
	s_xor_b64 s[82:83], exec, s[76:77]
	s_cbranch_execz .LBB94_4658
; %bb.4653:
	s_mov_b32 vcc_lo, 0x387fffff
	v_cmp_lt_u32_e32 vcc, vcc_lo, v15
                                        ; implicit-def: $vgpr5
	s_and_saveexec_b64 s[76:77], vcc
	s_xor_b64 vcc, exec, s[76:77]
; %bb.4654:
	v_bfe_u32 v5, v4, 21, 1
	s_mov_b32 s76, 0x80fffff
	v_add3_u32 v5, v4, v5, s76
	v_lshrrev_b32_e32 v5, 21, v5
                                        ; implicit-def: $vgpr15
; %bb.4655:
	s_andn2_saveexec_b64 vcc, vcc
; %bb.4656:
	v_add_f32_e32 v5, 0x43000000, v15
; %bb.4657:
	s_or_b64 exec, exec, vcc
                                        ; implicit-def: $vgpr15
.LBB94_4658:
	s_andn2_saveexec_b64 s[80:81], s[82:83]
; %bb.4659:
	s_mov_b32 vcc_lo, 0x7f800000
	v_mov_b32_e32 v5, 0x7c
	v_mov_b32_e32 v16, 0x7f
	v_cmp_lt_u32_e32 vcc, vcc_lo, v15
	v_cndmask_b32_e32 v5, v5, v16, vcc
; %bb.4660:
	s_or_b64 exec, exec, s[80:81]
	v_lshrrev_b32_e32 v4, 24, v4
	s_movk_i32 vcc_lo, 0x80
	v_and_or_b32 v4, v4, vcc_lo, v5
	flat_store_byte v[2:3], v4
.LBB94_4661:
	s_or_b64 exec, exec, s[4:5]
	s_or_b64 s[4:5], s[6:7], exec
                                        ; implicit-def: $vgpr4
                                        ; implicit-def: $vgpr2_vgpr3
.LBB94_4662:
	s_or_saveexec_b64 s[88:89], s[88:89]
	s_mov_b64 vcc, s[92:93]
	s_xor_b64 exec, exec, s[88:89]
	s_cbranch_execz .LBB94_4672
; %bb.4663:
	v_mov_b32_e32 v5, 14
	v_cmp_gt_i16_sdwa vcc, v11, v5 src0_sel:BYTE_0 src1_sel:DWORD
	s_mov_b64 s[84:85], s[4:5]
	s_mov_b64 s[90:91], s[92:93]
	s_and_saveexec_b64 s[76:77], vcc
	s_xor_b64 s[82:83], exec, s[76:77]
	s_cbranch_execz .LBB94_4667
; %bb.4664:
	v_mov_b32_e32 v5, 15
	v_cmp_eq_u16_sdwa s[76:77], v11, v5 src0_sel:BYTE_0 src1_sel:DWORD
	s_mov_b64 s[84:85], -1
	s_mov_b64 vcc, s[4:5]
	s_and_saveexec_b64 s[80:81], s[76:77]
	s_cbranch_execz .LBB94_4666
; %bb.4665:
	v_bfe_u32 v5, v4, 16, 1
	s_movk_i32 vcc_lo, 0x7fff
	v_add3_u32 v5, v4, v5, vcc_lo
	v_lshrrev_b32_e32 v5, 16, v5
	v_mov_b32_e32 v15, 0x7fc0
	v_cmp_o_f32_e32 vcc, v4, v4
	v_cndmask_b32_e32 v4, v15, v5, vcc
	flat_store_short v[2:3], v4
	s_xor_b64 s[84:85], exec, -1
	s_or_b64 vcc, s[4:5], exec
.LBB94_4666:
	s_or_b64 exec, exec, s[80:81]
	s_andn2_b64 s[76:77], s[92:93], exec
	s_and_b64 s[78:79], s[84:85], exec
	s_or_b64 s[90:91], s[76:77], s[78:79]
	s_andn2_b64 s[76:77], s[4:5], exec
	s_and_b64 vcc, vcc, exec
	s_or_b64 s[84:85], s[76:77], vcc
                                        ; implicit-def: $vgpr4
                                        ; implicit-def: $vgpr2_vgpr3
.LBB94_4667:
	s_andn2_saveexec_b64 s[82:83], s[82:83]
	s_cbranch_execz .LBB94_4671
; %bb.4668:
	v_mov_b32_e32 v5, 11
	v_cmp_eq_u16_sdwa s[76:77], v11, v5 src0_sel:BYTE_0 src1_sel:DWORD
	s_mov_b64 s[80:81], -1
	s_mov_b64 vcc, s[84:85]
	s_and_saveexec_b64 s[78:79], s[76:77]
	s_cbranch_execz .LBB94_4670
; %bb.4669:
	v_cmp_neq_f32_e32 vcc, 0, v4
	v_cndmask_b32_e64 v4, 0, 1, vcc
	flat_store_byte v[2:3], v4
	s_xor_b64 s[80:81], exec, -1
	s_or_b64 vcc, s[84:85], exec
.LBB94_4670:
	s_or_b64 exec, exec, s[78:79]
	s_andn2_b64 s[76:77], s[90:91], exec
	s_and_b64 s[78:79], s[80:81], exec
	s_or_b64 s[90:91], s[76:77], s[78:79]
	s_andn2_b64 s[76:77], s[84:85], exec
	s_and_b64 vcc, vcc, exec
	s_or_b64 s[84:85], s[76:77], vcc
.LBB94_4671:
	s_or_b64 exec, exec, s[82:83]
	s_andn2_b64 vcc, s[92:93], exec
	s_and_b64 s[76:77], s[90:91], exec
	s_or_b64 vcc, vcc, s[76:77]
	s_andn2_b64 s[4:5], s[4:5], exec
	s_and_b64 s[76:77], s[84:85], exec
	s_or_b64 s[4:5], s[4:5], s[76:77]
.LBB94_4672:
	s_or_b64 exec, exec, s[88:89]
	s_andn2_b64 s[76:77], s[92:93], exec
	s_and_b64 vcc, vcc, exec
	s_andn2_b64 s[6:7], s[6:7], exec
	s_and_b64 s[4:5], s[4:5], exec
	s_or_b64 s[92:93], s[76:77], vcc
	s_or_b64 s[6:7], s[6:7], s[4:5]
.LBB94_4673:
	v_readlane_b32 s4, v42, 19
	v_readlane_b32 s5, v42, 20
	s_or_b64 exec, exec, s[4:5]
	v_readlane_b32 s4, v43, 61
	v_readlane_b32 s5, v43, 62
	s_andn2_b64 s[4:5], s[4:5], exec
	s_and_b64 vcc, s[92:93], exec
	s_or_b64 s[4:5], s[4:5], vcc
	s_and_b64 s[6:7], s[6:7], exec
                                        ; implicit-def: $vgpr4
                                        ; implicit-def: $vgpr2_vgpr3
.LBB94_4674:
	v_readlane_b32 vcc_lo, v42, 15
	v_readlane_b32 vcc_hi, v42, 16
	s_andn2_saveexec_b64 s[92:93], vcc
	s_cbranch_execz .LBB94_4716
; %bb.4675:
	v_mov_b32_e32 v5, 4
	v_cmp_gt_i16_sdwa vcc, v11, v5 src0_sel:BYTE_0 src1_sel:DWORD
	s_and_saveexec_b64 s[76:77], vcc
	s_xor_b64 vcc, exec, s[76:77]
	s_cbranch_execz .LBB94_4697
; %bb.4676:
	v_mov_b32_e32 v5, 7
	v_cmp_gt_i16_sdwa s[76:77], v11, v5 src0_sel:BYTE_0 src1_sel:DWORD
	s_and_saveexec_b64 s[78:79], s[76:77]
	s_xor_b64 s[84:85], exec, s[78:79]
	s_cbranch_execz .LBB94_4686
; %bb.4677:
	v_mov_b32_e32 v5, 8
	v_cmp_gt_i16_sdwa s[76:77], v11, v5 src0_sel:BYTE_0 src1_sel:DWORD
	s_and_saveexec_b64 s[78:79], s[76:77]
	s_xor_b64 s[88:89], exec, s[78:79]
	;; [unrolled: 6-line block ×3, first 2 shown]
	s_cbranch_execz .LBB94_4680
; %bb.4679:
	v_mov_b32_e32 v18, 0
	v_cvt_f64_f32_e32 v[16:17], v4
	v_mov_b32_e32 v19, v18
	flat_store_dwordx4 v[2:3], v[16:19]
                                        ; implicit-def: $vgpr4
                                        ; implicit-def: $vgpr2_vgpr3
.LBB94_4680:
	s_andn2_saveexec_b64 s[78:79], s[80:81]
	s_cbranch_execz .LBB94_4682
; %bb.4681:
	v_mov_b32_e32 v5, 0
	flat_store_dwordx2 v[2:3], v[4:5]
.LBB94_4682:
	s_or_b64 exec, exec, s[78:79]
                                        ; implicit-def: $vgpr4
                                        ; implicit-def: $vgpr2_vgpr3
.LBB94_4683:
	s_andn2_saveexec_b64 s[78:79], s[88:89]
	s_cbranch_execz .LBB94_4685
; %bb.4684:
	v_cvt_f16_f32_e32 v4, v4
	flat_store_dword v[2:3], v4
.LBB94_4685:
	s_or_b64 exec, exec, s[78:79]
                                        ; implicit-def: $vgpr4
                                        ; implicit-def: $vgpr2_vgpr3
.LBB94_4686:
	s_andn2_saveexec_b64 s[84:85], s[84:85]
	s_cbranch_execz .LBB94_4696
; %bb.4687:
	v_mov_b32_e32 v5, 5
	v_cmp_gt_i16_sdwa s[76:77], v11, v5 src0_sel:BYTE_0 src1_sel:DWORD
	s_and_saveexec_b64 s[78:79], s[76:77]
	s_xor_b64 s[80:81], exec, s[78:79]
	s_cbranch_execz .LBB94_4693
; %bb.4688:
	v_mov_b32_e32 v5, 6
	v_cmp_gt_i16_sdwa s[76:77], v11, v5 src0_sel:BYTE_0 src1_sel:DWORD
	s_and_saveexec_b64 s[78:79], s[76:77]
	s_xor_b64 s[78:79], exec, s[78:79]
	s_cbranch_execz .LBB94_4690
; %bb.4689:
	v_cvt_f64_f32_e32 v[4:5], v4
	flat_store_dwordx2 v[2:3], v[4:5]
                                        ; implicit-def: $vgpr2_vgpr3
                                        ; implicit-def: $vgpr4
.LBB94_4690:
	s_andn2_saveexec_b64 s[78:79], s[78:79]
	s_cbranch_execz .LBB94_4692
; %bb.4691:
	flat_store_dword v[2:3], v4
.LBB94_4692:
	s_or_b64 exec, exec, s[78:79]
                                        ; implicit-def: $vgpr4
                                        ; implicit-def: $vgpr2_vgpr3
.LBB94_4693:
	s_andn2_saveexec_b64 s[78:79], s[80:81]
	s_cbranch_execz .LBB94_4695
; %bb.4694:
	v_cvt_f16_f32_e32 v4, v4
	flat_store_short v[2:3], v4
.LBB94_4695:
	s_or_b64 exec, exec, s[78:79]
.LBB94_4696:
	s_or_b64 exec, exec, s[84:85]
                                        ; implicit-def: $vgpr4
                                        ; implicit-def: $vgpr2_vgpr3
.LBB94_4697:
	s_andn2_saveexec_b64 s[88:89], vcc
	s_cbranch_execz .LBB94_4715
; %bb.4698:
	v_mov_b32_e32 v5, 1
	v_cmp_gt_i16_sdwa vcc, v11, v5 src0_sel:BYTE_0 src1_sel:DWORD
	s_and_saveexec_b64 s[76:77], vcc
	s_xor_b64 s[90:91], exec, s[76:77]
	s_cbranch_execz .LBB94_4708
; %bb.4699:
	v_mov_b32_e32 v5, 2
	v_cmp_gt_i16_sdwa vcc, v11, v5 src0_sel:BYTE_0 src1_sel:DWORD
	s_and_saveexec_b64 s[76:77], vcc
	s_xor_b64 s[84:85], exec, s[76:77]
	;; [unrolled: 6-line block ×3, first 2 shown]
	s_cbranch_execz .LBB94_4702
; %bb.4701:
	v_trunc_f32_e32 v4, v4
	s_mov_b32 s76, 0x2f800000
	v_mul_f32_e64 v5, |v4|, s76
	v_floor_f32_e32 v5, v5
	s_mov_b32 s76, 0xcf800000
	v_cvt_u32_f32_e32 v15, v5
	v_fma_f32 v5, v5, s76, |v4|
	v_cvt_u32_f32_e32 v5, v5
	v_ashrrev_i32_e32 v16, 31, v4
	v_xor_b32_e32 v15, v15, v16
	v_xor_b32_e32 v4, v5, v16
	v_sub_co_u32_e32 v4, vcc, v4, v16
	v_subb_co_u32_e32 v5, vcc, v15, v16, vcc
	flat_store_dwordx2 v[2:3], v[4:5]
                                        ; implicit-def: $vgpr4
                                        ; implicit-def: $vgpr2_vgpr3
.LBB94_4702:
	s_andn2_saveexec_b64 vcc, s[80:81]
	s_cbranch_execz .LBB94_4704
; %bb.4703:
	v_cvt_i32_f32_e32 v4, v4
	flat_store_dword v[2:3], v4
.LBB94_4704:
	s_or_b64 exec, exec, vcc
                                        ; implicit-def: $vgpr4
                                        ; implicit-def: $vgpr2_vgpr3
.LBB94_4705:
	s_andn2_saveexec_b64 vcc, s[84:85]
	s_cbranch_execz .LBB94_4707
; %bb.4706:
	v_cvt_i32_f32_e32 v4, v4
	flat_store_short v[2:3], v4
.LBB94_4707:
	s_or_b64 exec, exec, vcc
                                        ; implicit-def: $vgpr4
                                        ; implicit-def: $vgpr2_vgpr3
.LBB94_4708:
	s_andn2_saveexec_b64 vcc, s[90:91]
	s_cbranch_execz .LBB94_4714
; %bb.4709:
	v_mov_b32_e32 v5, 0
	v_cmp_gt_i16_sdwa s[76:77], v11, v5 src0_sel:BYTE_0 src1_sel:DWORD
	s_and_saveexec_b64 s[78:79], s[76:77]
	s_xor_b64 s[78:79], exec, s[78:79]
	s_cbranch_execz .LBB94_4711
; %bb.4710:
	v_cvt_i32_f32_e32 v4, v4
	flat_store_byte v[2:3], v4
                                        ; implicit-def: $vgpr4
                                        ; implicit-def: $vgpr2_vgpr3
.LBB94_4711:
	s_andn2_saveexec_b64 s[80:81], s[78:79]
	s_cbranch_execz .LBB94_4713
; %bb.4712:
	v_trunc_f32_e32 v4, v4
	s_mov_b32 s76, 0x2f800000
	v_mul_f32_e64 v5, |v4|, s76
	v_floor_f32_e32 v5, v5
	s_mov_b32 s76, 0xcf800000
	v_fma_f32 v5, v5, s76, |v4|
	v_cvt_u32_f32_e32 v5, v5
	v_ashrrev_i32_e32 v4, 31, v4
	v_xor_b32_e32 v5, v5, v4
	v_sub_u32_e32 v4, v5, v4
	flat_store_byte v[2:3], v4
.LBB94_4713:
	s_or_b64 exec, exec, s[80:81]
.LBB94_4714:
	s_or_b64 exec, exec, vcc
.LBB94_4715:
	s_or_b64 exec, exec, s[88:89]
	s_or_b64 s[6:7], s[6:7], exec
.LBB94_4716:
	s_or_b64 exec, exec, s[92:93]
	s_mov_b64 vcc, 0
	s_and_saveexec_b64 s[78:79], s[6:7]
; %bb.4717:
	s_mov_b64 vcc, exec
	v_add_u32_e32 v14, 0x200, v14
; %bb.4718:
	s_or_b64 exec, exec, s[78:79]
	v_readlane_b32 s6, v43, 61
	v_readlane_b32 s7, v43, 62
	s_andn2_b64 s[6:7], s[6:7], exec
	s_and_b64 s[4:5], s[4:5], exec
	s_or_b64 s[4:5], s[6:7], s[4:5]
	v_writelane_b32 v42, s4, 9
	v_writelane_b32 v42, s5, 10
	s_orn2_b64 s[80:81], vcc, exec
.LBB94_4719:
	s_or_b64 exec, exec, s[96:97]
	s_mov_b64 s[4:5], 0
	s_mov_b64 s[6:7], 0
	s_mov_b64 vcc, 0
                                        ; implicit-def: $vgpr2
                                        ; implicit-def: $vgpr103
                                        ; implicit-def: $vgpr4_vgpr5
	s_mov_b64 s[76:77], exec
	v_writelane_b32 v42, s76, 11
	v_writelane_b32 v42, s77, 12
	s_and_b64 s[76:77], s[76:77], s[80:81]
	s_mov_b64 exec, s[76:77]
	s_cbranch_execz .LBB94_4933
; %bb.4720:
	v_readlane_b32 s96, v42, 9
	s_mov_b64 s[80:81], -1
	v_readlane_b32 s97, v42, 10
	v_cmp_lt_i32_e32 vcc, v14, v6
	s_mov_b64 s[4:5], exec
	v_writelane_b32 v42, s4, 21
	v_writelane_b32 v42, s5, 22
	s_and_b64 s[4:5], s[4:5], vcc
	s_mov_b64 exec, s[4:5]
	s_cbranch_execz .LBB94_4848
; %bb.4721:
	v_readlane_b32 s4, v44, 1
	v_or_b32_e32 v4, 0x3c00, v13
	v_add_u32_e32 v2, s4, v14
	v_cmp_lt_i32_e64 s[4:5], v4, v6
	v_mul_lo_u32 v2, v2, v12
	v_writelane_b32 v42, s4, 23
	v_add_co_u32_e32 v2, vcc, v0, v2
	v_writelane_b32 v42, s5, 24
	s_brev_b32 s4, -2
	v_addc_co_u32_e32 v3, vcc, 0, v1, vcc
	s_waitcnt vmcnt(0)
	v_bfi_b32 v4, s4, v9, v10
	v_mov_b32_e32 v5, 10
	v_readlane_b32 s4, v42, 9
	v_cmp_gt_i16_sdwa vcc, v11, v5 src0_sel:BYTE_0 src1_sel:DWORD
	v_readlane_b32 s5, v42, 10
	s_and_saveexec_b64 s[76:77], vcc
	s_xor_b64 s[76:77], exec, s[76:77]
	v_writelane_b32 v42, s76, 25
	v_writelane_b32 v42, s77, 26
	s_cbranch_execz .LBB94_4803
; %bb.4722:
	v_mov_b32_e32 v5, 25
	v_readlane_b32 s92, v42, 9
	v_cmp_gt_i16_sdwa s[4:5], v11, v5 src0_sel:BYTE_0 src1_sel:DWORD
	v_readlane_b32 s93, v42, 10
	s_and_saveexec_b64 vcc, s[4:5]
	s_xor_b64 s[90:91], exec, vcc
	s_cbranch_execz .LBB94_4758
; %bb.4723:
	v_mov_b32_e32 v5, 28
	v_readlane_b32 s92, v42, 9
	v_cmp_gt_i16_sdwa s[4:5], v11, v5 src0_sel:BYTE_0 src1_sel:DWORD
	v_readlane_b32 s93, v42, 10
	s_and_saveexec_b64 vcc, s[4:5]
	s_xor_b64 s[88:89], exec, vcc
	s_cbranch_execz .LBB94_4741
; %bb.4724:
	v_mov_b32_e32 v5, 43
	v_readlane_b32 s6, v42, 9
	v_cmp_gt_i16_sdwa vcc, v11, v5 src0_sel:BYTE_0 src1_sel:DWORD
	s_mov_b64 s[4:5], 0
	v_readlane_b32 s7, v42, 10
	s_and_saveexec_b64 s[76:77], vcc
	s_xor_b64 s[92:93], exec, s[76:77]
	s_cbranch_execz .LBB94_4736
; %bb.4725:
	v_mov_b32_e32 v5, 45
	v_readlane_b32 s4, v42, 9
	v_cmp_gt_i16_sdwa s[6:7], v11, v5 src0_sel:BYTE_0 src1_sel:DWORD
	s_mov_b64 s[96:97], 0
	v_readlane_b32 s5, v42, 10
	s_and_saveexec_b64 vcc, s[6:7]
	s_xor_b64 s[6:7], exec, vcc
	s_cbranch_execz .LBB94_4729
; %bb.4726:
	v_mov_b32_e32 v5, 46
	v_cmp_eq_u16_sdwa s[76:77], v11, v5 src0_sel:BYTE_0 src1_sel:DWORD
	s_mov_b64 vcc, 0
	s_mov_b64 s[4:5], -1
	s_and_saveexec_b64 s[80:81], s[76:77]
	s_cbranch_execz .LBB94_4728
; %bb.4727:
	v_bfe_u32 v5, v4, 16, 1
	s_movk_i32 s4, 0x7fff
	v_add3_u32 v5, v4, v5, s4
	v_lshrrev_b32_e32 v5, 16, v5
	v_mov_b32_e32 v9, 0x7fc0
	v_cmp_o_f32_e64 s[4:5], v4, v4
	v_cndmask_b32_e64 v4, v9, v5, s[4:5]
	s_mov_b64 vcc, exec
	flat_store_dword v[2:3], v4
	s_xor_b64 s[4:5], exec, -1
.LBB94_4728:
	s_or_b64 exec, exec, s[80:81]
	v_readlane_b32 s76, v42, 9
	v_readlane_b32 s77, v42, 10
	s_andn2_b64 s[76:77], s[76:77], exec
	s_and_b64 s[4:5], s[4:5], exec
	s_or_b64 s[4:5], s[76:77], s[4:5]
	s_and_b64 s[96:97], vcc, exec
                                        ; implicit-def: $vgpr2_vgpr3
                                        ; implicit-def: $vgpr4
.LBB94_4729:
	s_andn2_saveexec_b64 s[84:85], s[6:7]
	s_cbranch_execz .LBB94_4735
; %bb.4730:
	v_mov_b32_e32 v5, 44
	v_cmp_eq_u16_sdwa s[76:77], v11, v5 src0_sel:BYTE_0 src1_sel:DWORD
	s_mov_b64 vcc, -1
	s_mov_b64 s[6:7], s[96:97]
	s_and_saveexec_b64 s[80:81], s[76:77]
	s_cbranch_execz .LBB94_4734
; %bb.4731:
	v_bfe_u32 v5, v4, 23, 8
	s_movk_i32 s6, 0xff
	v_cmp_ne_u32_e32 vcc, s6, v5
	v_mov_b32_e32 v9, 0xff
	s_and_saveexec_b64 s[82:83], vcc
; %bb.4732:
	s_mov_b32 s6, 0x3fffff
	v_lshrrev_b32_e32 v9, 23, v4
	v_and_b32_e32 v10, 0x400000, v4
	v_and_or_b32 v4, v4, s6, v5
	v_cmp_ne_u32_e32 vcc, 0, v10
	v_cmp_ne_u32_e64 s[6:7], 0, v4
	s_and_b64 s[6:7], vcc, s[6:7]
	v_cndmask_b32_e64 v4, 0, 1, s[6:7]
	v_add_u32_e32 v9, v9, v4
; %bb.4733:
	s_or_b64 exec, exec, s[82:83]
	s_xor_b64 vcc, exec, -1
	s_or_b64 s[6:7], s[96:97], exec
	flat_store_byte v[2:3], v9
.LBB94_4734:
	s_or_b64 exec, exec, s[80:81]
	s_andn2_b64 s[4:5], s[4:5], exec
	s_and_b64 vcc, vcc, exec
	s_or_b64 s[4:5], s[4:5], vcc
	s_andn2_b64 vcc, s[96:97], exec
	s_and_b64 s[6:7], s[6:7], exec
	s_or_b64 s[96:97], vcc, s[6:7]
.LBB94_4735:
	s_or_b64 exec, exec, s[84:85]
	v_readlane_b32 s6, v42, 9
	v_readlane_b32 s7, v42, 10
	s_andn2_b64 s[6:7], s[6:7], exec
	s_and_b64 s[4:5], s[4:5], exec
	s_or_b64 s[6:7], s[6:7], s[4:5]
	s_and_b64 s[4:5], s[96:97], exec
                                        ; implicit-def: $vgpr4
                                        ; implicit-def: $vgpr2_vgpr3
.LBB94_4736:
	s_andn2_saveexec_b64 vcc, s[92:93]
	s_cbranch_execz .LBB94_4740
; %bb.4737:
	v_mov_b32_e32 v5, 29
	v_cmp_eq_u16_sdwa s[76:77], v11, v5 src0_sel:BYTE_0 src1_sel:DWORD
	s_mov_b64 s[84:85], -1
	s_mov_b64 s[82:83], s[4:5]
	s_and_saveexec_b64 s[80:81], s[76:77]
	s_cbranch_execz .LBB94_4739
; %bb.4738:
	v_trunc_f32_e32 v4, v4
	v_mul_f32_e32 v5, 0x2f800000, v4
	v_floor_f32_e32 v9, v5
	v_fmac_f32_e32 v4, 0xcf800000, v9
	v_cvt_u32_f32_e32 v5, v9
	v_cvt_u32_f32_e32 v4, v4
	s_xor_b64 s[84:85], exec, -1
	s_or_b64 s[82:83], s[4:5], exec
	flat_store_dwordx2 v[2:3], v[4:5]
.LBB94_4739:
	s_or_b64 exec, exec, s[80:81]
	s_andn2_b64 s[6:7], s[6:7], exec
	s_and_b64 s[76:77], s[84:85], exec
	s_or_b64 s[6:7], s[6:7], s[76:77]
	s_andn2_b64 s[4:5], s[4:5], exec
	s_and_b64 s[76:77], s[82:83], exec
	s_or_b64 s[4:5], s[4:5], s[76:77]
.LBB94_4740:
	s_or_b64 exec, exec, vcc
	v_readlane_b32 vcc_lo, v42, 9
	v_readlane_b32 vcc_hi, v42, 10
	s_andn2_b64 vcc, vcc, exec
	s_and_b64 s[6:7], s[6:7], exec
	s_or_b64 s[92:93], vcc, s[6:7]
	s_and_b64 s[6:7], s[4:5], exec
                                        ; implicit-def: $vgpr2_vgpr3
                                        ; implicit-def: $vgpr9
                                        ; implicit-def: $vgpr4
.LBB94_4741:
	s_andn2_saveexec_b64 s[88:89], s[88:89]
	s_cbranch_execz .LBB94_4757
; %bb.4742:
	v_mov_b32_e32 v5, 26
	v_cmp_gt_i16_sdwa s[4:5], v11, v5 src0_sel:BYTE_0 src1_sel:DWORD
	s_and_saveexec_b64 vcc, s[4:5]
	s_xor_b64 s[4:5], exec, vcc
	s_cbranch_execz .LBB94_4748
; %bb.4743:
	v_cvt_u32_f32_e32 v4, v4
	v_mov_b32_e32 v5, 27
	v_cmp_gt_i16_sdwa vcc, v11, v5 src0_sel:BYTE_0 src1_sel:DWORD
	s_and_saveexec_b64 s[76:77], vcc
	s_xor_b64 vcc, exec, s[76:77]
	s_cbranch_execz .LBB94_4745
; %bb.4744:
	flat_store_dword v[2:3], v4
                                        ; implicit-def: $vgpr2_vgpr3
                                        ; implicit-def: $vgpr4
.LBB94_4745:
	s_andn2_saveexec_b64 vcc, vcc
	s_cbranch_execz .LBB94_4747
; %bb.4746:
	flat_store_short v[2:3], v4
.LBB94_4747:
	s_or_b64 exec, exec, vcc
                                        ; implicit-def: $vgpr2_vgpr3
                                        ; implicit-def: $vgpr9
                                        ; implicit-def: $vgpr4
.LBB94_4748:
	s_andn2_saveexec_b64 s[96:97], s[4:5]
	s_cbranch_execz .LBB94_4756
; %bb.4749:
	v_readlane_b32 s4, v42, 23
	v_readlane_b32 s5, v42, 24
	v_cndmask_b32_e64 v9, |v0|, |v9|, s[4:5]
	s_mov_b32 s4, 0x43800000
	v_cmp_gt_u32_e64 s[4:5], s4, v9
	v_mov_b32_e32 v10, 0x80
	s_and_saveexec_b64 vcc, s[4:5]
	s_cbranch_execz .LBB94_4755
; %bb.4750:
	s_mov_b32 s4, 0x3bffffff
	v_cmp_lt_u32_e64 s[4:5], s4, v9
	s_mov_b64 s[84:85], 0
                                        ; implicit-def: $vgpr5
	s_and_saveexec_b64 s[76:77], s[4:5]
	s_xor_b64 s[4:5], exec, s[76:77]
	s_cbranch_execnz .LBB94_7937
; %bb.4751:
	s_or_saveexec_b64 s[80:81], s[4:5]
                                        ; implicit-def: $sgpr78
	s_xor_b64 exec, exec, s[80:81]
	s_cbranch_execnz .LBB94_7938
.LBB94_4752:
	s_or_b64 exec, exec, s[80:81]
	v_mov_b32_e32 v10, s78
	s_and_saveexec_b64 s[4:5], s[84:85]
.LBB94_4753:
	v_lshrrev_b32_e32 v4, 24, v4
	s_movk_i32 s76, 0x80
	v_and_or_b32 v10, v4, s76, v5
.LBB94_4754:
	s_or_b64 exec, exec, s[4:5]
.LBB94_4755:
	s_or_b64 exec, exec, vcc
	flat_store_byte v[2:3], v10
.LBB94_4756:
	s_or_b64 exec, exec, s[96:97]
	s_or_b64 s[6:7], s[6:7], exec
.LBB94_4757:
	s_or_b64 exec, exec, s[88:89]
	v_readlane_b32 s4, v42, 9
	v_readlane_b32 s5, v42, 10
	s_andn2_b64 s[4:5], s[4:5], exec
	s_and_b64 vcc, s[92:93], exec
	s_or_b64 s[92:93], s[4:5], vcc
	s_and_b64 s[6:7], s[6:7], exec
                                        ; implicit-def: $vgpr4
                                        ; implicit-def: $vgpr2_vgpr3
                                        ; implicit-def: $vgpr9
.LBB94_4758:
	s_andn2_saveexec_b64 s[96:97], s[90:91]
	s_cbranch_execz .LBB94_4802
; %bb.4759:
	v_mov_b32_e32 v5, 22
	v_cmp_gt_i16_sdwa vcc, v11, v5 src0_sel:BYTE_0 src1_sel:DWORD
	s_mov_b64 s[4:5], s[6:7]
	s_and_saveexec_b64 s[76:77], vcc
	s_xor_b64 s[88:89], exec, s[76:77]
	s_cbranch_execz .LBB94_4791
; %bb.4760:
	v_mov_b32_e32 v5, 23
	v_cmp_gt_i16_sdwa s[4:5], v11, v5 src0_sel:BYTE_0 src1_sel:DWORD
	s_and_saveexec_b64 vcc, s[4:5]
	s_xor_b64 s[82:83], exec, vcc
	s_cbranch_execz .LBB94_4780
; %bb.4761:
	v_mov_b32_e32 v5, 24
	v_cmp_gt_i16_sdwa s[4:5], v11, v5 src0_sel:BYTE_0 src1_sel:DWORD
	s_and_saveexec_b64 vcc, s[4:5]
	s_xor_b64 vcc, exec, vcc
	s_cbranch_execz .LBB94_4769
; %bb.4762:
	v_readlane_b32 s4, v42, 23
	v_readlane_b32 s5, v42, 24
	v_cndmask_b32_e64 v9, |v0|, |v9|, s[4:5]
	s_mov_b32 s4, 0x47800000
	v_cmp_gt_u32_e64 s[4:5], s4, v9
	v_mov_b32_e32 v10, 0x80
	s_and_saveexec_b64 s[84:85], s[4:5]
	s_cbranch_execz .LBB94_4768
; %bb.4763:
	s_mov_b32 s4, 0x37ffffff
	v_cmp_lt_u32_e64 s[4:5], s4, v9
	s_mov_b64 s[90:91], 0
                                        ; implicit-def: $vgpr5
	s_and_saveexec_b64 s[76:77], s[4:5]
	s_xor_b64 s[4:5], exec, s[76:77]
	s_cbranch_execnz .LBB94_7939
; %bb.4764:
	s_or_saveexec_b64 s[80:81], s[4:5]
                                        ; implicit-def: $sgpr78
	s_xor_b64 exec, exec, s[80:81]
	s_cbranch_execnz .LBB94_7940
.LBB94_4765:
	s_or_b64 exec, exec, s[80:81]
	v_mov_b32_e32 v10, s78
	s_and_saveexec_b64 s[4:5], s[90:91]
.LBB94_4766:
	v_lshrrev_b32_e32 v4, 24, v4
	s_movk_i32 s76, 0x80
	v_and_or_b32 v10, v4, s76, v5
.LBB94_4767:
	s_or_b64 exec, exec, s[4:5]
.LBB94_4768:
	s_or_b64 exec, exec, s[84:85]
	flat_store_byte v[2:3], v10
                                        ; implicit-def: $vgpr4
                                        ; implicit-def: $vgpr2_vgpr3
                                        ; implicit-def: $vgpr9
.LBB94_4769:
	s_andn2_saveexec_b64 vcc, vcc
	s_cbranch_execz .LBB94_4779
; %bb.4770:
	v_readlane_b32 s4, v42, 23
	v_readlane_b32 s5, v42, 24
	v_cndmask_b32_e64 v9, |v0|, |v9|, s[4:5]
	s_mov_b32 s4, 0x43f00000
	v_cmp_gt_u32_e64 s[4:5], s4, v9
                                        ; implicit-def: $vgpr5
	s_and_saveexec_b64 s[76:77], s[4:5]
	s_xor_b64 s[84:85], exec, s[76:77]
	s_cbranch_execz .LBB94_4776
; %bb.4771:
	s_mov_b32 s4, 0x3c7fffff
	v_cmp_lt_u32_e64 s[4:5], s4, v9
                                        ; implicit-def: $vgpr5
	s_and_saveexec_b64 s[76:77], s[4:5]
	s_xor_b64 s[80:81], exec, s[76:77]
; %bb.4772:
	v_bfe_u32 v5, v4, 20, 1
	s_mov_b32 s4, 0x407ffff
	v_add3_u32 v5, v4, v5, s4
	v_lshrrev_b32_e32 v9, 20, v5
	v_and_b32_e32 v5, 0xff00000, v5
	s_mov_b32 s4, 0x7f00000
	v_mov_b32_e32 v10, 0x7e
	v_cmp_ne_u32_e64 s[4:5], s4, v5
	v_cndmask_b32_e64 v5, v10, v9, s[4:5]
                                        ; implicit-def: $vgpr9
; %bb.4773:
	s_andn2_saveexec_b64 s[4:5], s[80:81]
; %bb.4774:
	v_add_f32_e32 v5, 0x46800000, v9
; %bb.4775:
	s_or_b64 exec, exec, s[4:5]
                                        ; implicit-def: $vgpr9
.LBB94_4776:
	s_andn2_saveexec_b64 s[80:81], s[84:85]
; %bb.4777:
	s_mov_b32 s4, 0x7f800000
	v_mov_b32_e32 v5, 0x7e
	v_mov_b32_e32 v10, 0x7f
	v_cmp_lt_u32_e64 s[4:5], s4, v9
	v_cndmask_b32_e64 v5, v5, v10, s[4:5]
; %bb.4778:
	s_or_b64 exec, exec, s[80:81]
	v_lshrrev_b32_e32 v4, 24, v4
	s_movk_i32 s4, 0x80
	v_and_or_b32 v4, v4, s4, v5
	flat_store_byte v[2:3], v4
.LBB94_4779:
	s_or_b64 exec, exec, vcc
                                        ; implicit-def: $vgpr4
                                        ; implicit-def: $vgpr2_vgpr3
                                        ; implicit-def: $vgpr9
.LBB94_4780:
	s_andn2_saveexec_b64 s[4:5], s[82:83]
	s_cbranch_execz .LBB94_4790
; %bb.4781:
	v_readlane_b32 vcc_lo, v42, 23
	v_readlane_b32 vcc_hi, v42, 24
	v_cndmask_b32_e64 v9, |v0|, |v9|, vcc
	s_mov_b32 vcc_lo, 0x47800000
	v_cmp_gt_u32_e32 vcc, vcc_lo, v9
                                        ; implicit-def: $vgpr5
	s_and_saveexec_b64 s[76:77], vcc
	s_xor_b64 s[82:83], exec, s[76:77]
	s_cbranch_execz .LBB94_4787
; %bb.4782:
	s_mov_b32 vcc_lo, 0x387fffff
	v_cmp_lt_u32_e32 vcc, vcc_lo, v9
                                        ; implicit-def: $vgpr5
	s_and_saveexec_b64 s[76:77], vcc
	s_xor_b64 vcc, exec, s[76:77]
; %bb.4783:
	v_bfe_u32 v5, v4, 21, 1
	s_mov_b32 s76, 0x80fffff
	v_add3_u32 v5, v4, v5, s76
	v_lshrrev_b32_e32 v5, 21, v5
                                        ; implicit-def: $vgpr9
; %bb.4784:
	s_andn2_saveexec_b64 vcc, vcc
; %bb.4785:
	v_add_f32_e32 v5, 0x43000000, v9
; %bb.4786:
	s_or_b64 exec, exec, vcc
                                        ; implicit-def: $vgpr9
.LBB94_4787:
	s_andn2_saveexec_b64 s[80:81], s[82:83]
; %bb.4788:
	s_mov_b32 vcc_lo, 0x7f800000
	v_mov_b32_e32 v5, 0x7c
	v_mov_b32_e32 v10, 0x7f
	v_cmp_lt_u32_e32 vcc, vcc_lo, v9
	v_cndmask_b32_e32 v5, v5, v10, vcc
; %bb.4789:
	s_or_b64 exec, exec, s[80:81]
	v_lshrrev_b32_e32 v4, 24, v4
	s_movk_i32 vcc_lo, 0x80
	v_and_or_b32 v4, v4, vcc_lo, v5
	flat_store_byte v[2:3], v4
.LBB94_4790:
	s_or_b64 exec, exec, s[4:5]
	s_or_b64 s[4:5], s[6:7], exec
                                        ; implicit-def: $vgpr4
                                        ; implicit-def: $vgpr2_vgpr3
.LBB94_4791:
	s_or_saveexec_b64 s[88:89], s[88:89]
	s_mov_b64 vcc, s[92:93]
	s_xor_b64 exec, exec, s[88:89]
	s_cbranch_execz .LBB94_4801
; %bb.4792:
	v_mov_b32_e32 v5, 14
	v_cmp_gt_i16_sdwa vcc, v11, v5 src0_sel:BYTE_0 src1_sel:DWORD
	s_mov_b64 s[84:85], s[4:5]
	s_mov_b64 s[90:91], s[92:93]
	s_and_saveexec_b64 s[76:77], vcc
	s_xor_b64 s[82:83], exec, s[76:77]
	s_cbranch_execz .LBB94_4796
; %bb.4793:
	v_mov_b32_e32 v5, 15
	v_cmp_eq_u16_sdwa s[76:77], v11, v5 src0_sel:BYTE_0 src1_sel:DWORD
	s_mov_b64 s[84:85], -1
	s_mov_b64 vcc, s[4:5]
	s_and_saveexec_b64 s[80:81], s[76:77]
	s_cbranch_execz .LBB94_4795
; %bb.4794:
	v_bfe_u32 v5, v4, 16, 1
	s_movk_i32 vcc_lo, 0x7fff
	v_add3_u32 v5, v4, v5, vcc_lo
	v_lshrrev_b32_e32 v5, 16, v5
	v_mov_b32_e32 v9, 0x7fc0
	v_cmp_o_f32_e32 vcc, v4, v4
	v_cndmask_b32_e32 v4, v9, v5, vcc
	flat_store_short v[2:3], v4
	s_xor_b64 s[84:85], exec, -1
	s_or_b64 vcc, s[4:5], exec
.LBB94_4795:
	s_or_b64 exec, exec, s[80:81]
	s_andn2_b64 s[76:77], s[92:93], exec
	s_and_b64 s[78:79], s[84:85], exec
	s_or_b64 s[90:91], s[76:77], s[78:79]
	s_andn2_b64 s[76:77], s[4:5], exec
	s_and_b64 vcc, vcc, exec
	s_or_b64 s[84:85], s[76:77], vcc
                                        ; implicit-def: $vgpr4
                                        ; implicit-def: $vgpr2_vgpr3
.LBB94_4796:
	s_andn2_saveexec_b64 s[82:83], s[82:83]
	s_cbranch_execz .LBB94_4800
; %bb.4797:
	v_mov_b32_e32 v5, 11
	v_cmp_eq_u16_sdwa s[76:77], v11, v5 src0_sel:BYTE_0 src1_sel:DWORD
	s_mov_b64 s[80:81], -1
	s_mov_b64 vcc, s[84:85]
	s_and_saveexec_b64 s[78:79], s[76:77]
	s_cbranch_execz .LBB94_4799
; %bb.4798:
	v_cmp_neq_f32_e32 vcc, 0, v4
	v_cndmask_b32_e64 v4, 0, 1, vcc
	flat_store_byte v[2:3], v4
	s_xor_b64 s[80:81], exec, -1
	s_or_b64 vcc, s[84:85], exec
.LBB94_4799:
	s_or_b64 exec, exec, s[78:79]
	s_andn2_b64 s[76:77], s[90:91], exec
	s_and_b64 s[78:79], s[80:81], exec
	s_or_b64 s[90:91], s[76:77], s[78:79]
	s_andn2_b64 s[76:77], s[84:85], exec
	s_and_b64 vcc, vcc, exec
	s_or_b64 s[84:85], s[76:77], vcc
.LBB94_4800:
	s_or_b64 exec, exec, s[82:83]
	s_andn2_b64 vcc, s[92:93], exec
	s_and_b64 s[76:77], s[90:91], exec
	s_or_b64 vcc, vcc, s[76:77]
	s_andn2_b64 s[4:5], s[4:5], exec
	s_and_b64 s[76:77], s[84:85], exec
	s_or_b64 s[4:5], s[4:5], s[76:77]
.LBB94_4801:
	s_or_b64 exec, exec, s[88:89]
	s_andn2_b64 s[76:77], s[92:93], exec
	s_and_b64 vcc, vcc, exec
	s_andn2_b64 s[6:7], s[6:7], exec
	s_and_b64 s[4:5], s[4:5], exec
	s_or_b64 s[92:93], s[76:77], vcc
	s_or_b64 s[6:7], s[6:7], s[4:5]
.LBB94_4802:
	s_or_b64 exec, exec, s[96:97]
	v_readlane_b32 s4, v42, 9
	v_readlane_b32 s5, v42, 10
	s_andn2_b64 s[4:5], s[4:5], exec
	s_and_b64 vcc, s[92:93], exec
	s_or_b64 s[4:5], s[4:5], vcc
	s_and_b64 s[6:7], s[6:7], exec
                                        ; implicit-def: $vgpr4
                                        ; implicit-def: $vgpr2_vgpr3
.LBB94_4803:
	v_readlane_b32 vcc_lo, v42, 25
	v_readlane_b32 vcc_hi, v42, 26
	s_andn2_saveexec_b64 s[92:93], vcc
	s_cbranch_execz .LBB94_4845
; %bb.4804:
	v_mov_b32_e32 v5, 4
	v_cmp_gt_i16_sdwa vcc, v11, v5 src0_sel:BYTE_0 src1_sel:DWORD
	s_and_saveexec_b64 s[76:77], vcc
	s_xor_b64 vcc, exec, s[76:77]
	s_cbranch_execz .LBB94_4826
; %bb.4805:
	v_mov_b32_e32 v5, 7
	v_cmp_gt_i16_sdwa s[76:77], v11, v5 src0_sel:BYTE_0 src1_sel:DWORD
	s_and_saveexec_b64 s[78:79], s[76:77]
	s_xor_b64 s[84:85], exec, s[78:79]
	s_cbranch_execz .LBB94_4815
; %bb.4806:
	v_mov_b32_e32 v5, 8
	v_cmp_gt_i16_sdwa s[76:77], v11, v5 src0_sel:BYTE_0 src1_sel:DWORD
	s_and_saveexec_b64 s[78:79], s[76:77]
	s_xor_b64 s[88:89], exec, s[78:79]
	;; [unrolled: 6-line block ×3, first 2 shown]
	s_cbranch_execz .LBB94_4809
; %bb.4808:
	v_mov_b32_e32 v18, 0
	v_cvt_f64_f32_e32 v[16:17], v4
	v_mov_b32_e32 v19, v18
	flat_store_dwordx4 v[2:3], v[16:19]
                                        ; implicit-def: $vgpr4
                                        ; implicit-def: $vgpr2_vgpr3
.LBB94_4809:
	s_andn2_saveexec_b64 s[78:79], s[80:81]
	s_cbranch_execz .LBB94_4811
; %bb.4810:
	v_mov_b32_e32 v5, 0
	flat_store_dwordx2 v[2:3], v[4:5]
.LBB94_4811:
	s_or_b64 exec, exec, s[78:79]
                                        ; implicit-def: $vgpr4
                                        ; implicit-def: $vgpr2_vgpr3
.LBB94_4812:
	s_andn2_saveexec_b64 s[78:79], s[88:89]
	s_cbranch_execz .LBB94_4814
; %bb.4813:
	v_cvt_f16_f32_e32 v4, v4
	flat_store_dword v[2:3], v4
.LBB94_4814:
	s_or_b64 exec, exec, s[78:79]
                                        ; implicit-def: $vgpr4
                                        ; implicit-def: $vgpr2_vgpr3
.LBB94_4815:
	s_andn2_saveexec_b64 s[84:85], s[84:85]
	s_cbranch_execz .LBB94_4825
; %bb.4816:
	v_mov_b32_e32 v5, 5
	v_cmp_gt_i16_sdwa s[76:77], v11, v5 src0_sel:BYTE_0 src1_sel:DWORD
	s_and_saveexec_b64 s[78:79], s[76:77]
	s_xor_b64 s[80:81], exec, s[78:79]
	s_cbranch_execz .LBB94_4822
; %bb.4817:
	v_mov_b32_e32 v5, 6
	v_cmp_gt_i16_sdwa s[76:77], v11, v5 src0_sel:BYTE_0 src1_sel:DWORD
	s_and_saveexec_b64 s[78:79], s[76:77]
	s_xor_b64 s[78:79], exec, s[78:79]
	s_cbranch_execz .LBB94_4819
; %bb.4818:
	v_cvt_f64_f32_e32 v[4:5], v4
	flat_store_dwordx2 v[2:3], v[4:5]
                                        ; implicit-def: $vgpr2_vgpr3
                                        ; implicit-def: $vgpr4
.LBB94_4819:
	s_andn2_saveexec_b64 s[78:79], s[78:79]
	s_cbranch_execz .LBB94_4821
; %bb.4820:
	flat_store_dword v[2:3], v4
.LBB94_4821:
	s_or_b64 exec, exec, s[78:79]
                                        ; implicit-def: $vgpr4
                                        ; implicit-def: $vgpr2_vgpr3
.LBB94_4822:
	s_andn2_saveexec_b64 s[78:79], s[80:81]
	s_cbranch_execz .LBB94_4824
; %bb.4823:
	v_cvt_f16_f32_e32 v4, v4
	flat_store_short v[2:3], v4
.LBB94_4824:
	s_or_b64 exec, exec, s[78:79]
.LBB94_4825:
	s_or_b64 exec, exec, s[84:85]
                                        ; implicit-def: $vgpr4
                                        ; implicit-def: $vgpr2_vgpr3
.LBB94_4826:
	s_andn2_saveexec_b64 s[88:89], vcc
	s_cbranch_execz .LBB94_4844
; %bb.4827:
	v_mov_b32_e32 v5, 1
	v_cmp_gt_i16_sdwa vcc, v11, v5 src0_sel:BYTE_0 src1_sel:DWORD
	s_and_saveexec_b64 s[76:77], vcc
	s_xor_b64 s[90:91], exec, s[76:77]
	s_cbranch_execz .LBB94_4837
; %bb.4828:
	v_mov_b32_e32 v5, 2
	v_cmp_gt_i16_sdwa vcc, v11, v5 src0_sel:BYTE_0 src1_sel:DWORD
	s_and_saveexec_b64 s[76:77], vcc
	s_xor_b64 s[84:85], exec, s[76:77]
	;; [unrolled: 6-line block ×3, first 2 shown]
	s_cbranch_execz .LBB94_4831
; %bb.4830:
	v_trunc_f32_e32 v4, v4
	s_mov_b32 s76, 0x2f800000
	v_mul_f32_e64 v5, |v4|, s76
	v_floor_f32_e32 v5, v5
	s_mov_b32 s76, 0xcf800000
	v_cvt_u32_f32_e32 v9, v5
	v_fma_f32 v5, v5, s76, |v4|
	v_cvt_u32_f32_e32 v5, v5
	v_ashrrev_i32_e32 v10, 31, v4
	v_xor_b32_e32 v9, v9, v10
	v_xor_b32_e32 v4, v5, v10
	v_sub_co_u32_e32 v4, vcc, v4, v10
	v_subb_co_u32_e32 v5, vcc, v9, v10, vcc
	flat_store_dwordx2 v[2:3], v[4:5]
                                        ; implicit-def: $vgpr4
                                        ; implicit-def: $vgpr2_vgpr3
.LBB94_4831:
	s_andn2_saveexec_b64 vcc, s[80:81]
	s_cbranch_execz .LBB94_4833
; %bb.4832:
	v_cvt_i32_f32_e32 v4, v4
	flat_store_dword v[2:3], v4
.LBB94_4833:
	s_or_b64 exec, exec, vcc
                                        ; implicit-def: $vgpr4
                                        ; implicit-def: $vgpr2_vgpr3
.LBB94_4834:
	s_andn2_saveexec_b64 vcc, s[84:85]
	s_cbranch_execz .LBB94_4836
; %bb.4835:
	v_cvt_i32_f32_e32 v4, v4
	flat_store_short v[2:3], v4
.LBB94_4836:
	s_or_b64 exec, exec, vcc
                                        ; implicit-def: $vgpr4
                                        ; implicit-def: $vgpr2_vgpr3
.LBB94_4837:
	s_andn2_saveexec_b64 vcc, s[90:91]
	s_cbranch_execz .LBB94_4843
; %bb.4838:
	v_mov_b32_e32 v5, 0
	v_cmp_gt_i16_sdwa s[76:77], v11, v5 src0_sel:BYTE_0 src1_sel:DWORD
	s_and_saveexec_b64 s[78:79], s[76:77]
	s_xor_b64 s[78:79], exec, s[78:79]
	s_cbranch_execz .LBB94_4840
; %bb.4839:
	v_cvt_i32_f32_e32 v4, v4
	flat_store_byte v[2:3], v4
                                        ; implicit-def: $vgpr4
                                        ; implicit-def: $vgpr2_vgpr3
.LBB94_4840:
	s_andn2_saveexec_b64 s[80:81], s[78:79]
	s_cbranch_execz .LBB94_4842
; %bb.4841:
	v_trunc_f32_e32 v4, v4
	s_mov_b32 s76, 0x2f800000
	v_mul_f32_e64 v5, |v4|, s76
	v_floor_f32_e32 v5, v5
	s_mov_b32 s76, 0xcf800000
	v_fma_f32 v5, v5, s76, |v4|
	v_cvt_u32_f32_e32 v5, v5
	v_ashrrev_i32_e32 v4, 31, v4
	v_xor_b32_e32 v5, v5, v4
	v_sub_u32_e32 v4, v5, v4
	flat_store_byte v[2:3], v4
.LBB94_4842:
	s_or_b64 exec, exec, s[80:81]
.LBB94_4843:
	s_or_b64 exec, exec, vcc
.LBB94_4844:
	s_or_b64 exec, exec, s[88:89]
	s_or_b64 s[6:7], s[6:7], exec
.LBB94_4845:
	s_or_b64 exec, exec, s[92:93]
	s_mov_b64 vcc, 0
	s_and_saveexec_b64 s[78:79], s[6:7]
; %bb.4846:
	s_mov_b64 vcc, exec
	v_add_u32_e32 v14, 0x200, v14
; %bb.4847:
	s_or_b64 exec, exec, s[78:79]
	v_readlane_b32 s6, v42, 9
	v_readlane_b32 s7, v42, 10
	s_andn2_b64 s[6:7], s[6:7], exec
	s_and_b64 s[4:5], s[4:5], exec
	s_or_b64 s[96:97], s[6:7], s[4:5]
	s_orn2_b64 s[80:81], vcc, exec
.LBB94_4848:
	v_readlane_b32 s4, v42, 21
	v_readlane_b32 s5, v42, 22
	s_or_b64 exec, exec, s[4:5]
	s_mov_b64 s[4:5], 0
	s_mov_b64 s[6:7], 0
	s_mov_b64 vcc, 0
                                        ; implicit-def: $vgpr2
                                        ; implicit-def: $vgpr103
                                        ; implicit-def: $vgpr4_vgpr5
	s_mov_b64 s[76:77], exec
	s_mov_b64 s[88:89], s[76:77]
	s_and_b64 s[76:77], s[76:77], s[80:81]
	s_mov_b64 exec, s[76:77]
	s_cbranch_execz .LBB94_4932
; %bb.4849:
	s_mov_b64 s[6:7], -1
	s_mov_b64 s[80:81], s[96:97]
	s_mov_b64 s[82:83], 0
	v_cmp_lt_i32_e32 vcc, v14, v6
                                        ; implicit-def: $vgpr2
                                        ; implicit-def: $vgpr103
                                        ; implicit-def: $vgpr4_vgpr5
	s_mov_b64 s[76:77], exec
	v_writelane_b32 v42, s76, 27
	s_and_b64 vcc, s[76:77], vcc
	v_writelane_b32 v42, s77, 28
	s_mov_b64 exec, vcc
	s_cbranch_execz .LBB94_4931
; %bb.4850:
	v_readlane_b32 s4, v44, 1
	v_add_u32_e32 v2, s4, v14
	v_mul_lo_u32 v2, v2, v12
	v_add_co_u32_e32 v4, vcc, v0, v2
	v_add_u32_e32 v0, 0x3e00, v13
	v_cmp_lt_i32_e64 s[4:5], v0, v6
	v_writelane_b32 v42, s4, 29
	v_addc_co_u32_e32 v5, vcc, 0, v1, vcc
	v_writelane_b32 v42, s5, 30
	s_brev_b32 s4, -2
	v_and_b32_e32 v103, 0xff, v11
	s_waitcnt vmcnt(0)
	v_bfi_b32 v2, s4, v7, v8
	s_mov_b64 s[80:81], -1
	s_mov_b64 vcc, 0
	s_mov_b64 s[84:85], s[96:97]
	v_cmp_lt_i16_e64 s[4:5], 10, v103
	s_mov_b64 s[6:7], exec
	v_writelane_b32 v42, s6, 31
	s_and_b64 s[4:5], s[6:7], s[4:5]
	v_writelane_b32 v42, s7, 32
	s_mov_b64 exec, s[4:5]
	s_cbranch_execz .LBB94_4930
; %bb.4851:
	s_mov_b64 s[6:7], 0
	v_writelane_b32 v42, s6, 33
	v_writelane_b32 v42, s7, 34
	v_cmp_lt_i16_e64 s[4:5], 25, v103
	s_mov_b64 s[6:7], s[96:97]
	v_writelane_b32 v42, vcc_lo, 35
	v_writelane_b32 v42, vcc_hi, 36
	s_and_saveexec_b64 vcc, s[4:5]
	s_xor_b64 vcc, exec, vcc
	v_writelane_b32 v42, vcc_lo, 37
	v_writelane_b32 v42, vcc_hi, 38
	s_cbranch_execz .LBB94_4887
; %bb.4852:
	v_cmp_lt_i16_e64 s[4:5], 28, v103
	s_mov_b64 s[6:7], 0
	s_mov_b64 vcc, s[96:97]
	s_and_saveexec_b64 s[76:77], s[4:5]
	s_xor_b64 s[92:93], exec, s[76:77]
	s_cbranch_execz .LBB94_4870
; %bb.4853:
	v_cmp_lt_i16_e64 s[4:5], 43, v103
	s_mov_b64 vcc, s[96:97]
	s_and_saveexec_b64 s[76:77], s[4:5]
	s_xor_b64 s[78:79], exec, s[76:77]
	s_cbranch_execz .LBB94_4865
; %bb.4854:
	v_cmp_lt_i16_e64 s[4:5], 45, v103
	s_mov_b64 vcc, 0
	s_mov_b64 s[76:77], s[96:97]
	s_and_saveexec_b64 s[6:7], s[4:5]
	s_xor_b64 s[6:7], exec, s[6:7]
	s_cbranch_execz .LBB94_4858
; %bb.4855:
	v_cmp_eq_u16_e64 s[4:5], 46, v103
	s_mov_b64 s[82:83], -1
	s_and_saveexec_b64 s[80:81], s[4:5]
	s_cbranch_execz .LBB94_4857
; %bb.4856:
	v_bfe_u32 v0, v2, 16, 1
	s_movk_i32 s4, 0x7fff
	v_add3_u32 v0, v2, v0, s4
	v_lshrrev_b32_e32 v0, 16, v0
	v_mov_b32_e32 v1, 0x7fc0
	v_cmp_o_f32_e64 s[4:5], v2, v2
	v_cndmask_b32_e64 v0, v1, v0, s[4:5]
	s_mov_b64 vcc, exec
	flat_store_dword v[4:5], v0
	s_xor_b64 s[82:83], exec, -1
.LBB94_4857:
	s_or_b64 exec, exec, s[80:81]
	s_andn2_b64 s[4:5], s[96:97], exec
	s_and_b64 s[76:77], s[82:83], exec
	s_and_b64 vcc, vcc, exec
	s_or_b64 s[76:77], s[4:5], s[76:77]
.LBB94_4858:
	s_andn2_saveexec_b64 s[84:85], s[6:7]
	s_cbranch_execz .LBB94_4864
; %bb.4859:
	v_cmp_eq_u16_e64 s[4:5], 44, v103
	s_mov_b64 s[6:7], -1
	s_mov_b64 s[82:83], vcc
	s_and_saveexec_b64 s[80:81], s[4:5]
	s_cbranch_execz .LBB94_4863
; %bb.4860:
	v_bfe_u32 v0, v2, 23, 8
	s_movk_i32 s4, 0xff
	v_cmp_ne_u32_e64 s[4:5], s4, v0
	v_mov_b32_e32 v1, 0xff
	s_and_saveexec_b64 s[82:83], s[4:5]
; %bb.4861:
	s_mov_b32 s6, 0x3fffff
	v_and_b32_e32 v3, 0x400000, v2
	v_and_or_b32 v0, v2, s6, v0
	v_cmp_ne_u32_e64 s[4:5], 0, v3
	v_cmp_ne_u32_e64 s[6:7], 0, v0
	s_and_b64 s[4:5], s[4:5], s[6:7]
	v_lshrrev_b32_e32 v1, 23, v2
	v_cndmask_b32_e64 v0, 0, 1, s[4:5]
	v_add_u32_e32 v1, v1, v0
; %bb.4862:
	s_or_b64 exec, exec, s[82:83]
	s_or_b64 s[82:83], vcc, exec
	s_xor_b64 s[6:7], exec, -1
	flat_store_byte v[4:5], v1
.LBB94_4863:
	s_or_b64 exec, exec, s[80:81]
	s_andn2_b64 s[4:5], vcc, exec
	s_and_b64 vcc, s[82:83], exec
	s_or_b64 vcc, s[4:5], vcc
	s_andn2_b64 s[4:5], s[76:77], exec
	s_and_b64 s[6:7], s[6:7], exec
	s_or_b64 s[76:77], s[4:5], s[6:7]
.LBB94_4864:
	s_or_b64 exec, exec, s[84:85]
	s_and_b64 s[6:7], vcc, exec
	s_andn2_b64 s[4:5], s[96:97], exec
	s_and_b64 vcc, s[76:77], exec
	s_or_b64 vcc, s[4:5], vcc
.LBB94_4865:
	s_andn2_saveexec_b64 s[84:85], s[78:79]
	s_cbranch_execz .LBB94_4869
; %bb.4866:
	v_cmp_eq_u16_e64 s[4:5], 29, v103
	s_mov_b64 s[82:83], -1
	s_mov_b64 s[76:77], s[6:7]
	s_and_saveexec_b64 s[80:81], s[4:5]
	s_cbranch_execz .LBB94_4868
; %bb.4867:
	v_trunc_f32_e32 v0, v2
	v_mul_f32_e32 v1, 0x2f800000, v0
	v_floor_f32_e32 v3, v1
	v_fmac_f32_e32 v0, 0xcf800000, v3
	v_cvt_u32_f32_e32 v1, v3
	v_cvt_u32_f32_e32 v0, v0
	s_or_b64 s[76:77], s[6:7], exec
	s_xor_b64 s[82:83], exec, -1
	flat_store_dwordx2 v[4:5], v[0:1]
.LBB94_4868:
	s_or_b64 exec, exec, s[80:81]
	s_andn2_b64 s[4:5], s[6:7], exec
	s_and_b64 s[6:7], s[76:77], exec
	s_or_b64 s[6:7], s[4:5], s[6:7]
	s_andn2_b64 s[4:5], vcc, exec
	s_and_b64 vcc, s[82:83], exec
	s_or_b64 vcc, s[4:5], vcc
.LBB94_4869:
	s_or_b64 exec, exec, s[84:85]
	s_andn2_b64 s[4:5], s[96:97], exec
	s_and_b64 vcc, vcc, exec
	s_and_b64 s[6:7], s[6:7], exec
	s_or_b64 vcc, s[4:5], vcc
                                        ; implicit-def: $vgpr7
.LBB94_4870:
	s_andn2_saveexec_b64 s[92:93], s[92:93]
	s_cbranch_execz .LBB94_4886
; %bb.4871:
	v_cmp_lt_i16_e64 s[4:5], 26, v103
	s_and_saveexec_b64 s[76:77], s[4:5]
	s_xor_b64 s[80:81], exec, s[76:77]
	s_cbranch_execz .LBB94_4877
; %bb.4872:
	v_cvt_u32_f32_e32 v0, v2
	v_cmp_lt_i16_e64 s[4:5], 27, v103
	s_and_saveexec_b64 s[76:77], s[4:5]
	s_xor_b64 s[4:5], exec, s[76:77]
	s_cbranch_execz .LBB94_4874
; %bb.4873:
	flat_store_dword v[4:5], v0
                                        ; implicit-def: $vgpr0
.LBB94_4874:
	s_andn2_saveexec_b64 s[4:5], s[4:5]
	s_cbranch_execz .LBB94_4876
; %bb.4875:
	flat_store_short v[4:5], v0
.LBB94_4876:
	s_or_b64 exec, exec, s[4:5]
                                        ; implicit-def: $vgpr7
.LBB94_4877:
	s_andn2_saveexec_b64 s[82:83], s[80:81]
	s_cbranch_execz .LBB94_4885
; %bb.4878:
	v_readlane_b32 s4, v42, 29
	v_readlane_b32 s5, v42, 30
	v_cndmask_b32_e64 v1, |v0|, |v7|, s[4:5]
	s_mov_b32 s4, 0x43800000
	v_cmp_gt_u32_e64 s[4:5], s4, v1
	v_mov_b32_e32 v3, 0x80
	s_and_saveexec_b64 s[84:85], s[4:5]
	s_cbranch_execz .LBB94_4884
; %bb.4879:
	s_mov_b32 s4, 0x3bffffff
	v_cmp_lt_u32_e64 s[4:5], s4, v1
	s_mov_b64 s[90:91], 0
                                        ; implicit-def: $vgpr0
	s_and_saveexec_b64 s[76:77], s[4:5]
	s_xor_b64 s[4:5], exec, s[76:77]
	s_cbranch_execnz .LBB94_7941
; %bb.4880:
	s_or_saveexec_b64 s[80:81], s[4:5]
                                        ; implicit-def: $sgpr78
	s_xor_b64 exec, exec, s[80:81]
	s_cbranch_execnz .LBB94_7942
.LBB94_4881:
	s_or_b64 exec, exec, s[80:81]
	v_mov_b32_e32 v3, s78
	s_and_saveexec_b64 s[4:5], s[90:91]
.LBB94_4882:
	v_lshrrev_b32_e32 v1, 24, v2
	s_movk_i32 s76, 0x80
	v_and_or_b32 v3, v1, s76, v0
.LBB94_4883:
	s_or_b64 exec, exec, s[4:5]
.LBB94_4884:
	s_or_b64 exec, exec, s[84:85]
	flat_store_byte v[4:5], v3
.LBB94_4885:
	s_or_b64 exec, exec, s[82:83]
	s_or_b64 s[6:7], s[6:7], exec
.LBB94_4886:
	s_or_b64 exec, exec, s[92:93]
	s_and_b64 s[4:5], s[6:7], exec
	v_writelane_b32 v42, s4, 35
	v_writelane_b32 v42, s5, 36
	s_andn2_b64 s[4:5], s[96:97], exec
	s_and_b64 s[6:7], vcc, exec
	s_or_b64 s[6:7], s[4:5], s[6:7]
                                        ; implicit-def: $vgpr7
.LBB94_4887:
	v_readlane_b32 s4, v42, 37
	v_readlane_b32 s5, v42, 38
	s_or_saveexec_b64 s[4:5], s[4:5]
	v_writelane_b32 v42, s4, 39
	v_writelane_b32 v42, s5, 40
	s_xor_b64 exec, exec, s[4:5]
	s_cbranch_execz .LBB94_4929
; %bb.4888:
	v_readlane_b32 s92, v42, 35
	v_cmp_lt_i16_e64 s[4:5], 22, v103
	v_readlane_b32 s93, v42, 36
	s_and_saveexec_b64 vcc, s[4:5]
	s_xor_b64 vcc, exec, vcc
	v_writelane_b32 v42, vcc_lo, 41
	v_writelane_b32 v42, vcc_hi, 42
	s_cbranch_execz .LBB94_4920
; %bb.4889:
	v_cmp_lt_i16_e64 s[4:5], 23, v103
	s_and_saveexec_b64 vcc, s[4:5]
	s_xor_b64 vcc, exec, vcc
	s_cbranch_execz .LBB94_4909
; %bb.4890:
	v_cmp_lt_i16_e64 s[4:5], 24, v103
	s_and_saveexec_b64 s[76:77], s[4:5]
	s_xor_b64 s[92:93], exec, s[76:77]
	s_cbranch_execz .LBB94_4898
; %bb.4891:
	v_readlane_b32 s4, v42, 29
	v_readlane_b32 s5, v42, 30
	v_cndmask_b32_e64 v1, |v0|, |v7|, s[4:5]
	s_mov_b32 s4, 0x47800000
	v_cmp_gt_u32_e64 s[4:5], s4, v1
	v_mov_b32_e32 v3, 0x80
	s_and_saveexec_b64 s[84:85], s[4:5]
	s_cbranch_execz .LBB94_4897
; %bb.4892:
	s_mov_b32 s4, 0x37ffffff
	v_cmp_lt_u32_e64 s[4:5], s4, v1
	s_mov_b64 s[90:91], 0
                                        ; implicit-def: $vgpr0
	s_and_saveexec_b64 s[76:77], s[4:5]
	s_xor_b64 s[4:5], exec, s[76:77]
	s_cbranch_execnz .LBB94_7943
; %bb.4893:
	s_or_saveexec_b64 s[80:81], s[4:5]
                                        ; implicit-def: $sgpr78
	s_xor_b64 exec, exec, s[80:81]
	s_cbranch_execnz .LBB94_7944
.LBB94_4894:
	s_or_b64 exec, exec, s[80:81]
	v_mov_b32_e32 v3, s78
	s_and_saveexec_b64 s[4:5], s[90:91]
.LBB94_4895:
	v_lshrrev_b32_e32 v1, 24, v2
	s_movk_i32 s76, 0x80
	v_and_or_b32 v3, v1, s76, v0
.LBB94_4896:
	s_or_b64 exec, exec, s[4:5]
.LBB94_4897:
	s_or_b64 exec, exec, s[84:85]
	flat_store_byte v[4:5], v3
                                        ; implicit-def: $vgpr7
.LBB94_4898:
	s_andn2_saveexec_b64 s[92:93], s[92:93]
	s_cbranch_execz .LBB94_4908
; %bb.4899:
	v_readlane_b32 s4, v42, 29
	v_readlane_b32 s5, v42, 30
	v_cndmask_b32_e64 v1, |v0|, |v7|, s[4:5]
	s_mov_b32 s4, 0x43f00000
	v_cmp_gt_u32_e64 s[4:5], s4, v1
                                        ; implicit-def: $vgpr0
	s_and_saveexec_b64 s[76:77], s[4:5]
	s_xor_b64 s[84:85], exec, s[76:77]
	s_cbranch_execz .LBB94_4905
; %bb.4900:
	s_mov_b32 s4, 0x3c7fffff
	v_cmp_lt_u32_e64 s[4:5], s4, v1
                                        ; implicit-def: $vgpr0
	s_and_saveexec_b64 s[76:77], s[4:5]
	s_xor_b64 s[80:81], exec, s[76:77]
; %bb.4901:
	v_bfe_u32 v0, v2, 20, 1
	s_mov_b32 s4, 0x407ffff
	v_add3_u32 v0, v2, v0, s4
	v_lshrrev_b32_e32 v1, 20, v0
	v_and_b32_e32 v0, 0xff00000, v0
	s_mov_b32 s4, 0x7f00000
	v_mov_b32_e32 v3, 0x7e
	v_cmp_ne_u32_e64 s[4:5], s4, v0
	v_cndmask_b32_e64 v0, v3, v1, s[4:5]
                                        ; implicit-def: $vgpr1
; %bb.4902:
	s_andn2_saveexec_b64 s[4:5], s[80:81]
; %bb.4903:
	v_add_f32_e32 v0, 0x46800000, v1
; %bb.4904:
	s_or_b64 exec, exec, s[4:5]
                                        ; implicit-def: $vgpr1
.LBB94_4905:
	s_andn2_saveexec_b64 s[80:81], s[84:85]
; %bb.4906:
	s_mov_b32 s4, 0x7f800000
	v_mov_b32_e32 v0, 0x7e
	v_mov_b32_e32 v3, 0x7f
	v_cmp_lt_u32_e64 s[4:5], s4, v1
	v_cndmask_b32_e64 v0, v0, v3, s[4:5]
; %bb.4907:
	s_or_b64 exec, exec, s[80:81]
	v_lshrrev_b32_e32 v1, 24, v2
	s_movk_i32 s4, 0x80
	v_and_or_b32 v0, v1, s4, v0
	flat_store_byte v[4:5], v0
.LBB94_4908:
	s_or_b64 exec, exec, s[92:93]
                                        ; implicit-def: $vgpr7
.LBB94_4909:
	s_andn2_saveexec_b64 s[4:5], vcc
	s_cbranch_execz .LBB94_4919
; %bb.4910:
	v_readlane_b32 vcc_lo, v42, 29
	v_readlane_b32 vcc_hi, v42, 30
	v_cndmask_b32_e64 v1, |v0|, |v7|, vcc
	s_mov_b32 vcc_lo, 0x47800000
	v_cmp_gt_u32_e32 vcc, vcc_lo, v1
                                        ; implicit-def: $vgpr0
	s_and_saveexec_b64 s[76:77], vcc
	s_xor_b64 s[82:83], exec, s[76:77]
	s_cbranch_execz .LBB94_4916
; %bb.4911:
	s_mov_b32 vcc_lo, 0x387fffff
	v_cmp_lt_u32_e32 vcc, vcc_lo, v1
                                        ; implicit-def: $vgpr0
	s_and_saveexec_b64 s[76:77], vcc
	s_xor_b64 vcc, exec, s[76:77]
; %bb.4912:
	v_bfe_u32 v0, v2, 21, 1
	s_mov_b32 s76, 0x80fffff
	v_add3_u32 v0, v2, v0, s76
	v_lshrrev_b32_e32 v0, 21, v0
                                        ; implicit-def: $vgpr1
; %bb.4913:
	s_andn2_saveexec_b64 vcc, vcc
; %bb.4914:
	v_add_f32_e32 v0, 0x43000000, v1
; %bb.4915:
	s_or_b64 exec, exec, vcc
                                        ; implicit-def: $vgpr1
.LBB94_4916:
	s_andn2_saveexec_b64 s[80:81], s[82:83]
; %bb.4917:
	s_mov_b32 vcc_lo, 0x7f800000
	v_mov_b32_e32 v0, 0x7c
	v_mov_b32_e32 v3, 0x7f
	v_cmp_lt_u32_e32 vcc, vcc_lo, v1
	v_cndmask_b32_e32 v0, v0, v3, vcc
; %bb.4918:
	s_or_b64 exec, exec, s[80:81]
	v_lshrrev_b32_e32 v1, 24, v2
	s_movk_i32 vcc_lo, 0x80
	v_and_or_b32 v0, v1, vcc_lo, v0
	flat_store_byte v[4:5], v0
.LBB94_4919:
	s_or_b64 exec, exec, s[4:5]
	v_readlane_b32 s4, v42, 35
	v_readlane_b32 s5, v42, 36
	s_or_b64 s[92:93], s[4:5], exec
.LBB94_4920:
	v_readlane_b32 s4, v42, 41
	v_readlane_b32 s5, v42, 42
	s_or_saveexec_b64 s[4:5], s[4:5]
	s_mov_b64 vcc, 0
	s_mov_b64 s[80:81], s[6:7]
	s_xor_b64 exec, exec, s[4:5]
	s_cbranch_execz .LBB94_4928
; %bb.4921:
	v_cmp_lt_i16_e32 vcc, 14, v103
	s_mov_b64 s[84:85], s[6:7]
	s_mov_b64 s[90:91], s[92:93]
	s_and_saveexec_b64 s[76:77], vcc
	s_xor_b64 s[82:83], exec, s[76:77]
	s_cbranch_execz .LBB94_4925
; %bb.4922:
	v_cmp_eq_u16_e32 vcc, 15, v103
	s_mov_b64 s[84:85], -1
	s_mov_b64 s[90:91], s[92:93]
	s_and_saveexec_b64 s[80:81], vcc
	s_cbranch_execz .LBB94_4924
; %bb.4923:
	v_bfe_u32 v0, v2, 16, 1
	s_movk_i32 vcc_lo, 0x7fff
	v_add3_u32 v0, v2, v0, vcc_lo
	v_lshrrev_b32_e32 v0, 16, v0
	v_mov_b32_e32 v1, 0x7fc0
	v_cmp_o_f32_e32 vcc, v2, v2
	v_cndmask_b32_e32 v0, v1, v0, vcc
	flat_store_short v[4:5], v0
	s_or_b64 s[90:91], s[92:93], exec
	s_xor_b64 s[84:85], exec, -1
.LBB94_4924:
	s_or_b64 exec, exec, s[80:81]
	s_andn2_b64 vcc, s[92:93], exec
	s_and_b64 s[76:77], s[90:91], exec
	s_or_b64 s[90:91], vcc, s[76:77]
	s_andn2_b64 vcc, s[6:7], exec
	s_and_b64 s[76:77], s[84:85], exec
	s_or_b64 s[84:85], vcc, s[76:77]
.LBB94_4925:
	s_or_saveexec_b64 s[80:81], s[82:83]
	s_mov_b64 s[82:83], 0
	s_xor_b64 exec, exec, s[80:81]
; %bb.4926:
	v_cmp_ne_u16_e32 vcc, 11, v103
	s_andn2_b64 s[76:77], s[84:85], exec
	s_and_b64 vcc, vcc, exec
	s_mov_b64 s[82:83], exec
	s_or_b64 s[84:85], s[76:77], vcc
; %bb.4927:
	s_or_b64 exec, exec, s[80:81]
	s_andn2_b64 vcc, s[92:93], exec
	s_and_b64 s[78:79], s[90:91], exec
	s_or_b64 s[92:93], vcc, s[78:79]
	s_andn2_b64 s[78:79], s[6:7], exec
	s_and_b64 s[80:81], s[84:85], exec
	s_and_b64 vcc, s[82:83], exec
	s_or_b64 s[80:81], s[78:79], s[80:81]
.LBB94_4928:
	s_or_b64 exec, exec, s[4:5]
	v_readlane_b32 s4, v42, 35
	v_readlane_b32 s5, v42, 36
	s_andn2_b64 s[4:5], s[4:5], exec
	s_and_b64 s[76:77], s[92:93], exec
	s_or_b64 s[4:5], s[4:5], s[76:77]
	v_writelane_b32 v42, s4, 35
	v_writelane_b32 v42, s5, 36
	s_and_b64 s[4:5], vcc, exec
	v_writelane_b32 v42, s4, 33
	v_writelane_b32 v42, s5, 34
	s_andn2_b64 s[4:5], s[6:7], exec
	s_and_b64 s[6:7], s[80:81], exec
	s_or_b64 s[6:7], s[4:5], s[6:7]
.LBB94_4929:
	v_readlane_b32 s4, v42, 39
	v_readlane_b32 s5, v42, 40
	s_or_b64 exec, exec, s[4:5]
	v_readlane_b32 s4, v42, 35
	v_readlane_b32 s5, v42, 36
	s_and_b64 s[82:83], s[4:5], exec
	v_readlane_b32 s4, v42, 33
	v_readlane_b32 s5, v42, 34
	s_and_b64 vcc, s[4:5], exec
	s_andn2_b64 s[4:5], s[96:97], exec
	s_and_b64 s[6:7], s[6:7], exec
	s_xor_b64 s[80:81], exec, -1
	s_or_b64 s[84:85], s[4:5], s[6:7]
.LBB94_4930:
	v_readlane_b32 s4, v42, 31
	v_readlane_b32 s5, v42, 32
	s_or_b64 exec, exec, s[4:5]
	s_and_b64 s[4:5], vcc, exec
	s_andn2_b64 vcc, s[96:97], exec
	s_and_b64 s[76:77], s[84:85], exec
	s_orn2_b64 s[6:7], s[82:83], exec
	s_and_b64 s[82:83], s[80:81], exec
	s_or_b64 s[80:81], vcc, s[76:77]
.LBB94_4931:
	v_readlane_b32 vcc_lo, v42, 27
	v_readlane_b32 vcc_hi, v42, 28
	s_or_b64 exec, exec, vcc
	s_andn2_b64 s[76:77], s[96:97], exec
	s_and_b64 s[78:79], s[80:81], exec
	s_and_b64 vcc, s[6:7], exec
	s_and_b64 s[6:7], s[82:83], exec
	s_and_b64 s[4:5], s[4:5], exec
	s_or_b64 s[96:97], s[76:77], s[78:79]
.LBB94_4932:
	s_or_b64 exec, exec, s[88:89]
	v_readlane_b32 s76, v42, 9
	v_readlane_b32 s77, v42, 10
	s_andn2_b64 s[76:77], s[76:77], exec
	s_and_b64 s[78:79], s[96:97], exec
	s_or_b64 s[76:77], s[76:77], s[78:79]
	s_and_b64 vcc, vcc, exec
	s_and_b64 s[6:7], s[6:7], exec
	s_and_b64 s[4:5], s[4:5], exec
	v_writelane_b32 v42, s76, 9
	v_writelane_b32 v42, s77, 10
.LBB94_4933:
	v_readlane_b32 s76, v42, 11
	v_readlane_b32 s77, v42, 12
	s_or_b64 exec, exec, s[76:77]
	v_readlane_b32 s76, v43, 61
	v_readlane_b32 s78, v42, 9
	;; [unrolled: 1-line block ×4, first 2 shown]
	s_andn2_b64 s[76:77], s[76:77], exec
	s_and_b64 s[78:79], s[78:79], exec
	s_or_b64 s[76:77], s[76:77], s[78:79]
	s_and_b64 vcc, vcc, exec
	s_and_b64 s[6:7], s[6:7], exec
	s_and_b64 s[4:5], s[4:5], exec
	v_writelane_b32 v43, s76, 61
	v_writelane_b32 v43, s77, 62
.LBB94_4934:
	v_readlane_b32 s76, v43, 63
	v_readlane_b32 s77, v42, 0
	s_or_b64 exec, exec, s[76:77]
	v_readlane_b32 s76, v43, 49
	v_readlane_b32 s78, v43, 61
	;; [unrolled: 1-line block ×4, first 2 shown]
	s_andn2_b64 s[76:77], s[76:77], exec
	s_and_b64 s[78:79], s[78:79], exec
	s_or_b64 s[76:77], s[76:77], s[78:79]
	s_and_b64 vcc, vcc, exec
	s_and_b64 s[6:7], s[6:7], exec
	s_and_b64 s[4:5], s[4:5], exec
	v_writelane_b32 v43, s76, 49
	v_writelane_b32 v43, s77, 50
.LBB94_4935:
	v_readlane_b32 s76, v43, 51
	v_readlane_b32 s77, v43, 52
	s_or_b64 exec, exec, s[76:77]
	v_readlane_b32 s78, v43, 49
	v_readlane_b32 s79, v43, 50
	s_andn2_b64 s[76:77], s[94:95], exec
	s_and_b64 s[78:79], s[78:79], exec
	s_and_b64 vcc, vcc, exec
	s_and_b64 s[6:7], s[6:7], exec
	s_and_b64 s[4:5], s[4:5], exec
	s_or_b64 s[94:95], s[76:77], s[78:79]
.LBB94_4936:
	v_readlane_b32 s76, v43, 41
	v_readlane_b32 s77, v43, 42
	s_or_b64 exec, exec, s[76:77]
	v_readlane_b32 s76, v43, 33
	v_readlane_b32 s77, v43, 34
	s_andn2_b64 s[76:77], s[76:77], exec
	s_and_b64 s[78:79], s[94:95], exec
	s_or_b64 s[76:77], s[76:77], s[78:79]
	s_and_b64 vcc, vcc, exec
	s_and_b64 s[6:7], s[6:7], exec
	s_and_b64 s[4:5], s[4:5], exec
	v_writelane_b32 v43, s76, 33
	v_writelane_b32 v43, s77, 34
.LBB94_4937:
	v_readlane_b32 s76, v43, 35
	v_readlane_b32 s77, v43, 36
	s_or_b64 exec, exec, s[76:77]
	v_readlane_b32 s78, v43, 33
	v_readlane_b32 s79, v43, 34
	s_andn2_b64 s[76:77], s[86:87], exec
	s_and_b64 s[78:79], s[78:79], exec
	s_and_b64 vcc, vcc, exec
	s_and_b64 s[6:7], s[6:7], exec
	s_and_b64 s[4:5], s[4:5], exec
	s_or_b64 s[86:87], s[76:77], s[78:79]
.LBB94_4938:
	v_readlane_b32 s76, v43, 29
	v_readlane_b32 s77, v43, 30
	s_or_b64 exec, exec, s[76:77]
	v_readlane_b32 s76, v43, 23
	v_readlane_b32 s77, v43, 24
	s_andn2_b64 s[76:77], s[76:77], exec
	s_and_b64 s[78:79], s[86:87], exec
	s_or_b64 s[76:77], s[76:77], s[78:79]
	s_and_b64 vcc, vcc, exec
	s_and_b64 s[6:7], s[6:7], exec
	s_and_b64 s[4:5], s[4:5], exec
	v_writelane_b32 v43, s76, 23
	v_writelane_b32 v43, s77, 24
.LBB94_4939:
	v_readlane_b32 s76, v43, 25
	v_readlane_b32 s77, v43, 26
	s_or_b64 exec, exec, s[76:77]
	v_readlane_b32 s76, v43, 18
	v_readlane_b32 s78, v43, 23
	;; [unrolled: 1-line block ×4, first 2 shown]
	s_andn2_b64 s[76:77], s[76:77], exec
	s_and_b64 s[78:79], s[78:79], exec
	s_or_b64 s[76:77], s[76:77], s[78:79]
	s_and_b64 vcc, vcc, exec
	s_and_b64 s[6:7], s[6:7], exec
	s_and_b64 s[4:5], s[4:5], exec
	v_writelane_b32 v43, s76, 18
	v_writelane_b32 v43, s77, 19
.LBB94_4940:
	v_readlane_b32 s76, v43, 20
	v_readlane_b32 s77, v43, 21
	s_or_b64 exec, exec, s[76:77]
	v_readlane_b32 s76, v43, 18
	v_readlane_b32 s77, v43, 19
	s_andn2_b64 s[74:75], s[74:75], exec
	s_and_b64 s[76:77], s[76:77], exec
	s_and_b64 vcc, vcc, exec
	s_and_b64 s[6:7], s[6:7], exec
	s_and_b64 s[4:5], s[4:5], exec
	s_or_b64 s[74:75], s[74:75], s[76:77]
.LBB94_4941:
	v_readlane_b32 s76, v43, 16
	v_readlane_b32 s77, v43, 17
	s_or_b64 exec, exec, s[76:77]
	s_andn2_b64 s[70:71], s[70:71], exec
	s_and_b64 s[74:75], s[74:75], exec
	s_and_b64 vcc, vcc, exec
	s_and_b64 s[6:7], s[6:7], exec
	s_and_b64 s[4:5], s[4:5], exec
	s_or_b64 s[70:71], s[70:71], s[74:75]
.LBB94_4942:
	s_or_b64 exec, exec, s[72:73]
	s_andn2_b64 s[66:67], s[66:67], exec
	s_and_b64 s[70:71], s[70:71], exec
	s_and_b64 vcc, vcc, exec
	s_and_b64 s[6:7], s[6:7], exec
	s_and_b64 s[4:5], s[4:5], exec
	s_or_b64 s[66:67], s[66:67], s[70:71]
.LBB94_4943:
	s_or_b64 exec, exec, s[68:69]
	s_andn2_b64 s[62:63], s[62:63], exec
	s_and_b64 s[66:67], s[66:67], exec
	s_and_b64 vcc, vcc, exec
	s_and_b64 s[6:7], s[6:7], exec
	s_and_b64 s[4:5], s[4:5], exec
	s_or_b64 s[62:63], s[62:63], s[66:67]
.LBB94_4944:
	s_or_b64 exec, exec, s[64:65]
	s_andn2_b64 s[58:59], s[58:59], exec
	s_and_b64 s[62:63], s[62:63], exec
	s_and_b64 vcc, vcc, exec
	s_and_b64 s[6:7], s[6:7], exec
	s_and_b64 s[4:5], s[4:5], exec
	s_or_b64 s[58:59], s[58:59], s[62:63]
.LBB94_4945:
	s_or_b64 exec, exec, s[60:61]
	s_andn2_b64 s[54:55], s[54:55], exec
	s_and_b64 s[58:59], s[58:59], exec
	s_and_b64 vcc, vcc, exec
	s_and_b64 s[6:7], s[6:7], exec
	s_and_b64 s[4:5], s[4:5], exec
	s_or_b64 s[54:55], s[54:55], s[58:59]
.LBB94_4946:
	s_or_b64 exec, exec, s[56:57]
	s_andn2_b64 s[50:51], s[50:51], exec
	s_and_b64 s[54:55], s[54:55], exec
	s_and_b64 vcc, vcc, exec
	s_and_b64 s[6:7], s[6:7], exec
	s_and_b64 s[4:5], s[4:5], exec
	s_or_b64 s[50:51], s[50:51], s[54:55]
.LBB94_4947:
	s_or_b64 exec, exec, s[52:53]
	s_andn2_b64 s[46:47], s[46:47], exec
	s_and_b64 s[50:51], s[50:51], exec
	s_and_b64 vcc, vcc, exec
	s_and_b64 s[6:7], s[6:7], exec
	s_and_b64 s[4:5], s[4:5], exec
	s_or_b64 s[46:47], s[46:47], s[50:51]
.LBB94_4948:
	s_or_b64 exec, exec, s[48:49]
	s_andn2_b64 s[42:43], s[42:43], exec
	s_and_b64 s[46:47], s[46:47], exec
	s_and_b64 vcc, vcc, exec
	s_and_b64 s[6:7], s[6:7], exec
	s_and_b64 s[4:5], s[4:5], exec
	s_or_b64 s[42:43], s[42:43], s[46:47]
.LBB94_4949:
	s_or_b64 exec, exec, s[44:45]
	s_and_b64 s[44:45], vcc, exec
	s_and_b64 vcc, s[6:7], exec
	s_and_b64 s[6:7], s[4:5], exec
	v_readlane_b32 s4, v43, 14
	v_readlane_b32 s5, v43, 15
	s_andn2_b64 s[4:5], s[4:5], exec
	s_and_b64 s[42:43], s[42:43], exec
	s_or_b64 s[4:5], s[4:5], s[42:43]
	v_readlane_b32 s42, v43, 12
	v_readlane_b32 s43, v43, 13
.LBB94_4950:
	s_or_b64 exec, exec, s[42:43]
	s_and_b64 s[46:47], vcc, exec
	s_and_b64 vcc, s[6:7], exec
	s_andn2_b64 s[6:7], s[38:39], exec
	s_and_b64 s[4:5], s[4:5], exec
	s_and_b64 s[48:49], s[44:45], exec
	s_or_b64 s[38:39], s[6:7], s[4:5]
	v_readlane_b32 s42, v43, 10
	v_readlane_b32 s6, v43, 8
	;; [unrolled: 1-line block ×8, first 2 shown]
.LBB94_4951:
	s_or_b64 exec, exec, s[40:41]
	s_and_b64 s[40:41], vcc, exec
	v_readlane_b32 vcc_lo, v43, 0
	v_readlane_b32 vcc_hi, v43, 1
	s_andn2_b64 vcc, vcc, exec
	s_and_b64 s[38:39], s[38:39], exec
	s_or_b64 vcc, vcc, s[38:39]
	v_writelane_b32 v43, vcc_lo, 0
	v_writelane_b32 v43, vcc_hi, 1
	s_and_b64 s[50:51], s[48:49], exec
	v_readlane_b32 vcc_lo, v44, 56
	v_readlane_b32 s38, v44, 58
	v_readlane_b32 s48, v44, 62
	v_readlane_b32 s52, v43, 2
	s_and_b64 s[46:47], s[46:47], exec
	v_readlane_b32 vcc_hi, v44, 57
	v_readlane_b32 s39, v44, 59
	v_readlane_b32 s49, v44, 63
	;; [unrolled: 1-line block ×3, first 2 shown]
.LBB94_4952:
	s_or_b64 exec, exec, s[52:53]
	v_readlane_b32 s52, v44, 60
	v_readlane_b32 s53, v44, 61
	s_andn2_b64 s[54:55], s[52:53], exec
	v_readlane_b32 s52, v43, 0
	v_readlane_b32 s53, v43, 1
	s_and_b64 s[52:53], s[52:53], exec
	s_or_b64 s[52:53], s[54:55], s[52:53]
	s_and_b64 s[50:51], s[50:51], exec
	s_and_b64 s[46:47], s[46:47], exec
	;; [unrolled: 1-line block ×3, first 2 shown]
	v_writelane_b32 v44, s52, 60
	v_writelane_b32 v44, s53, 61
.LBB94_4953:
	s_or_b64 exec, exec, s[48:49]
	s_and_b64 s[48:49], s[50:51], exec
	s_andn2_b64 s[50:51], s[36:37], exec
	v_readlane_b32 s36, v44, 60
	v_readlane_b32 s37, v44, 61
	s_and_b64 s[36:37], s[36:37], exec
	s_and_b64 s[46:47], s[46:47], exec
	s_and_b64 s[40:41], s[40:41], exec
	s_or_b64 s[36:37], s[50:51], s[36:37]
.LBB94_4954:
	s_or_b64 exec, exec, s[38:39]
	s_andn2_b64 s[34:35], s[34:35], exec
	s_and_b64 s[36:37], s[36:37], exec
	s_and_b64 s[48:49], s[48:49], exec
	s_and_b64 s[46:47], s[46:47], exec
	s_and_b64 s[38:39], s[40:41], exec
	s_or_b64 s[34:35], s[34:35], s[36:37]
.LBB94_4955:
	s_or_b64 exec, exec, vcc
	s_andn2_b64 s[4:5], s[4:5], exec
	s_and_b64 s[34:35], s[34:35], exec
	s_and_b64 s[40:41], s[48:49], exec
	;; [unrolled: 1-line block ×3, first 2 shown]
	s_and_b64 vcc, s[38:39], exec
	s_or_b64 s[4:5], s[4:5], s[34:35]
.LBB94_4956:
	s_or_b64 exec, exec, s[30:31]
	s_andn2_b64 s[6:7], s[6:7], exec
	s_and_b64 s[4:5], s[4:5], exec
	s_and_b64 s[34:35], s[40:41], exec
	;; [unrolled: 1-line block ×3, first 2 shown]
	s_and_b64 vcc, vcc, exec
	s_or_b64 s[6:7], s[6:7], s[4:5]
.LBB94_4957:
	s_or_b64 exec, exec, s[44:45]
	s_andn2_b64 s[28:29], s[28:29], exec
	s_and_b64 s[6:7], s[6:7], exec
	s_and_b64 s[34:35], s[34:35], exec
	;; [unrolled: 1-line block ×3, first 2 shown]
	s_and_b64 s[4:5], vcc, exec
	s_or_b64 s[28:29], s[28:29], s[6:7]
.LBB94_4958:
	s_or_b64 exec, exec, s[42:43]
	s_andn2_b64 s[24:25], s[24:25], exec
	s_and_b64 s[28:29], s[28:29], exec
	s_and_b64 vcc, s[34:35], exec
	s_and_b64 s[6:7], s[30:31], exec
	s_and_b64 s[4:5], s[4:5], exec
	s_or_b64 s[24:25], s[24:25], s[28:29]
.LBB94_4959:
	s_or_b64 exec, exec, s[26:27]
	s_andn2_b64 s[20:21], s[20:21], exec
	s_and_b64 s[24:25], s[24:25], exec
	s_and_b64 s[26:27], vcc, exec
	s_and_b64 s[6:7], s[6:7], exec
	s_and_b64 s[4:5], s[4:5], exec
	s_or_b64 s[20:21], s[20:21], s[24:25]
.LBB94_4960:
	s_or_b64 exec, exec, s[22:23]
	s_and_b64 s[22:23], s[6:7], exec
	s_and_b64 s[6:7], s[4:5], exec
	s_andn2_b64 s[4:5], s[16:17], exec
	s_and_b64 s[16:17], s[20:21], exec
	s_and_b64 s[24:25], s[26:27], exec
	s_or_b64 s[16:17], s[4:5], s[16:17]
.LBB94_4961:
	s_or_b64 exec, exec, s[18:19]
	s_andn2_b64 s[12:13], s[12:13], exec
	s_and_b64 s[16:17], s[16:17], exec
	s_and_b64 s[4:5], s[24:25], exec
	;; [unrolled: 1-line block ×4, first 2 shown]
	s_or_b64 s[12:13], s[12:13], s[16:17]
.LBB94_4962:
	s_or_b64 exec, exec, s[14:15]
	s_mov_b64 s[14:15], 0
	s_and_saveexec_b64 s[16:17], s[12:13]
	s_cbranch_execnz .LBB94_5209
; %bb.4963:
	s_or_b64 exec, exec, s[16:17]
	s_and_saveexec_b64 s[12:13], s[6:7]
	s_xor_b64 s[6:7], exec, s[12:13]
	s_cbranch_execnz .LBB94_5210
.LBB94_4964:
	s_or_b64 exec, exec, s[6:7]
	s_and_saveexec_b64 s[6:7], s[18:19]
	s_cbranch_execnz .LBB94_5211
	s_branch .LBB94_5252
.LBB94_4965:
	v_mov_b32_e32 v5, 25
	v_cmp_gt_i16_sdwa s[4:5], v11, v5 src0_sel:BYTE_0 src1_sel:DWORD
	s_mov_b64 s[20:21], s[12:13]
	s_and_saveexec_b64 s[22:23], s[4:5]
	s_xor_b64 s[22:23], exec, s[22:23]
	s_cbranch_execz .LBB94_5001
; %bb.4966:
	v_mov_b32_e32 v5, 28
	v_cmp_gt_i16_sdwa s[4:5], v11, v5 src0_sel:BYTE_0 src1_sel:DWORD
	s_mov_b64 s[24:25], s[12:13]
	s_and_saveexec_b64 s[20:21], s[4:5]
	s_xor_b64 s[20:21], exec, s[20:21]
	s_cbranch_execz .LBB94_4984
; %bb.4967:
	v_mov_b32_e32 v5, 43
	v_cmp_gt_i16_sdwa s[24:25], v11, v5 src0_sel:BYTE_0 src1_sel:DWORD
	s_mov_b64 s[4:5], 0
	s_mov_b64 s[6:7], s[12:13]
	s_and_saveexec_b64 s[26:27], s[24:25]
	s_xor_b64 s[24:25], exec, s[26:27]
	s_cbranch_execz .LBB94_4979
; %bb.4968:
	v_mov_b32_e32 v5, 45
	v_cmp_gt_i16_sdwa s[4:5], v11, v5 src0_sel:BYTE_0 src1_sel:DWORD
	s_mov_b64 s[26:27], 0
	s_mov_b64 s[28:29], s[12:13]
	s_and_saveexec_b64 s[6:7], s[4:5]
	s_xor_b64 s[6:7], exec, s[6:7]
	s_cbranch_execz .LBB94_4972
; %bb.4969:
	v_mov_b32_e32 v5, 46
	v_cmp_eq_u16_sdwa s[30:31], v11, v5 src0_sel:BYTE_0 src1_sel:DWORD
	s_mov_b64 s[4:5], -1
	s_and_saveexec_b64 s[28:29], s[30:31]
	s_cbranch_execz .LBB94_4971
; %bb.4970:
	v_bfe_u32 v5, v4, 16, 1
	s_movk_i32 s4, 0x7fff
	v_add3_u32 v5, v4, v5, s4
	v_lshrrev_b32_e32 v5, 16, v5
	v_mov_b32_e32 v103, 0x7fc0
	v_cmp_o_f32_e64 s[4:5], v4, v4
	v_cndmask_b32_e64 v4, v103, v5, s[4:5]
	s_mov_b64 s[26:27], exec
	flat_store_dword v[2:3], v4
	s_xor_b64 s[4:5], exec, -1
.LBB94_4971:
	s_or_b64 exec, exec, s[28:29]
	s_andn2_b64 s[28:29], s[12:13], exec
	s_and_b64 s[4:5], s[4:5], exec
	s_or_b64 s[28:29], s[28:29], s[4:5]
	s_and_b64 s[26:27], s[26:27], exec
                                        ; implicit-def: $vgpr2_vgpr3
                                        ; implicit-def: $vgpr4
.LBB94_4972:
	s_andn2_saveexec_b64 s[30:31], s[6:7]
	s_cbranch_execz .LBB94_4978
; %bb.4973:
	v_mov_b32_e32 v5, 44
	v_cmp_eq_u16_sdwa s[36:37], v11, v5 src0_sel:BYTE_0 src1_sel:DWORD
	s_mov_b64 s[6:7], -1
	s_mov_b64 s[4:5], s[26:27]
	s_and_saveexec_b64 s[34:35], s[36:37]
	s_cbranch_execz .LBB94_4977
; %bb.4974:
	v_bfe_u32 v5, v4, 23, 8
	s_movk_i32 s4, 0xff
	v_cmp_ne_u32_e64 s[4:5], s4, v5
	v_mov_b32_e32 v103, 0xff
	s_and_saveexec_b64 s[36:37], s[4:5]
; %bb.4975:
	s_mov_b32 s6, 0x3fffff
	v_lshrrev_b32_e32 v103, 23, v4
	v_and_b32_e32 v112, 0x400000, v4
	v_and_or_b32 v4, v4, s6, v5
	v_cmp_ne_u32_e64 s[4:5], 0, v112
	v_cmp_ne_u32_e64 s[6:7], 0, v4
	s_and_b64 s[4:5], s[4:5], s[6:7]
	v_cndmask_b32_e64 v4, 0, 1, s[4:5]
	v_add_u32_e32 v103, v103, v4
; %bb.4976:
	s_or_b64 exec, exec, s[36:37]
	s_xor_b64 s[6:7], exec, -1
	s_or_b64 s[4:5], s[26:27], exec
	flat_store_byte v[2:3], v103
.LBB94_4977:
	s_or_b64 exec, exec, s[34:35]
	s_andn2_b64 s[28:29], s[28:29], exec
	s_and_b64 s[6:7], s[6:7], exec
	s_or_b64 s[28:29], s[28:29], s[6:7]
	s_andn2_b64 s[6:7], s[26:27], exec
	s_and_b64 s[4:5], s[4:5], exec
	s_or_b64 s[26:27], s[6:7], s[4:5]
.LBB94_4978:
	s_or_b64 exec, exec, s[30:31]
	s_andn2_b64 s[4:5], s[12:13], exec
	s_and_b64 s[6:7], s[28:29], exec
	s_or_b64 s[6:7], s[4:5], s[6:7]
	s_and_b64 s[4:5], s[26:27], exec
                                        ; implicit-def: $vgpr4
                                        ; implicit-def: $vgpr2_vgpr3
.LBB94_4979:
	s_andn2_saveexec_b64 s[24:25], s[24:25]
	s_cbranch_execz .LBB94_4983
; %bb.4980:
	v_mov_b32_e32 v5, 29
	v_cmp_eq_u16_sdwa s[34:35], v11, v5 src0_sel:BYTE_0 src1_sel:DWORD
	s_mov_b64 s[30:31], -1
	s_mov_b64 s[28:29], s[4:5]
	s_and_saveexec_b64 s[26:27], s[34:35]
	s_cbranch_execz .LBB94_4982
; %bb.4981:
	v_trunc_f32_e32 v4, v4
	v_mul_f32_e32 v5, 0x2f800000, v4
	v_floor_f32_e32 v103, v5
	v_fmac_f32_e32 v4, 0xcf800000, v103
	v_cvt_u32_f32_e32 v5, v103
	v_cvt_u32_f32_e32 v4, v4
	s_xor_b64 s[30:31], exec, -1
	s_or_b64 s[28:29], s[4:5], exec
	flat_store_dwordx2 v[2:3], v[4:5]
.LBB94_4982:
	s_or_b64 exec, exec, s[26:27]
	s_andn2_b64 s[6:7], s[6:7], exec
	s_and_b64 s[26:27], s[30:31], exec
	s_or_b64 s[6:7], s[6:7], s[26:27]
	s_andn2_b64 s[4:5], s[4:5], exec
	s_and_b64 s[26:27], s[28:29], exec
	s_or_b64 s[4:5], s[4:5], s[26:27]
.LBB94_4983:
	s_or_b64 exec, exec, s[24:25]
	s_andn2_b64 s[24:25], s[12:13], exec
	s_and_b64 s[6:7], s[6:7], exec
	s_or_b64 s[24:25], s[24:25], s[6:7]
	s_and_b64 s[6:7], s[4:5], exec
                                        ; implicit-def: $vgpr2_vgpr3
                                        ; implicit-def: $vgpr112
                                        ; implicit-def: $vgpr4
.LBB94_4984:
	s_andn2_saveexec_b64 s[20:21], s[20:21]
	s_cbranch_execz .LBB94_5000
; %bb.4985:
	v_mov_b32_e32 v5, 26
	v_cmp_gt_i16_sdwa s[4:5], v11, v5 src0_sel:BYTE_0 src1_sel:DWORD
	s_and_saveexec_b64 s[26:27], s[4:5]
	s_xor_b64 s[4:5], exec, s[26:27]
	s_cbranch_execz .LBB94_4991
; %bb.4986:
	v_cvt_u32_f32_e32 v4, v4
	v_mov_b32_e32 v5, 27
	v_cmp_gt_i16_sdwa s[26:27], v11, v5 src0_sel:BYTE_0 src1_sel:DWORD
	s_and_saveexec_b64 s[28:29], s[26:27]
	s_xor_b64 s[26:27], exec, s[28:29]
	s_cbranch_execz .LBB94_4988
; %bb.4987:
	flat_store_dword v[2:3], v4
                                        ; implicit-def: $vgpr2_vgpr3
                                        ; implicit-def: $vgpr4
.LBB94_4988:
	s_andn2_saveexec_b64 s[26:27], s[26:27]
	s_cbranch_execz .LBB94_4990
; %bb.4989:
	flat_store_short v[2:3], v4
.LBB94_4990:
	s_or_b64 exec, exec, s[26:27]
                                        ; implicit-def: $vgpr2_vgpr3
                                        ; implicit-def: $vgpr112
                                        ; implicit-def: $vgpr4
.LBB94_4991:
	s_andn2_saveexec_b64 s[26:27], s[4:5]
	s_cbranch_execz .LBB94_4999
; %bb.4992:
	v_cndmask_b32_e64 v103, |v0|, |v112|, vcc
	s_mov_b32 s4, 0x43800000
	v_cmp_gt_u32_e64 s[4:5], s4, v103
	v_mov_b32_e32 v112, 0x80
	s_and_saveexec_b64 s[28:29], s[4:5]
	s_cbranch_execz .LBB94_4998
; %bb.4993:
	s_mov_b32 s4, 0x3bffffff
	v_cmp_lt_u32_e64 s[4:5], s4, v103
	s_mov_b64 s[30:31], 0
                                        ; implicit-def: $vgpr5
	s_and_saveexec_b64 s[34:35], s[4:5]
	s_xor_b64 s[4:5], exec, s[34:35]
	s_cbranch_execnz .LBB94_5749
; %bb.4994:
	s_or_saveexec_b64 s[34:35], s[4:5]
                                        ; implicit-def: $sgpr36
	s_xor_b64 exec, exec, s[34:35]
	s_cbranch_execnz .LBB94_5750
.LBB94_4995:
	s_or_b64 exec, exec, s[34:35]
	v_mov_b32_e32 v112, s36
	s_and_saveexec_b64 s[4:5], s[30:31]
.LBB94_4996:
	v_lshrrev_b32_e32 v4, 24, v4
	s_movk_i32 s30, 0x80
	v_and_or_b32 v112, v4, s30, v5
.LBB94_4997:
	s_or_b64 exec, exec, s[4:5]
.LBB94_4998:
	s_or_b64 exec, exec, s[28:29]
	flat_store_byte v[2:3], v112
.LBB94_4999:
	s_or_b64 exec, exec, s[26:27]
	s_or_b64 s[6:7], s[6:7], exec
.LBB94_5000:
	s_or_b64 exec, exec, s[20:21]
	s_andn2_b64 s[4:5], s[12:13], exec
	s_and_b64 s[20:21], s[24:25], exec
	s_or_b64 s[20:21], s[4:5], s[20:21]
	s_and_b64 s[6:7], s[6:7], exec
                                        ; implicit-def: $vgpr4
                                        ; implicit-def: $vgpr2_vgpr3
                                        ; implicit-def: $vgpr112
.LBB94_5001:
	s_andn2_saveexec_b64 s[22:23], s[22:23]
	s_cbranch_execz .LBB94_5045
; %bb.5002:
	v_mov_b32_e32 v5, 22
	v_cmp_gt_i16_sdwa s[24:25], v11, v5 src0_sel:BYTE_0 src1_sel:DWORD
	s_mov_b64 s[4:5], s[6:7]
	s_and_saveexec_b64 s[26:27], s[24:25]
	s_xor_b64 s[24:25], exec, s[26:27]
	s_cbranch_execz .LBB94_5034
; %bb.5003:
	v_mov_b32_e32 v5, 23
	v_cmp_gt_i16_sdwa s[4:5], v11, v5 src0_sel:BYTE_0 src1_sel:DWORD
	s_and_saveexec_b64 s[26:27], s[4:5]
	s_xor_b64 s[26:27], exec, s[26:27]
	s_cbranch_execz .LBB94_5023
; %bb.5004:
	v_mov_b32_e32 v5, 24
	v_cmp_gt_i16_sdwa s[4:5], v11, v5 src0_sel:BYTE_0 src1_sel:DWORD
	s_and_saveexec_b64 s[28:29], s[4:5]
	s_xor_b64 s[28:29], exec, s[28:29]
	s_cbranch_execz .LBB94_5012
; %bb.5005:
	v_cndmask_b32_e64 v103, |v0|, |v112|, vcc
	s_mov_b32 s4, 0x47800000
	v_cmp_gt_u32_e64 s[4:5], s4, v103
	v_mov_b32_e32 v112, 0x80
	s_and_saveexec_b64 s[30:31], s[4:5]
	s_cbranch_execz .LBB94_5011
; %bb.5006:
	s_mov_b32 s4, 0x37ffffff
	v_cmp_lt_u32_e64 s[4:5], s4, v103
	s_mov_b64 s[34:35], 0
                                        ; implicit-def: $vgpr5
	s_and_saveexec_b64 s[36:37], s[4:5]
	s_xor_b64 s[4:5], exec, s[36:37]
	s_cbranch_execnz .LBB94_5873
; %bb.5007:
	s_or_saveexec_b64 s[36:37], s[4:5]
                                        ; implicit-def: $sgpr38
	s_xor_b64 exec, exec, s[36:37]
	s_cbranch_execnz .LBB94_5874
.LBB94_5008:
	s_or_b64 exec, exec, s[36:37]
	v_mov_b32_e32 v112, s38
	s_and_saveexec_b64 s[4:5], s[34:35]
.LBB94_5009:
	v_lshrrev_b32_e32 v4, 24, v4
	s_movk_i32 s34, 0x80
	v_and_or_b32 v112, v4, s34, v5
.LBB94_5010:
	s_or_b64 exec, exec, s[4:5]
.LBB94_5011:
	s_or_b64 exec, exec, s[30:31]
	flat_store_byte v[2:3], v112
                                        ; implicit-def: $vgpr4
                                        ; implicit-def: $vgpr2_vgpr3
                                        ; implicit-def: $vgpr112
.LBB94_5012:
	s_andn2_saveexec_b64 s[28:29], s[28:29]
	s_cbranch_execz .LBB94_5022
; %bb.5013:
	v_cndmask_b32_e64 v103, |v0|, |v112|, vcc
	s_mov_b32 s4, 0x43f00000
	v_cmp_gt_u32_e64 s[4:5], s4, v103
                                        ; implicit-def: $vgpr5
	s_and_saveexec_b64 s[30:31], s[4:5]
	s_xor_b64 s[30:31], exec, s[30:31]
	s_cbranch_execz .LBB94_5019
; %bb.5014:
	s_mov_b32 s4, 0x3c7fffff
	v_cmp_lt_u32_e64 s[4:5], s4, v103
                                        ; implicit-def: $vgpr5
	s_and_saveexec_b64 s[34:35], s[4:5]
	s_xor_b64 s[34:35], exec, s[34:35]
; %bb.5015:
	v_bfe_u32 v5, v4, 20, 1
	s_mov_b32 s4, 0x407ffff
	v_add3_u32 v5, v4, v5, s4
	v_lshrrev_b32_e32 v103, 20, v5
	v_and_b32_e32 v5, 0xff00000, v5
	s_mov_b32 s4, 0x7f00000
	v_mov_b32_e32 v112, 0x7e
	v_cmp_ne_u32_e64 s[4:5], s4, v5
	v_cndmask_b32_e64 v5, v112, v103, s[4:5]
                                        ; implicit-def: $vgpr103
; %bb.5016:
	s_andn2_saveexec_b64 s[4:5], s[34:35]
; %bb.5017:
	v_add_f32_e32 v5, 0x46800000, v103
; %bb.5018:
	s_or_b64 exec, exec, s[4:5]
                                        ; implicit-def: $vgpr103
.LBB94_5019:
	s_andn2_saveexec_b64 s[30:31], s[30:31]
; %bb.5020:
	s_mov_b32 s4, 0x7f800000
	v_mov_b32_e32 v5, 0x7e
	v_mov_b32_e32 v112, 0x7f
	v_cmp_lt_u32_e64 s[4:5], s4, v103
	v_cndmask_b32_e64 v5, v5, v112, s[4:5]
; %bb.5021:
	s_or_b64 exec, exec, s[30:31]
	v_lshrrev_b32_e32 v4, 24, v4
	s_movk_i32 s4, 0x80
	v_and_or_b32 v4, v4, s4, v5
	flat_store_byte v[2:3], v4
.LBB94_5022:
	s_or_b64 exec, exec, s[28:29]
                                        ; implicit-def: $vgpr4
                                        ; implicit-def: $vgpr2_vgpr3
                                        ; implicit-def: $vgpr112
.LBB94_5023:
	s_andn2_saveexec_b64 s[4:5], s[26:27]
	s_cbranch_execz .LBB94_5033
; %bb.5024:
	v_cndmask_b32_e64 v103, |v0|, |v112|, vcc
	s_mov_b32 s26, 0x47800000
	v_cmp_gt_u32_e32 vcc, s26, v103
                                        ; implicit-def: $vgpr5
	s_and_saveexec_b64 s[26:27], vcc
	s_xor_b64 s[26:27], exec, s[26:27]
	s_cbranch_execz .LBB94_5030
; %bb.5025:
	s_mov_b32 s28, 0x387fffff
	v_cmp_lt_u32_e32 vcc, s28, v103
                                        ; implicit-def: $vgpr5
	s_and_saveexec_b64 s[28:29], vcc
	s_xor_b64 s[28:29], exec, s[28:29]
; %bb.5026:
	v_bfe_u32 v5, v4, 21, 1
	s_mov_b32 vcc_lo, 0x80fffff
	v_add3_u32 v5, v4, v5, vcc_lo
	v_lshrrev_b32_e32 v5, 21, v5
                                        ; implicit-def: $vgpr103
; %bb.5027:
	s_andn2_saveexec_b64 s[28:29], s[28:29]
; %bb.5028:
	v_add_f32_e32 v5, 0x43000000, v103
; %bb.5029:
	s_or_b64 exec, exec, s[28:29]
                                        ; implicit-def: $vgpr103
.LBB94_5030:
	s_andn2_saveexec_b64 s[26:27], s[26:27]
; %bb.5031:
	s_mov_b32 s28, 0x7f800000
	v_mov_b32_e32 v5, 0x7c
	v_mov_b32_e32 v112, 0x7f
	v_cmp_lt_u32_e32 vcc, s28, v103
	v_cndmask_b32_e32 v5, v5, v112, vcc
; %bb.5032:
	s_or_b64 exec, exec, s[26:27]
	v_lshrrev_b32_e32 v4, 24, v4
	s_movk_i32 s26, 0x80
	v_and_or_b32 v4, v4, s26, v5
	flat_store_byte v[2:3], v4
.LBB94_5033:
	s_or_b64 exec, exec, s[4:5]
	s_or_b64 s[4:5], s[6:7], exec
                                        ; implicit-def: $vgpr4
                                        ; implicit-def: $vgpr2_vgpr3
.LBB94_5034:
	s_or_saveexec_b64 s[24:25], s[24:25]
	s_mov_b64 s[28:29], s[20:21]
	s_xor_b64 exec, exec, s[24:25]
	s_cbranch_execz .LBB94_5044
; %bb.5035:
	v_mov_b32_e32 v5, 14
	v_cmp_gt_i16_sdwa vcc, v11, v5 src0_sel:BYTE_0 src1_sel:DWORD
	s_mov_b64 s[26:27], s[4:5]
	s_mov_b64 s[28:29], s[20:21]
	s_and_saveexec_b64 s[30:31], vcc
	s_xor_b64 s[30:31], exec, s[30:31]
	s_cbranch_execz .LBB94_5039
; %bb.5036:
	v_mov_b32_e32 v5, 15
	v_cmp_eq_u16_sdwa s[34:35], v11, v5 src0_sel:BYTE_0 src1_sel:DWORD
	s_mov_b64 s[28:29], -1
	s_mov_b64 vcc, s[4:5]
	s_and_saveexec_b64 s[26:27], s[34:35]
	s_cbranch_execz .LBB94_5038
; %bb.5037:
	v_bfe_u32 v5, v4, 16, 1
	s_movk_i32 s28, 0x7fff
	v_add3_u32 v5, v4, v5, s28
	v_lshrrev_b32_e32 v5, 16, v5
	v_mov_b32_e32 v103, 0x7fc0
	v_cmp_o_f32_e32 vcc, v4, v4
	v_cndmask_b32_e32 v4, v103, v5, vcc
	flat_store_short v[2:3], v4
	s_xor_b64 s[28:29], exec, -1
	s_or_b64 vcc, s[4:5], exec
.LBB94_5038:
	s_or_b64 exec, exec, s[26:27]
	s_andn2_b64 s[26:27], s[20:21], exec
	s_and_b64 s[28:29], s[28:29], exec
	s_or_b64 s[28:29], s[26:27], s[28:29]
	s_andn2_b64 s[26:27], s[4:5], exec
	s_and_b64 vcc, vcc, exec
	s_or_b64 s[26:27], s[26:27], vcc
                                        ; implicit-def: $vgpr4
                                        ; implicit-def: $vgpr2_vgpr3
.LBB94_5039:
	s_andn2_saveexec_b64 s[30:31], s[30:31]
	s_cbranch_execz .LBB94_5043
; %bb.5040:
	v_mov_b32_e32 v5, 11
	v_cmp_eq_u16_sdwa s[38:39], v11, v5 src0_sel:BYTE_0 src1_sel:DWORD
	s_mov_b64 s[34:35], -1
	s_mov_b64 vcc, s[26:27]
	s_and_saveexec_b64 s[36:37], s[38:39]
	s_cbranch_execz .LBB94_5042
; %bb.5041:
	v_cmp_neq_f32_e32 vcc, 0, v4
	v_cndmask_b32_e64 v4, 0, 1, vcc
	flat_store_byte v[2:3], v4
	s_xor_b64 s[34:35], exec, -1
	s_or_b64 vcc, s[26:27], exec
.LBB94_5042:
	s_or_b64 exec, exec, s[36:37]
	s_andn2_b64 s[28:29], s[28:29], exec
	s_and_b64 s[34:35], s[34:35], exec
	s_andn2_b64 s[26:27], s[26:27], exec
	s_and_b64 vcc, vcc, exec
	s_or_b64 s[28:29], s[28:29], s[34:35]
	s_or_b64 s[26:27], s[26:27], vcc
.LBB94_5043:
	s_or_b64 exec, exec, s[30:31]
	s_andn2_b64 vcc, s[20:21], exec
	s_and_b64 s[28:29], s[28:29], exec
	s_andn2_b64 s[4:5], s[4:5], exec
	s_and_b64 s[26:27], s[26:27], exec
	s_or_b64 s[28:29], vcc, s[28:29]
	s_or_b64 s[4:5], s[4:5], s[26:27]
.LBB94_5044:
	s_or_b64 exec, exec, s[24:25]
	s_andn2_b64 s[20:21], s[20:21], exec
	s_and_b64 s[24:25], s[28:29], exec
	s_andn2_b64 s[6:7], s[6:7], exec
	s_and_b64 s[4:5], s[4:5], exec
	s_or_b64 s[20:21], s[20:21], s[24:25]
	s_or_b64 s[6:7], s[6:7], s[4:5]
.LBB94_5045:
	s_or_b64 exec, exec, s[22:23]
	s_andn2_b64 s[4:5], s[12:13], exec
	s_and_b64 s[20:21], s[20:21], exec
	s_or_b64 s[4:5], s[4:5], s[20:21]
	s_and_b64 s[6:7], s[6:7], exec
                                        ; implicit-def: $vgpr4
                                        ; implicit-def: $vgpr2_vgpr3
	s_andn2_saveexec_b64 s[16:17], s[16:17]
	s_cbranch_execz .LBB94_3786
.LBB94_5046:
	v_mov_b32_e32 v5, 4
	v_cmp_gt_i16_sdwa s[20:21], v11, v5 src0_sel:BYTE_0 src1_sel:DWORD
	s_and_saveexec_b64 s[22:23], s[20:21]
	s_xor_b64 s[20:21], exec, s[22:23]
	s_cbranch_execz .LBB94_5068
; %bb.5047:
	v_mov_b32_e32 v5, 7
	v_cmp_gt_i16_sdwa s[22:23], v11, v5 src0_sel:BYTE_0 src1_sel:DWORD
	s_and_saveexec_b64 s[24:25], s[22:23]
	s_xor_b64 s[22:23], exec, s[24:25]
	s_cbranch_execz .LBB94_5057
; %bb.5048:
	v_mov_b32_e32 v5, 8
	v_cmp_gt_i16_sdwa s[24:25], v11, v5 src0_sel:BYTE_0 src1_sel:DWORD
	s_and_saveexec_b64 s[26:27], s[24:25]
	s_xor_b64 s[24:25], exec, s[26:27]
	s_cbranch_execz .LBB94_5054
; %bb.5049:
	v_mov_b32_e32 v5, 9
	v_cmp_gt_i16_sdwa s[26:27], v11, v5 src0_sel:BYTE_0 src1_sel:DWORD
	s_and_saveexec_b64 s[28:29], s[26:27]
	s_xor_b64 s[26:27], exec, s[28:29]
	s_cbranch_execz .LBB94_5051
; %bb.5050:
	v_mov_b32_e32 v114, 0
	v_cvt_f64_f32_e32 v[112:113], v4
	v_mov_b32_e32 v115, v114
	flat_store_dwordx4 v[2:3], v[112:115]
                                        ; implicit-def: $vgpr4
                                        ; implicit-def: $vgpr2_vgpr3
.LBB94_5051:
	s_andn2_saveexec_b64 s[26:27], s[26:27]
	s_cbranch_execz .LBB94_5053
; %bb.5052:
	v_mov_b32_e32 v5, 0
	flat_store_dwordx2 v[2:3], v[4:5]
.LBB94_5053:
	s_or_b64 exec, exec, s[26:27]
                                        ; implicit-def: $vgpr4
                                        ; implicit-def: $vgpr2_vgpr3
.LBB94_5054:
	s_andn2_saveexec_b64 s[24:25], s[24:25]
	s_cbranch_execz .LBB94_5056
; %bb.5055:
	v_cvt_f16_f32_e32 v4, v4
	flat_store_dword v[2:3], v4
.LBB94_5056:
	s_or_b64 exec, exec, s[24:25]
                                        ; implicit-def: $vgpr4
                                        ; implicit-def: $vgpr2_vgpr3
.LBB94_5057:
	s_andn2_saveexec_b64 s[22:23], s[22:23]
	s_cbranch_execz .LBB94_5067
; %bb.5058:
	v_mov_b32_e32 v5, 5
	v_cmp_gt_i16_sdwa s[24:25], v11, v5 src0_sel:BYTE_0 src1_sel:DWORD
	s_and_saveexec_b64 s[26:27], s[24:25]
	s_xor_b64 s[24:25], exec, s[26:27]
	s_cbranch_execz .LBB94_5064
; %bb.5059:
	v_mov_b32_e32 v5, 6
	v_cmp_gt_i16_sdwa s[26:27], v11, v5 src0_sel:BYTE_0 src1_sel:DWORD
	s_and_saveexec_b64 s[28:29], s[26:27]
	s_xor_b64 s[26:27], exec, s[28:29]
	s_cbranch_execz .LBB94_5061
; %bb.5060:
	v_cvt_f64_f32_e32 v[4:5], v4
	flat_store_dwordx2 v[2:3], v[4:5]
                                        ; implicit-def: $vgpr2_vgpr3
                                        ; implicit-def: $vgpr4
.LBB94_5061:
	s_andn2_saveexec_b64 s[26:27], s[26:27]
	s_cbranch_execz .LBB94_5063
; %bb.5062:
	flat_store_dword v[2:3], v4
.LBB94_5063:
	s_or_b64 exec, exec, s[26:27]
                                        ; implicit-def: $vgpr4
                                        ; implicit-def: $vgpr2_vgpr3
.LBB94_5064:
	s_andn2_saveexec_b64 s[24:25], s[24:25]
	s_cbranch_execz .LBB94_5066
; %bb.5065:
	v_cvt_f16_f32_e32 v4, v4
	flat_store_short v[2:3], v4
.LBB94_5066:
	s_or_b64 exec, exec, s[24:25]
.LBB94_5067:
	s_or_b64 exec, exec, s[22:23]
                                        ; implicit-def: $vgpr4
                                        ; implicit-def: $vgpr2_vgpr3
.LBB94_5068:
	s_andn2_saveexec_b64 s[20:21], s[20:21]
	s_cbranch_execz .LBB94_5086
; %bb.5069:
	v_mov_b32_e32 v5, 1
	v_cmp_gt_i16_sdwa s[22:23], v11, v5 src0_sel:BYTE_0 src1_sel:DWORD
	s_and_saveexec_b64 s[24:25], s[22:23]
	s_xor_b64 s[22:23], exec, s[24:25]
	s_cbranch_execz .LBB94_5079
; %bb.5070:
	v_mov_b32_e32 v5, 2
	v_cmp_gt_i16_sdwa s[24:25], v11, v5 src0_sel:BYTE_0 src1_sel:DWORD
	s_and_saveexec_b64 s[26:27], s[24:25]
	s_xor_b64 s[24:25], exec, s[26:27]
	s_cbranch_execz .LBB94_5076
; %bb.5071:
	v_mov_b32_e32 v5, 3
	v_cmp_gt_i16_sdwa s[26:27], v11, v5 src0_sel:BYTE_0 src1_sel:DWORD
	s_and_saveexec_b64 s[28:29], s[26:27]
	s_xor_b64 s[26:27], exec, s[28:29]
	s_cbranch_execz .LBB94_5073
; %bb.5072:
	v_trunc_f32_e32 v4, v4
	s_mov_b32 s28, 0x2f800000
	v_mul_f32_e64 v5, |v4|, s28
	v_floor_f32_e32 v5, v5
	s_mov_b32 s28, 0xcf800000
	v_cvt_u32_f32_e32 v103, v5
	v_fma_f32 v5, v5, s28, |v4|
	v_cvt_u32_f32_e32 v5, v5
	v_ashrrev_i32_e32 v112, 31, v4
	v_xor_b32_e32 v103, v103, v112
	v_xor_b32_e32 v4, v5, v112
	v_sub_co_u32_e32 v4, vcc, v4, v112
	v_subb_co_u32_e32 v5, vcc, v103, v112, vcc
	flat_store_dwordx2 v[2:3], v[4:5]
                                        ; implicit-def: $vgpr4
                                        ; implicit-def: $vgpr2_vgpr3
.LBB94_5073:
	s_andn2_saveexec_b64 s[26:27], s[26:27]
	s_cbranch_execz .LBB94_5075
; %bb.5074:
	v_cvt_i32_f32_e32 v4, v4
	flat_store_dword v[2:3], v4
.LBB94_5075:
	s_or_b64 exec, exec, s[26:27]
                                        ; implicit-def: $vgpr4
                                        ; implicit-def: $vgpr2_vgpr3
.LBB94_5076:
	s_andn2_saveexec_b64 s[24:25], s[24:25]
	s_cbranch_execz .LBB94_5078
; %bb.5077:
	v_cvt_i32_f32_e32 v4, v4
	flat_store_short v[2:3], v4
.LBB94_5078:
	s_or_b64 exec, exec, s[24:25]
                                        ; implicit-def: $vgpr4
                                        ; implicit-def: $vgpr2_vgpr3
.LBB94_5079:
	s_andn2_saveexec_b64 s[22:23], s[22:23]
	s_cbranch_execz .LBB94_5085
; %bb.5080:
	v_mov_b32_e32 v5, 0
	v_cmp_gt_i16_sdwa s[24:25], v11, v5 src0_sel:BYTE_0 src1_sel:DWORD
	s_and_saveexec_b64 s[26:27], s[24:25]
	s_xor_b64 s[24:25], exec, s[26:27]
	s_cbranch_execz .LBB94_5082
; %bb.5081:
	v_cvt_i32_f32_e32 v4, v4
	flat_store_byte v[2:3], v4
                                        ; implicit-def: $vgpr4
                                        ; implicit-def: $vgpr2_vgpr3
.LBB94_5082:
	s_andn2_saveexec_b64 s[24:25], s[24:25]
	s_cbranch_execz .LBB94_5084
; %bb.5083:
	v_trunc_f32_e32 v4, v4
	s_mov_b32 s26, 0x2f800000
	v_mul_f32_e64 v5, |v4|, s26
	v_floor_f32_e32 v5, v5
	s_mov_b32 s26, 0xcf800000
	v_fma_f32 v5, v5, s26, |v4|
	v_cvt_u32_f32_e32 v5, v5
	v_ashrrev_i32_e32 v4, 31, v4
	v_xor_b32_e32 v5, v5, v4
	v_sub_u32_e32 v4, v5, v4
	flat_store_byte v[2:3], v4
.LBB94_5084:
	s_or_b64 exec, exec, s[24:25]
.LBB94_5085:
	s_or_b64 exec, exec, s[22:23]
.LBB94_5086:
	s_or_b64 exec, exec, s[20:21]
	s_or_b64 s[6:7], s[6:7], exec
	s_or_b64 exec, exec, s[16:17]
	s_mov_b64 s[20:21], 0
	s_and_saveexec_b64 s[16:17], s[6:7]
	s_cbranch_execnz .LBB94_3787
	s_branch .LBB94_3788
.LBB94_5087:
	v_mov_b32_e32 v5, 25
	v_cmp_gt_i16_sdwa s[4:5], v11, v5 src0_sel:BYTE_0 src1_sel:DWORD
	s_mov_b64 s[24:25], s[16:17]
	s_and_saveexec_b64 s[26:27], s[4:5]
	s_xor_b64 s[26:27], exec, s[26:27]
	s_cbranch_execz .LBB94_5123
; %bb.5088:
	v_mov_b32_e32 v5, 28
	v_cmp_gt_i16_sdwa s[4:5], v11, v5 src0_sel:BYTE_0 src1_sel:DWORD
	s_mov_b64 s[28:29], s[16:17]
	s_and_saveexec_b64 s[24:25], s[4:5]
	s_xor_b64 s[24:25], exec, s[24:25]
	s_cbranch_execz .LBB94_5106
; %bb.5089:
	v_mov_b32_e32 v5, 43
	v_cmp_gt_i16_sdwa s[28:29], v11, v5 src0_sel:BYTE_0 src1_sel:DWORD
	s_mov_b64 s[4:5], 0
	s_mov_b64 s[6:7], s[16:17]
	s_and_saveexec_b64 s[30:31], s[28:29]
	s_xor_b64 s[28:29], exec, s[30:31]
	s_cbranch_execz .LBB94_5101
; %bb.5090:
	v_mov_b32_e32 v5, 45
	v_cmp_gt_i16_sdwa s[4:5], v11, v5 src0_sel:BYTE_0 src1_sel:DWORD
	s_mov_b64 s[30:31], 0
	s_mov_b64 s[34:35], s[16:17]
	s_and_saveexec_b64 s[6:7], s[4:5]
	s_xor_b64 s[6:7], exec, s[6:7]
	s_cbranch_execz .LBB94_5094
; %bb.5091:
	v_mov_b32_e32 v5, 46
	v_cmp_eq_u16_sdwa s[36:37], v11, v5 src0_sel:BYTE_0 src1_sel:DWORD
	s_mov_b64 s[4:5], -1
	s_and_saveexec_b64 s[34:35], s[36:37]
	s_cbranch_execz .LBB94_5093
; %bb.5092:
	v_bfe_u32 v5, v4, 16, 1
	s_movk_i32 s4, 0x7fff
	v_add3_u32 v5, v4, v5, s4
	v_lshrrev_b32_e32 v5, 16, v5
	v_mov_b32_e32 v101, 0x7fc0
	v_cmp_o_f32_e64 s[4:5], v4, v4
	v_cndmask_b32_e64 v4, v101, v5, s[4:5]
	s_mov_b64 s[30:31], exec
	flat_store_dword v[2:3], v4
	s_xor_b64 s[4:5], exec, -1
.LBB94_5093:
	s_or_b64 exec, exec, s[34:35]
	s_andn2_b64 s[34:35], s[16:17], exec
	s_and_b64 s[4:5], s[4:5], exec
	s_or_b64 s[34:35], s[34:35], s[4:5]
	s_and_b64 s[30:31], s[30:31], exec
                                        ; implicit-def: $vgpr2_vgpr3
                                        ; implicit-def: $vgpr4
.LBB94_5094:
	s_andn2_saveexec_b64 s[36:37], s[6:7]
	s_cbranch_execz .LBB94_5100
; %bb.5095:
	v_mov_b32_e32 v5, 44
	v_cmp_eq_u16_sdwa s[40:41], v11, v5 src0_sel:BYTE_0 src1_sel:DWORD
	s_mov_b64 s[6:7], -1
	s_mov_b64 s[4:5], s[30:31]
	s_and_saveexec_b64 s[38:39], s[40:41]
	s_cbranch_execz .LBB94_5099
; %bb.5096:
	v_bfe_u32 v5, v4, 23, 8
	s_movk_i32 s4, 0xff
	v_cmp_ne_u32_e64 s[4:5], s4, v5
	v_mov_b32_e32 v101, 0xff
	s_and_saveexec_b64 s[40:41], s[4:5]
; %bb.5097:
	s_mov_b32 s6, 0x3fffff
	v_lshrrev_b32_e32 v101, 23, v4
	v_and_b32_e32 v102, 0x400000, v4
	v_and_or_b32 v4, v4, s6, v5
	v_cmp_ne_u32_e64 s[4:5], 0, v102
	v_cmp_ne_u32_e64 s[6:7], 0, v4
	s_and_b64 s[4:5], s[4:5], s[6:7]
	v_cndmask_b32_e64 v4, 0, 1, s[4:5]
	v_add_u32_e32 v101, v101, v4
; %bb.5098:
	s_or_b64 exec, exec, s[40:41]
	s_xor_b64 s[6:7], exec, -1
	s_or_b64 s[4:5], s[30:31], exec
	flat_store_byte v[2:3], v101
.LBB94_5099:
	s_or_b64 exec, exec, s[38:39]
	s_andn2_b64 s[34:35], s[34:35], exec
	s_and_b64 s[6:7], s[6:7], exec
	s_or_b64 s[34:35], s[34:35], s[6:7]
	s_andn2_b64 s[6:7], s[30:31], exec
	s_and_b64 s[4:5], s[4:5], exec
	s_or_b64 s[30:31], s[6:7], s[4:5]
.LBB94_5100:
	s_or_b64 exec, exec, s[36:37]
	s_andn2_b64 s[4:5], s[16:17], exec
	s_and_b64 s[6:7], s[34:35], exec
	s_or_b64 s[6:7], s[4:5], s[6:7]
	s_and_b64 s[4:5], s[30:31], exec
                                        ; implicit-def: $vgpr4
                                        ; implicit-def: $vgpr2_vgpr3
.LBB94_5101:
	s_andn2_saveexec_b64 s[28:29], s[28:29]
	s_cbranch_execz .LBB94_5105
; %bb.5102:
	v_mov_b32_e32 v5, 29
	v_cmp_eq_u16_sdwa s[38:39], v11, v5 src0_sel:BYTE_0 src1_sel:DWORD
	s_mov_b64 s[36:37], -1
	s_mov_b64 s[34:35], s[4:5]
	s_and_saveexec_b64 s[30:31], s[38:39]
	s_cbranch_execz .LBB94_5104
; %bb.5103:
	v_trunc_f32_e32 v4, v4
	v_mul_f32_e32 v5, 0x2f800000, v4
	v_floor_f32_e32 v101, v5
	v_fmac_f32_e32 v4, 0xcf800000, v101
	v_cvt_u32_f32_e32 v5, v101
	v_cvt_u32_f32_e32 v4, v4
	s_xor_b64 s[36:37], exec, -1
	s_or_b64 s[34:35], s[4:5], exec
	flat_store_dwordx2 v[2:3], v[4:5]
.LBB94_5104:
	s_or_b64 exec, exec, s[30:31]
	s_andn2_b64 s[6:7], s[6:7], exec
	s_and_b64 s[30:31], s[36:37], exec
	s_or_b64 s[6:7], s[6:7], s[30:31]
	s_andn2_b64 s[4:5], s[4:5], exec
	s_and_b64 s[30:31], s[34:35], exec
	s_or_b64 s[4:5], s[4:5], s[30:31]
.LBB94_5105:
	s_or_b64 exec, exec, s[28:29]
	s_andn2_b64 s[28:29], s[16:17], exec
	s_and_b64 s[6:7], s[6:7], exec
	s_or_b64 s[28:29], s[28:29], s[6:7]
	s_and_b64 s[6:7], s[4:5], exec
                                        ; implicit-def: $vgpr2_vgpr3
                                        ; implicit-def: $vgpr101
                                        ; implicit-def: $vgpr4
.LBB94_5106:
	s_andn2_saveexec_b64 s[24:25], s[24:25]
	s_cbranch_execz .LBB94_5122
; %bb.5107:
	v_mov_b32_e32 v5, 26
	v_cmp_gt_i16_sdwa s[4:5], v11, v5 src0_sel:BYTE_0 src1_sel:DWORD
	s_and_saveexec_b64 s[30:31], s[4:5]
	s_xor_b64 s[4:5], exec, s[30:31]
	s_cbranch_execz .LBB94_5113
; %bb.5108:
	v_cvt_u32_f32_e32 v4, v4
	v_mov_b32_e32 v5, 27
	v_cmp_gt_i16_sdwa s[30:31], v11, v5 src0_sel:BYTE_0 src1_sel:DWORD
	s_and_saveexec_b64 s[34:35], s[30:31]
	s_xor_b64 s[30:31], exec, s[34:35]
	s_cbranch_execz .LBB94_5110
; %bb.5109:
	flat_store_dword v[2:3], v4
                                        ; implicit-def: $vgpr2_vgpr3
                                        ; implicit-def: $vgpr4
.LBB94_5110:
	s_andn2_saveexec_b64 s[30:31], s[30:31]
	s_cbranch_execz .LBB94_5112
; %bb.5111:
	flat_store_short v[2:3], v4
.LBB94_5112:
	s_or_b64 exec, exec, s[30:31]
                                        ; implicit-def: $vgpr2_vgpr3
                                        ; implicit-def: $vgpr101
                                        ; implicit-def: $vgpr4
.LBB94_5113:
	s_andn2_saveexec_b64 s[30:31], s[4:5]
	s_cbranch_execz .LBB94_5121
; %bb.5114:
	v_cndmask_b32_e64 v101, |v0|, |v101|, vcc
	s_mov_b32 s4, 0x43800000
	v_cmp_gt_u32_e64 s[4:5], s4, v101
	v_mov_b32_e32 v102, 0x80
	s_and_saveexec_b64 s[34:35], s[4:5]
	s_cbranch_execz .LBB94_5120
; %bb.5115:
	s_mov_b32 s4, 0x3bffffff
	v_cmp_lt_u32_e64 s[4:5], s4, v101
	s_mov_b64 s[36:37], 0
                                        ; implicit-def: $vgpr5
	s_and_saveexec_b64 s[38:39], s[4:5]
	s_xor_b64 s[4:5], exec, s[38:39]
	s_cbranch_execnz .LBB94_5875
; %bb.5116:
	s_or_saveexec_b64 s[38:39], s[4:5]
                                        ; implicit-def: $sgpr40
	s_xor_b64 exec, exec, s[38:39]
	s_cbranch_execnz .LBB94_5876
.LBB94_5117:
	s_or_b64 exec, exec, s[38:39]
	v_mov_b32_e32 v102, s40
	s_and_saveexec_b64 s[4:5], s[36:37]
.LBB94_5118:
	v_lshrrev_b32_e32 v4, 24, v4
	s_movk_i32 s36, 0x80
	v_and_or_b32 v102, v4, s36, v5
.LBB94_5119:
	s_or_b64 exec, exec, s[4:5]
.LBB94_5120:
	s_or_b64 exec, exec, s[34:35]
	flat_store_byte v[2:3], v102
.LBB94_5121:
	s_or_b64 exec, exec, s[30:31]
	s_or_b64 s[6:7], s[6:7], exec
.LBB94_5122:
	s_or_b64 exec, exec, s[24:25]
	s_andn2_b64 s[4:5], s[16:17], exec
	s_and_b64 s[24:25], s[28:29], exec
	s_or_b64 s[24:25], s[4:5], s[24:25]
	s_and_b64 s[6:7], s[6:7], exec
                                        ; implicit-def: $vgpr4
                                        ; implicit-def: $vgpr2_vgpr3
                                        ; implicit-def: $vgpr101
.LBB94_5123:
	s_andn2_saveexec_b64 s[26:27], s[26:27]
	s_cbranch_execz .LBB94_5167
; %bb.5124:
	v_mov_b32_e32 v5, 22
	v_cmp_gt_i16_sdwa s[28:29], v11, v5 src0_sel:BYTE_0 src1_sel:DWORD
	s_mov_b64 s[4:5], s[6:7]
	s_and_saveexec_b64 s[30:31], s[28:29]
	s_xor_b64 s[28:29], exec, s[30:31]
	s_cbranch_execz .LBB94_5156
; %bb.5125:
	v_mov_b32_e32 v5, 23
	v_cmp_gt_i16_sdwa s[4:5], v11, v5 src0_sel:BYTE_0 src1_sel:DWORD
	s_and_saveexec_b64 s[30:31], s[4:5]
	s_xor_b64 s[30:31], exec, s[30:31]
	s_cbranch_execz .LBB94_5145
; %bb.5126:
	v_mov_b32_e32 v5, 24
	v_cmp_gt_i16_sdwa s[4:5], v11, v5 src0_sel:BYTE_0 src1_sel:DWORD
	s_and_saveexec_b64 s[34:35], s[4:5]
	s_xor_b64 s[34:35], exec, s[34:35]
	s_cbranch_execz .LBB94_5134
; %bb.5127:
	v_cndmask_b32_e64 v101, |v0|, |v101|, vcc
	s_mov_b32 s4, 0x47800000
	v_cmp_gt_u32_e64 s[4:5], s4, v101
	v_mov_b32_e32 v102, 0x80
	s_and_saveexec_b64 s[36:37], s[4:5]
	s_cbranch_execz .LBB94_5133
; %bb.5128:
	s_mov_b32 s4, 0x37ffffff
	v_cmp_lt_u32_e64 s[4:5], s4, v101
	s_mov_b64 s[38:39], 0
                                        ; implicit-def: $vgpr5
	s_and_saveexec_b64 s[40:41], s[4:5]
	s_xor_b64 s[4:5], exec, s[40:41]
	s_cbranch_execnz .LBB94_5999
; %bb.5129:
	s_or_saveexec_b64 s[40:41], s[4:5]
                                        ; implicit-def: $sgpr42
	s_xor_b64 exec, exec, s[40:41]
	s_cbranch_execnz .LBB94_6000
.LBB94_5130:
	s_or_b64 exec, exec, s[40:41]
	v_mov_b32_e32 v102, s42
	s_and_saveexec_b64 s[4:5], s[38:39]
.LBB94_5131:
	v_lshrrev_b32_e32 v4, 24, v4
	s_movk_i32 s38, 0x80
	v_and_or_b32 v102, v4, s38, v5
.LBB94_5132:
	s_or_b64 exec, exec, s[4:5]
.LBB94_5133:
	s_or_b64 exec, exec, s[36:37]
	flat_store_byte v[2:3], v102
                                        ; implicit-def: $vgpr4
                                        ; implicit-def: $vgpr2_vgpr3
                                        ; implicit-def: $vgpr101
.LBB94_5134:
	s_andn2_saveexec_b64 s[34:35], s[34:35]
	s_cbranch_execz .LBB94_5144
; %bb.5135:
	v_cndmask_b32_e64 v101, |v0|, |v101|, vcc
	s_mov_b32 s4, 0x43f00000
	v_cmp_gt_u32_e64 s[4:5], s4, v101
                                        ; implicit-def: $vgpr5
	s_and_saveexec_b64 s[36:37], s[4:5]
	s_xor_b64 s[36:37], exec, s[36:37]
	s_cbranch_execz .LBB94_5141
; %bb.5136:
	s_mov_b32 s4, 0x3c7fffff
	v_cmp_lt_u32_e64 s[4:5], s4, v101
                                        ; implicit-def: $vgpr5
	s_and_saveexec_b64 s[38:39], s[4:5]
	s_xor_b64 s[38:39], exec, s[38:39]
; %bb.5137:
	v_bfe_u32 v5, v4, 20, 1
	s_mov_b32 s4, 0x407ffff
	v_add3_u32 v5, v4, v5, s4
	v_lshrrev_b32_e32 v101, 20, v5
	v_and_b32_e32 v5, 0xff00000, v5
	s_mov_b32 s4, 0x7f00000
	v_mov_b32_e32 v102, 0x7e
	v_cmp_ne_u32_e64 s[4:5], s4, v5
	v_cndmask_b32_e64 v5, v102, v101, s[4:5]
                                        ; implicit-def: $vgpr101
; %bb.5138:
	s_andn2_saveexec_b64 s[4:5], s[38:39]
; %bb.5139:
	v_add_f32_e32 v5, 0x46800000, v101
; %bb.5140:
	s_or_b64 exec, exec, s[4:5]
                                        ; implicit-def: $vgpr101
.LBB94_5141:
	s_andn2_saveexec_b64 s[36:37], s[36:37]
; %bb.5142:
	s_mov_b32 s4, 0x7f800000
	v_mov_b32_e32 v5, 0x7e
	v_mov_b32_e32 v102, 0x7f
	v_cmp_lt_u32_e64 s[4:5], s4, v101
	v_cndmask_b32_e64 v5, v5, v102, s[4:5]
; %bb.5143:
	s_or_b64 exec, exec, s[36:37]
	v_lshrrev_b32_e32 v4, 24, v4
	s_movk_i32 s4, 0x80
	v_and_or_b32 v4, v4, s4, v5
	flat_store_byte v[2:3], v4
.LBB94_5144:
	s_or_b64 exec, exec, s[34:35]
                                        ; implicit-def: $vgpr4
                                        ; implicit-def: $vgpr2_vgpr3
                                        ; implicit-def: $vgpr101
.LBB94_5145:
	s_andn2_saveexec_b64 s[4:5], s[30:31]
	s_cbranch_execz .LBB94_5155
; %bb.5146:
	v_cndmask_b32_e64 v101, |v0|, |v101|, vcc
	s_mov_b32 vcc_lo, 0x47800000
	v_cmp_gt_u32_e32 vcc, vcc_lo, v101
                                        ; implicit-def: $vgpr5
	s_and_saveexec_b64 s[30:31], vcc
	s_xor_b64 s[30:31], exec, s[30:31]
	s_cbranch_execz .LBB94_5152
; %bb.5147:
	s_mov_b32 vcc_lo, 0x387fffff
	v_cmp_lt_u32_e32 vcc, vcc_lo, v101
                                        ; implicit-def: $vgpr5
	s_and_saveexec_b64 s[34:35], vcc
	s_xor_b64 vcc, exec, s[34:35]
; %bb.5148:
	v_bfe_u32 v5, v4, 21, 1
	s_mov_b32 s34, 0x80fffff
	v_add3_u32 v5, v4, v5, s34
	v_lshrrev_b32_e32 v5, 21, v5
                                        ; implicit-def: $vgpr101
; %bb.5149:
	s_andn2_saveexec_b64 vcc, vcc
; %bb.5150:
	v_add_f32_e32 v5, 0x43000000, v101
; %bb.5151:
	s_or_b64 exec, exec, vcc
                                        ; implicit-def: $vgpr101
.LBB94_5152:
	s_andn2_saveexec_b64 s[30:31], s[30:31]
; %bb.5153:
	s_mov_b32 vcc_lo, 0x7f800000
	v_mov_b32_e32 v5, 0x7c
	v_mov_b32_e32 v102, 0x7f
	v_cmp_lt_u32_e32 vcc, vcc_lo, v101
	v_cndmask_b32_e32 v5, v5, v102, vcc
; %bb.5154:
	s_or_b64 exec, exec, s[30:31]
	v_lshrrev_b32_e32 v4, 24, v4
	s_movk_i32 vcc_lo, 0x80
	v_and_or_b32 v4, v4, vcc_lo, v5
	flat_store_byte v[2:3], v4
.LBB94_5155:
	s_or_b64 exec, exec, s[4:5]
	s_or_b64 s[4:5], s[6:7], exec
                                        ; implicit-def: $vgpr4
                                        ; implicit-def: $vgpr2_vgpr3
.LBB94_5156:
	s_or_saveexec_b64 s[28:29], s[28:29]
	s_mov_b64 vcc, s[24:25]
	s_xor_b64 exec, exec, s[28:29]
	s_cbranch_execz .LBB94_5166
; %bb.5157:
	v_mov_b32_e32 v5, 14
	v_cmp_gt_i16_sdwa vcc, v11, v5 src0_sel:BYTE_0 src1_sel:DWORD
	s_mov_b64 s[30:31], s[4:5]
	s_mov_b64 s[34:35], s[24:25]
	s_and_saveexec_b64 s[36:37], vcc
	s_xor_b64 s[36:37], exec, s[36:37]
	s_cbranch_execz .LBB94_5161
; %bb.5158:
	v_mov_b32_e32 v5, 15
	v_cmp_eq_u16_sdwa s[38:39], v11, v5 src0_sel:BYTE_0 src1_sel:DWORD
	s_mov_b64 s[34:35], -1
	s_mov_b64 vcc, s[4:5]
	s_and_saveexec_b64 s[30:31], s[38:39]
	s_cbranch_execz .LBB94_5160
; %bb.5159:
	v_bfe_u32 v5, v4, 16, 1
	s_movk_i32 vcc_lo, 0x7fff
	v_add3_u32 v5, v4, v5, vcc_lo
	v_lshrrev_b32_e32 v5, 16, v5
	v_mov_b32_e32 v101, 0x7fc0
	v_cmp_o_f32_e32 vcc, v4, v4
	v_cndmask_b32_e32 v4, v101, v5, vcc
	flat_store_short v[2:3], v4
	s_xor_b64 s[34:35], exec, -1
	s_or_b64 vcc, s[4:5], exec
.LBB94_5160:
	s_or_b64 exec, exec, s[30:31]
	s_andn2_b64 s[30:31], s[24:25], exec
	s_and_b64 s[34:35], s[34:35], exec
	s_or_b64 s[34:35], s[30:31], s[34:35]
	s_andn2_b64 s[30:31], s[4:5], exec
	s_and_b64 vcc, vcc, exec
	s_or_b64 s[30:31], s[30:31], vcc
                                        ; implicit-def: $vgpr4
                                        ; implicit-def: $vgpr2_vgpr3
.LBB94_5161:
	s_andn2_saveexec_b64 s[36:37], s[36:37]
	s_cbranch_execz .LBB94_5165
; %bb.5162:
	v_mov_b32_e32 v5, 11
	v_cmp_eq_u16_sdwa s[42:43], v11, v5 src0_sel:BYTE_0 src1_sel:DWORD
	s_mov_b64 s[38:39], -1
	s_mov_b64 vcc, s[30:31]
	s_and_saveexec_b64 s[40:41], s[42:43]
	s_cbranch_execz .LBB94_5164
; %bb.5163:
	v_cmp_neq_f32_e32 vcc, 0, v4
	v_cndmask_b32_e64 v4, 0, 1, vcc
	flat_store_byte v[2:3], v4
	s_xor_b64 s[38:39], exec, -1
	s_or_b64 vcc, s[30:31], exec
.LBB94_5164:
	s_or_b64 exec, exec, s[40:41]
	s_andn2_b64 s[34:35], s[34:35], exec
	s_and_b64 s[38:39], s[38:39], exec
	s_andn2_b64 s[30:31], s[30:31], exec
	s_and_b64 vcc, vcc, exec
	s_or_b64 s[34:35], s[34:35], s[38:39]
	s_or_b64 s[30:31], s[30:31], vcc
.LBB94_5165:
	s_or_b64 exec, exec, s[36:37]
	s_andn2_b64 vcc, s[24:25], exec
	s_and_b64 s[34:35], s[34:35], exec
	s_andn2_b64 s[4:5], s[4:5], exec
	s_and_b64 s[30:31], s[30:31], exec
	s_or_b64 vcc, vcc, s[34:35]
	s_or_b64 s[4:5], s[4:5], s[30:31]
.LBB94_5166:
	s_or_b64 exec, exec, s[28:29]
	s_andn2_b64 s[24:25], s[24:25], exec
	s_and_b64 s[28:29], vcc, exec
	s_andn2_b64 s[6:7], s[6:7], exec
	s_and_b64 s[4:5], s[4:5], exec
	s_or_b64 s[24:25], s[24:25], s[28:29]
	s_or_b64 s[6:7], s[6:7], s[4:5]
.LBB94_5167:
	s_or_b64 exec, exec, s[26:27]
	s_andn2_b64 s[4:5], s[16:17], exec
	s_and_b64 s[24:25], s[24:25], exec
	s_or_b64 s[4:5], s[4:5], s[24:25]
	s_and_b64 s[6:7], s[6:7], exec
                                        ; implicit-def: $vgpr4
                                        ; implicit-def: $vgpr2_vgpr3
	s_andn2_saveexec_b64 s[20:21], s[20:21]
	s_cbranch_execz .LBB94_3793
.LBB94_5168:
	v_mov_b32_e32 v5, 4
	v_cmp_gt_i16_sdwa s[24:25], v11, v5 src0_sel:BYTE_0 src1_sel:DWORD
	s_and_saveexec_b64 s[26:27], s[24:25]
	s_xor_b64 s[24:25], exec, s[26:27]
	s_cbranch_execz .LBB94_5190
; %bb.5169:
	v_mov_b32_e32 v5, 7
	v_cmp_gt_i16_sdwa s[26:27], v11, v5 src0_sel:BYTE_0 src1_sel:DWORD
	s_and_saveexec_b64 s[28:29], s[26:27]
	s_xor_b64 s[26:27], exec, s[28:29]
	s_cbranch_execz .LBB94_5179
; %bb.5170:
	v_mov_b32_e32 v5, 8
	v_cmp_gt_i16_sdwa s[28:29], v11, v5 src0_sel:BYTE_0 src1_sel:DWORD
	s_and_saveexec_b64 vcc, s[28:29]
	s_xor_b64 s[28:29], exec, vcc
	s_cbranch_execz .LBB94_5176
; %bb.5171:
	v_mov_b32_e32 v5, 9
	v_cmp_gt_i16_sdwa vcc, v11, v5 src0_sel:BYTE_0 src1_sel:DWORD
	s_and_saveexec_b64 s[30:31], vcc
	s_xor_b64 vcc, exec, s[30:31]
	s_cbranch_execz .LBB94_5173
; %bb.5172:
	v_mov_b32_e32 v114, 0
	v_cvt_f64_f32_e32 v[112:113], v4
	v_mov_b32_e32 v115, v114
	flat_store_dwordx4 v[2:3], v[112:115]
                                        ; implicit-def: $vgpr4
                                        ; implicit-def: $vgpr2_vgpr3
.LBB94_5173:
	s_andn2_saveexec_b64 vcc, vcc
	s_cbranch_execz .LBB94_5175
; %bb.5174:
	v_mov_b32_e32 v5, 0
	flat_store_dwordx2 v[2:3], v[4:5]
.LBB94_5175:
	s_or_b64 exec, exec, vcc
                                        ; implicit-def: $vgpr4
                                        ; implicit-def: $vgpr2_vgpr3
.LBB94_5176:
	s_andn2_saveexec_b64 s[28:29], s[28:29]
	s_cbranch_execz .LBB94_5178
; %bb.5177:
	v_cvt_f16_f32_e32 v4, v4
	flat_store_dword v[2:3], v4
.LBB94_5178:
	s_or_b64 exec, exec, s[28:29]
                                        ; implicit-def: $vgpr4
                                        ; implicit-def: $vgpr2_vgpr3
.LBB94_5179:
	s_andn2_saveexec_b64 s[26:27], s[26:27]
	s_cbranch_execz .LBB94_5189
; %bb.5180:
	v_mov_b32_e32 v5, 5
	v_cmp_gt_i16_sdwa s[28:29], v11, v5 src0_sel:BYTE_0 src1_sel:DWORD
	s_and_saveexec_b64 vcc, s[28:29]
	s_xor_b64 s[28:29], exec, vcc
	s_cbranch_execz .LBB94_5186
; %bb.5181:
	v_mov_b32_e32 v5, 6
	v_cmp_gt_i16_sdwa vcc, v11, v5 src0_sel:BYTE_0 src1_sel:DWORD
	s_and_saveexec_b64 s[30:31], vcc
	s_xor_b64 vcc, exec, s[30:31]
	s_cbranch_execz .LBB94_5183
; %bb.5182:
	v_cvt_f64_f32_e32 v[4:5], v4
	flat_store_dwordx2 v[2:3], v[4:5]
                                        ; implicit-def: $vgpr2_vgpr3
                                        ; implicit-def: $vgpr4
.LBB94_5183:
	s_andn2_saveexec_b64 vcc, vcc
	s_cbranch_execz .LBB94_5185
; %bb.5184:
	flat_store_dword v[2:3], v4
.LBB94_5185:
	s_or_b64 exec, exec, vcc
                                        ; implicit-def: $vgpr4
                                        ; implicit-def: $vgpr2_vgpr3
.LBB94_5186:
	s_andn2_saveexec_b64 s[28:29], s[28:29]
	s_cbranch_execz .LBB94_5188
; %bb.5187:
	v_cvt_f16_f32_e32 v4, v4
	flat_store_short v[2:3], v4
.LBB94_5188:
	s_or_b64 exec, exec, s[28:29]
.LBB94_5189:
	s_or_b64 exec, exec, s[26:27]
                                        ; implicit-def: $vgpr4
                                        ; implicit-def: $vgpr2_vgpr3
.LBB94_5190:
	s_andn2_saveexec_b64 s[24:25], s[24:25]
	s_cbranch_execz .LBB94_5208
; %bb.5191:
	v_mov_b32_e32 v5, 1
	v_cmp_gt_i16_sdwa s[26:27], v11, v5 src0_sel:BYTE_0 src1_sel:DWORD
	s_and_saveexec_b64 s[28:29], s[26:27]
	s_xor_b64 s[26:27], exec, s[28:29]
	s_cbranch_execz .LBB94_5201
; %bb.5192:
	v_mov_b32_e32 v5, 2
	v_cmp_gt_i16_sdwa s[28:29], v11, v5 src0_sel:BYTE_0 src1_sel:DWORD
	s_and_saveexec_b64 vcc, s[28:29]
	s_xor_b64 s[28:29], exec, vcc
	s_cbranch_execz .LBB94_5198
; %bb.5193:
	v_mov_b32_e32 v5, 3
	v_cmp_gt_i16_sdwa vcc, v11, v5 src0_sel:BYTE_0 src1_sel:DWORD
	s_and_saveexec_b64 s[30:31], vcc
	s_xor_b64 s[30:31], exec, s[30:31]
	s_cbranch_execz .LBB94_5195
; %bb.5194:
	v_trunc_f32_e32 v4, v4
	s_mov_b32 s34, 0x2f800000
	v_mul_f32_e64 v5, |v4|, s34
	v_floor_f32_e32 v5, v5
	s_mov_b32 s34, 0xcf800000
	v_cvt_u32_f32_e32 v101, v5
	v_fma_f32 v5, v5, s34, |v4|
	v_cvt_u32_f32_e32 v5, v5
	v_ashrrev_i32_e32 v102, 31, v4
	v_xor_b32_e32 v101, v101, v102
	v_xor_b32_e32 v4, v5, v102
	v_sub_co_u32_e32 v4, vcc, v4, v102
	v_subb_co_u32_e32 v5, vcc, v101, v102, vcc
	flat_store_dwordx2 v[2:3], v[4:5]
                                        ; implicit-def: $vgpr4
                                        ; implicit-def: $vgpr2_vgpr3
.LBB94_5195:
	s_andn2_saveexec_b64 vcc, s[30:31]
	s_cbranch_execz .LBB94_5197
; %bb.5196:
	v_cvt_i32_f32_e32 v4, v4
	flat_store_dword v[2:3], v4
.LBB94_5197:
	s_or_b64 exec, exec, vcc
                                        ; implicit-def: $vgpr4
                                        ; implicit-def: $vgpr2_vgpr3
.LBB94_5198:
	s_andn2_saveexec_b64 s[28:29], s[28:29]
	s_cbranch_execz .LBB94_5200
; %bb.5199:
	v_cvt_i32_f32_e32 v4, v4
	flat_store_short v[2:3], v4
.LBB94_5200:
	s_or_b64 exec, exec, s[28:29]
                                        ; implicit-def: $vgpr4
                                        ; implicit-def: $vgpr2_vgpr3
.LBB94_5201:
	s_andn2_saveexec_b64 s[26:27], s[26:27]
	s_cbranch_execz .LBB94_5207
; %bb.5202:
	v_mov_b32_e32 v5, 0
	v_cmp_gt_i16_sdwa s[28:29], v11, v5 src0_sel:BYTE_0 src1_sel:DWORD
	s_and_saveexec_b64 vcc, s[28:29]
	s_xor_b64 s[28:29], exec, vcc
	s_cbranch_execz .LBB94_5204
; %bb.5203:
	v_cvt_i32_f32_e32 v4, v4
	flat_store_byte v[2:3], v4
                                        ; implicit-def: $vgpr4
                                        ; implicit-def: $vgpr2_vgpr3
.LBB94_5204:
	s_andn2_saveexec_b64 s[28:29], s[28:29]
	s_cbranch_execz .LBB94_5206
; %bb.5205:
	v_trunc_f32_e32 v4, v4
	s_mov_b32 s30, 0x2f800000
	v_mul_f32_e64 v5, |v4|, s30
	v_floor_f32_e32 v5, v5
	s_mov_b32 s30, 0xcf800000
	v_fma_f32 v5, v5, s30, |v4|
	v_cvt_u32_f32_e32 v5, v5
	v_ashrrev_i32_e32 v4, 31, v4
	v_xor_b32_e32 v5, v5, v4
	v_sub_u32_e32 v4, v5, v4
	flat_store_byte v[2:3], v4
.LBB94_5206:
	s_or_b64 exec, exec, s[28:29]
.LBB94_5207:
	s_or_b64 exec, exec, s[26:27]
.LBB94_5208:
	s_or_b64 exec, exec, s[24:25]
	s_or_b64 s[6:7], s[6:7], exec
	s_or_b64 exec, exec, s[20:21]
	s_mov_b64 s[24:25], 0
	s_and_saveexec_b64 s[20:21], s[6:7]
	s_cbranch_execnz .LBB94_3794
	s_branch .LBB94_3795
.LBB94_5209:
	s_mov_b64 s[14:15], exec
	s_andn2_b64 s[6:7], s[6:7], exec
	s_trap 2
	s_or_b64 exec, exec, s[16:17]
	s_and_saveexec_b64 s[12:13], s[6:7]
	s_xor_b64 s[6:7], exec, s[12:13]
	s_cbranch_execz .LBB94_4964
.LBB94_5210:
	v_cmp_neq_f32_e32 vcc, 0, v2
	v_cndmask_b32_e64 v0, 0, 1, vcc
	s_or_b64 s[4:5], s[4:5], exec
	flat_store_byte v[4:5], v0
	s_or_b64 exec, exec, s[6:7]
	s_and_saveexec_b64 s[6:7], s[18:19]
	s_cbranch_execz .LBB94_5252
.LBB94_5211:
	v_cmp_lt_i16_e32 vcc, 4, v103
	s_and_saveexec_b64 s[12:13], vcc
	s_xor_b64 s[12:13], exec, s[12:13]
	s_cbranch_execz .LBB94_5233
; %bb.5212:
	v_cmp_lt_i16_e32 vcc, 7, v103
	s_and_saveexec_b64 s[16:17], vcc
	s_xor_b64 s[16:17], exec, s[16:17]
	s_cbranch_execz .LBB94_5222
; %bb.5213:
	;; [unrolled: 5-line block ×4, first 2 shown]
	s_waitcnt vmcnt(0)
	v_mov_b32_e32 v8, 0
	v_cvt_f64_f32_e32 v[6:7], v2
	v_mov_b32_e32 v9, v8
	flat_store_dwordx4 v[4:5], v[6:9]
.LBB94_5216:
	s_andn2_saveexec_b64 s[20:21], s[20:21]
	s_cbranch_execz .LBB94_5218
; %bb.5217:
	v_mov_b32_e32 v3, 0
	flat_store_dwordx2 v[4:5], v[2:3]
.LBB94_5218:
	s_or_b64 exec, exec, s[20:21]
.LBB94_5219:
	s_andn2_saveexec_b64 s[18:19], s[18:19]
	s_cbranch_execz .LBB94_5221
; %bb.5220:
	v_cvt_f16_f32_e32 v0, v2
	flat_store_dword v[4:5], v0
.LBB94_5221:
	s_or_b64 exec, exec, s[18:19]
.LBB94_5222:
	s_andn2_saveexec_b64 s[16:17], s[16:17]
	s_cbranch_execz .LBB94_5232
; %bb.5223:
	v_cmp_lt_i16_e32 vcc, 5, v103
	s_and_saveexec_b64 s[18:19], vcc
	s_xor_b64 s[18:19], exec, s[18:19]
	s_cbranch_execz .LBB94_5229
; %bb.5224:
	v_cmp_lt_i16_e32 vcc, 6, v103
	s_and_saveexec_b64 s[20:21], vcc
	s_xor_b64 s[20:21], exec, s[20:21]
	s_cbranch_execz .LBB94_5226
; %bb.5225:
	v_cvt_f64_f32_e32 v[0:1], v2
	flat_store_dwordx2 v[4:5], v[0:1]
.LBB94_5226:
	s_andn2_saveexec_b64 s[20:21], s[20:21]
	s_cbranch_execz .LBB94_5228
; %bb.5227:
	flat_store_dword v[4:5], v2
.LBB94_5228:
	s_or_b64 exec, exec, s[20:21]
.LBB94_5229:
	s_andn2_saveexec_b64 s[18:19], s[18:19]
	s_cbranch_execz .LBB94_5231
; %bb.5230:
	v_cvt_f16_f32_e32 v0, v2
	flat_store_short v[4:5], v0
.LBB94_5231:
	s_or_b64 exec, exec, s[18:19]
.LBB94_5232:
	s_or_b64 exec, exec, s[16:17]
.LBB94_5233:
	s_andn2_saveexec_b64 s[12:13], s[12:13]
	s_cbranch_execz .LBB94_5251
; %bb.5234:
	v_cmp_lt_i16_e32 vcc, 1, v103
	s_and_saveexec_b64 s[16:17], vcc
	s_xor_b64 s[16:17], exec, s[16:17]
	s_cbranch_execz .LBB94_5244
; %bb.5235:
	v_cmp_lt_i16_e32 vcc, 2, v103
	s_and_saveexec_b64 s[18:19], vcc
	s_xor_b64 s[18:19], exec, s[18:19]
	;; [unrolled: 5-line block ×3, first 2 shown]
	s_cbranch_execz .LBB94_5238
; %bb.5237:
	v_trunc_f32_e32 v0, v2
	s_mov_b32 s22, 0x2f800000
	v_mul_f32_e64 v1, |v0|, s22
	v_floor_f32_e32 v1, v1
	s_mov_b32 s22, 0xcf800000
	v_cvt_u32_f32_e32 v3, v1
	v_fma_f32 v1, v1, s22, |v0|
	v_cvt_u32_f32_e32 v1, v1
	v_ashrrev_i32_e32 v6, 31, v0
	v_xor_b32_e32 v3, v3, v6
	v_xor_b32_e32 v0, v1, v6
	v_sub_co_u32_e32 v0, vcc, v0, v6
	v_subb_co_u32_e32 v1, vcc, v3, v6, vcc
	flat_store_dwordx2 v[4:5], v[0:1]
                                        ; implicit-def: $vgpr4_vgpr5
.LBB94_5238:
	s_andn2_saveexec_b64 s[20:21], s[20:21]
	s_cbranch_execz .LBB94_5240
; %bb.5239:
	v_cvt_i32_f32_e32 v0, v2
	flat_store_dword v[4:5], v0
.LBB94_5240:
	s_or_b64 exec, exec, s[20:21]
                                        ; implicit-def: $vgpr4_vgpr5
.LBB94_5241:
	s_andn2_saveexec_b64 s[18:19], s[18:19]
	s_cbranch_execz .LBB94_5243
; %bb.5242:
	v_cvt_i32_f32_e32 v0, v2
	flat_store_short v[4:5], v0
.LBB94_5243:
	s_or_b64 exec, exec, s[18:19]
                                        ; implicit-def: $vgpr4_vgpr5
.LBB94_5244:
	s_andn2_saveexec_b64 s[16:17], s[16:17]
	s_cbranch_execz .LBB94_5250
; %bb.5245:
	v_cmp_lt_i16_e32 vcc, 0, v103
	s_and_saveexec_b64 s[18:19], vcc
	s_xor_b64 s[18:19], exec, s[18:19]
	s_cbranch_execz .LBB94_5247
; %bb.5246:
	v_cvt_i32_f32_e32 v0, v2
                                        ; implicit-def: $vgpr2
	flat_store_byte v[4:5], v0
                                        ; implicit-def: $vgpr4_vgpr5
.LBB94_5247:
	s_andn2_saveexec_b64 s[18:19], s[18:19]
	s_cbranch_execz .LBB94_5249
; %bb.5248:
	v_trunc_f32_e32 v0, v2
	s_mov_b32 s20, 0x2f800000
	v_mul_f32_e64 v1, |v0|, s20
	v_floor_f32_e32 v1, v1
	s_mov_b32 s20, 0xcf800000
	v_fma_f32 v1, v1, s20, |v0|
	v_cvt_u32_f32_e32 v1, v1
	v_ashrrev_i32_e32 v0, 31, v0
	v_xor_b32_e32 v1, v1, v0
	v_sub_u32_e32 v0, v1, v0
	flat_store_byte v[4:5], v0
.LBB94_5249:
	s_or_b64 exec, exec, s[18:19]
.LBB94_5250:
	s_or_b64 exec, exec, s[16:17]
.LBB94_5251:
	s_or_b64 exec, exec, s[12:13]
	s_or_b64 s[4:5], s[4:5], exec
.LBB94_5252:
	s_or_b64 exec, exec, s[6:7]
	s_and_saveexec_b64 s[6:7], s[4:5]
	s_xor_b64 s[4:5], exec, s[6:7]
	s_or_b64 exec, exec, s[4:5]
	s_and_b64 s[4:5], s[14:15], exec
.LBB94_5253:
	s_andn2_saveexec_b64 s[6:7], s[10:11]
	s_cbranch_execnz .LBB94_5256
.LBB94_5254:
	s_or_b64 exec, exec, s[6:7]
	s_and_b64 s[4:5], s[4:5], exec
	s_andn2_saveexec_b64 s[6:7], s[8:9]
	s_cbranch_execz .LBB94_3652
.LBB94_5255:
	s_or_b64 s[4:5], s[4:5], exec
	s_trap 2
	s_or_b64 exec, exec, s[6:7]
	s_and_saveexec_b64 s[6:7], s[4:5]
	s_cbranch_execnz .LBB94_3653
	s_branch .LBB94_3654
.LBB94_5256:
	s_or_b64 s[4:5], s[4:5], exec
	s_trap 2
	s_branch .LBB94_5254
.LBB94_5257:
	v_mov_b32_e32 v5, 25
	v_cmp_gt_i16_sdwa s[4:5], v11, v5 src0_sel:BYTE_0 src1_sel:DWORD
	s_mov_b64 s[28:29], s[20:21]
	s_and_saveexec_b64 s[30:31], s[4:5]
	s_xor_b64 s[30:31], exec, s[30:31]
	s_cbranch_execz .LBB94_5293
; %bb.5258:
	v_mov_b32_e32 v5, 28
	v_cmp_gt_i16_sdwa s[4:5], v11, v5 src0_sel:BYTE_0 src1_sel:DWORD
	s_mov_b64 s[34:35], s[20:21]
	s_and_saveexec_b64 s[28:29], s[4:5]
	s_xor_b64 s[28:29], exec, s[28:29]
	s_cbranch_execz .LBB94_5276
; %bb.5259:
	v_mov_b32_e32 v5, 43
	v_cmp_gt_i16_sdwa s[34:35], v11, v5 src0_sel:BYTE_0 src1_sel:DWORD
	s_mov_b64 s[4:5], 0
	s_mov_b64 s[6:7], s[20:21]
	s_and_saveexec_b64 s[36:37], s[34:35]
	s_xor_b64 s[34:35], exec, s[36:37]
	s_cbranch_execz .LBB94_5271
; %bb.5260:
	v_mov_b32_e32 v5, 45
	v_cmp_gt_i16_sdwa s[4:5], v11, v5 src0_sel:BYTE_0 src1_sel:DWORD
	s_mov_b64 s[36:37], 0
	s_mov_b64 s[38:39], s[20:21]
	s_and_saveexec_b64 s[6:7], s[4:5]
	s_xor_b64 s[6:7], exec, s[6:7]
	s_cbranch_execz .LBB94_5264
; %bb.5261:
	v_mov_b32_e32 v5, 46
	v_cmp_eq_u16_sdwa s[40:41], v11, v5 src0_sel:BYTE_0 src1_sel:DWORD
	s_mov_b64 s[4:5], -1
	s_and_saveexec_b64 s[38:39], s[40:41]
	s_cbranch_execz .LBB94_5263
; %bb.5262:
	v_bfe_u32 v5, v4, 16, 1
	s_movk_i32 s4, 0x7fff
	v_add3_u32 v5, v4, v5, s4
	v_lshrrev_b32_e32 v5, 16, v5
	v_mov_b32_e32 v99, 0x7fc0
	v_cmp_o_f32_e64 s[4:5], v4, v4
	v_cndmask_b32_e64 v4, v99, v5, s[4:5]
	s_mov_b64 s[36:37], exec
	flat_store_dword v[2:3], v4
	s_xor_b64 s[4:5], exec, -1
.LBB94_5263:
	s_or_b64 exec, exec, s[38:39]
	s_andn2_b64 s[38:39], s[20:21], exec
	s_and_b64 s[4:5], s[4:5], exec
	s_or_b64 s[38:39], s[38:39], s[4:5]
	s_and_b64 s[36:37], s[36:37], exec
                                        ; implicit-def: $vgpr2_vgpr3
                                        ; implicit-def: $vgpr4
.LBB94_5264:
	s_andn2_saveexec_b64 s[40:41], s[6:7]
	s_cbranch_execz .LBB94_5270
; %bb.5265:
	v_mov_b32_e32 v5, 44
	v_cmp_eq_u16_sdwa s[44:45], v11, v5 src0_sel:BYTE_0 src1_sel:DWORD
	s_mov_b64 s[6:7], -1
	s_mov_b64 s[4:5], s[36:37]
	s_and_saveexec_b64 s[42:43], s[44:45]
	s_cbranch_execz .LBB94_5269
; %bb.5266:
	v_bfe_u32 v5, v4, 23, 8
	s_movk_i32 s4, 0xff
	v_cmp_ne_u32_e64 s[4:5], s4, v5
	v_mov_b32_e32 v99, 0xff
	s_and_saveexec_b64 s[44:45], s[4:5]
; %bb.5267:
	s_mov_b32 s6, 0x3fffff
	v_lshrrev_b32_e32 v99, 23, v4
	v_and_b32_e32 v100, 0x400000, v4
	v_and_or_b32 v4, v4, s6, v5
	v_cmp_ne_u32_e64 s[4:5], 0, v100
	v_cmp_ne_u32_e64 s[6:7], 0, v4
	s_and_b64 s[4:5], s[4:5], s[6:7]
	v_cndmask_b32_e64 v4, 0, 1, s[4:5]
	v_add_u32_e32 v99, v99, v4
; %bb.5268:
	s_or_b64 exec, exec, s[44:45]
	s_xor_b64 s[6:7], exec, -1
	s_or_b64 s[4:5], s[36:37], exec
	flat_store_byte v[2:3], v99
.LBB94_5269:
	s_or_b64 exec, exec, s[42:43]
	s_andn2_b64 s[38:39], s[38:39], exec
	s_and_b64 s[6:7], s[6:7], exec
	s_or_b64 s[38:39], s[38:39], s[6:7]
	s_andn2_b64 s[6:7], s[36:37], exec
	s_and_b64 s[4:5], s[4:5], exec
	s_or_b64 s[36:37], s[6:7], s[4:5]
.LBB94_5270:
	s_or_b64 exec, exec, s[40:41]
	s_andn2_b64 s[4:5], s[20:21], exec
	s_and_b64 s[6:7], s[38:39], exec
	s_or_b64 s[6:7], s[4:5], s[6:7]
	s_and_b64 s[4:5], s[36:37], exec
                                        ; implicit-def: $vgpr4
                                        ; implicit-def: $vgpr2_vgpr3
.LBB94_5271:
	s_andn2_saveexec_b64 s[34:35], s[34:35]
	s_cbranch_execz .LBB94_5275
; %bb.5272:
	v_mov_b32_e32 v5, 29
	v_cmp_eq_u16_sdwa s[42:43], v11, v5 src0_sel:BYTE_0 src1_sel:DWORD
	s_mov_b64 s[40:41], -1
	s_mov_b64 s[38:39], s[4:5]
	s_and_saveexec_b64 s[36:37], s[42:43]
	s_cbranch_execz .LBB94_5274
; %bb.5273:
	v_trunc_f32_e32 v4, v4
	v_mul_f32_e32 v5, 0x2f800000, v4
	v_floor_f32_e32 v99, v5
	v_fmac_f32_e32 v4, 0xcf800000, v99
	v_cvt_u32_f32_e32 v5, v99
	v_cvt_u32_f32_e32 v4, v4
	s_xor_b64 s[40:41], exec, -1
	s_or_b64 s[38:39], s[4:5], exec
	flat_store_dwordx2 v[2:3], v[4:5]
.LBB94_5274:
	s_or_b64 exec, exec, s[36:37]
	s_andn2_b64 s[6:7], s[6:7], exec
	s_and_b64 s[36:37], s[40:41], exec
	s_or_b64 s[6:7], s[6:7], s[36:37]
	s_andn2_b64 s[4:5], s[4:5], exec
	s_and_b64 s[36:37], s[38:39], exec
	s_or_b64 s[4:5], s[4:5], s[36:37]
.LBB94_5275:
	s_or_b64 exec, exec, s[34:35]
	s_andn2_b64 s[34:35], s[20:21], exec
	s_and_b64 s[6:7], s[6:7], exec
	s_or_b64 s[34:35], s[34:35], s[6:7]
	s_and_b64 s[6:7], s[4:5], exec
                                        ; implicit-def: $vgpr2_vgpr3
                                        ; implicit-def: $vgpr99
                                        ; implicit-def: $vgpr4
.LBB94_5276:
	s_andn2_saveexec_b64 s[28:29], s[28:29]
	s_cbranch_execz .LBB94_5292
; %bb.5277:
	v_mov_b32_e32 v5, 26
	v_cmp_gt_i16_sdwa s[4:5], v11, v5 src0_sel:BYTE_0 src1_sel:DWORD
	s_and_saveexec_b64 s[36:37], s[4:5]
	s_xor_b64 s[4:5], exec, s[36:37]
	s_cbranch_execz .LBB94_5283
; %bb.5278:
	v_cvt_u32_f32_e32 v4, v4
	v_mov_b32_e32 v5, 27
	v_cmp_gt_i16_sdwa s[36:37], v11, v5 src0_sel:BYTE_0 src1_sel:DWORD
	s_and_saveexec_b64 s[38:39], s[36:37]
	s_xor_b64 s[36:37], exec, s[38:39]
	s_cbranch_execz .LBB94_5280
; %bb.5279:
	flat_store_dword v[2:3], v4
                                        ; implicit-def: $vgpr2_vgpr3
                                        ; implicit-def: $vgpr4
.LBB94_5280:
	s_andn2_saveexec_b64 s[36:37], s[36:37]
	s_cbranch_execz .LBB94_5282
; %bb.5281:
	flat_store_short v[2:3], v4
.LBB94_5282:
	s_or_b64 exec, exec, s[36:37]
                                        ; implicit-def: $vgpr2_vgpr3
                                        ; implicit-def: $vgpr99
                                        ; implicit-def: $vgpr4
.LBB94_5283:
	s_andn2_saveexec_b64 s[36:37], s[4:5]
	s_cbranch_execz .LBB94_5291
; %bb.5284:
	v_cndmask_b32_e64 v99, |v0|, |v99|, vcc
	s_mov_b32 s4, 0x43800000
	v_cmp_gt_u32_e64 s[4:5], s4, v99
	v_mov_b32_e32 v100, 0x80
	s_and_saveexec_b64 s[38:39], s[4:5]
	s_cbranch_execz .LBB94_5290
; %bb.5285:
	s_mov_b32 s4, 0x3bffffff
	v_cmp_lt_u32_e64 s[4:5], s4, v99
	s_mov_b64 s[40:41], 0
                                        ; implicit-def: $vgpr5
	s_and_saveexec_b64 s[42:43], s[4:5]
	s_xor_b64 s[4:5], exec, s[42:43]
	s_cbranch_execnz .LBB94_6001
; %bb.5286:
	s_or_saveexec_b64 s[42:43], s[4:5]
                                        ; implicit-def: $sgpr44
	s_xor_b64 exec, exec, s[42:43]
	s_cbranch_execnz .LBB94_6002
.LBB94_5287:
	s_or_b64 exec, exec, s[42:43]
	v_mov_b32_e32 v100, s44
	s_and_saveexec_b64 s[4:5], s[40:41]
.LBB94_5288:
	v_lshrrev_b32_e32 v4, 24, v4
	s_movk_i32 s40, 0x80
	v_and_or_b32 v100, v4, s40, v5
.LBB94_5289:
	s_or_b64 exec, exec, s[4:5]
.LBB94_5290:
	s_or_b64 exec, exec, s[38:39]
	flat_store_byte v[2:3], v100
.LBB94_5291:
	s_or_b64 exec, exec, s[36:37]
	s_or_b64 s[6:7], s[6:7], exec
.LBB94_5292:
	s_or_b64 exec, exec, s[28:29]
	s_andn2_b64 s[4:5], s[20:21], exec
	s_and_b64 s[28:29], s[34:35], exec
	s_or_b64 s[28:29], s[4:5], s[28:29]
	s_and_b64 s[6:7], s[6:7], exec
                                        ; implicit-def: $vgpr4
                                        ; implicit-def: $vgpr2_vgpr3
                                        ; implicit-def: $vgpr99
.LBB94_5293:
	s_andn2_saveexec_b64 s[30:31], s[30:31]
	s_cbranch_execz .LBB94_5337
; %bb.5294:
	v_mov_b32_e32 v5, 22
	v_cmp_gt_i16_sdwa s[34:35], v11, v5 src0_sel:BYTE_0 src1_sel:DWORD
	s_mov_b64 s[4:5], s[6:7]
	s_and_saveexec_b64 s[36:37], s[34:35]
	s_xor_b64 s[34:35], exec, s[36:37]
	s_cbranch_execz .LBB94_5326
; %bb.5295:
	v_mov_b32_e32 v5, 23
	v_cmp_gt_i16_sdwa s[4:5], v11, v5 src0_sel:BYTE_0 src1_sel:DWORD
	s_and_saveexec_b64 s[36:37], s[4:5]
	s_xor_b64 s[36:37], exec, s[36:37]
	s_cbranch_execz .LBB94_5315
; %bb.5296:
	v_mov_b32_e32 v5, 24
	v_cmp_gt_i16_sdwa s[4:5], v11, v5 src0_sel:BYTE_0 src1_sel:DWORD
	s_and_saveexec_b64 s[38:39], s[4:5]
	s_xor_b64 s[38:39], exec, s[38:39]
	s_cbranch_execz .LBB94_5304
; %bb.5297:
	v_cndmask_b32_e64 v99, |v0|, |v99|, vcc
	s_mov_b32 s4, 0x47800000
	v_cmp_gt_u32_e64 s[4:5], s4, v99
	v_mov_b32_e32 v100, 0x80
	s_and_saveexec_b64 s[40:41], s[4:5]
	s_cbranch_execz .LBB94_5303
; %bb.5298:
	s_mov_b32 s4, 0x37ffffff
	v_cmp_lt_u32_e64 s[4:5], s4, v99
	s_mov_b64 s[42:43], 0
                                        ; implicit-def: $vgpr5
	s_and_saveexec_b64 s[44:45], s[4:5]
	s_xor_b64 s[4:5], exec, s[44:45]
	s_cbranch_execnz .LBB94_6125
; %bb.5299:
	s_or_saveexec_b64 s[44:45], s[4:5]
                                        ; implicit-def: $sgpr46
	s_xor_b64 exec, exec, s[44:45]
	s_cbranch_execnz .LBB94_6126
.LBB94_5300:
	s_or_b64 exec, exec, s[44:45]
	v_mov_b32_e32 v100, s46
	s_and_saveexec_b64 s[4:5], s[42:43]
.LBB94_5301:
	v_lshrrev_b32_e32 v4, 24, v4
	s_movk_i32 s42, 0x80
	v_and_or_b32 v100, v4, s42, v5
.LBB94_5302:
	s_or_b64 exec, exec, s[4:5]
.LBB94_5303:
	s_or_b64 exec, exec, s[40:41]
	flat_store_byte v[2:3], v100
                                        ; implicit-def: $vgpr4
                                        ; implicit-def: $vgpr2_vgpr3
                                        ; implicit-def: $vgpr99
.LBB94_5304:
	s_andn2_saveexec_b64 s[38:39], s[38:39]
	s_cbranch_execz .LBB94_5314
; %bb.5305:
	v_cndmask_b32_e64 v99, |v0|, |v99|, vcc
	s_mov_b32 s4, 0x43f00000
	v_cmp_gt_u32_e64 s[4:5], s4, v99
                                        ; implicit-def: $vgpr5
	s_and_saveexec_b64 s[40:41], s[4:5]
	s_xor_b64 s[40:41], exec, s[40:41]
	s_cbranch_execz .LBB94_5311
; %bb.5306:
	s_mov_b32 s4, 0x3c7fffff
	v_cmp_lt_u32_e64 s[4:5], s4, v99
                                        ; implicit-def: $vgpr5
	s_and_saveexec_b64 s[42:43], s[4:5]
	s_xor_b64 s[42:43], exec, s[42:43]
; %bb.5307:
	v_bfe_u32 v5, v4, 20, 1
	s_mov_b32 s4, 0x407ffff
	v_add3_u32 v5, v4, v5, s4
	v_lshrrev_b32_e32 v99, 20, v5
	v_and_b32_e32 v5, 0xff00000, v5
	s_mov_b32 s4, 0x7f00000
	v_mov_b32_e32 v100, 0x7e
	v_cmp_ne_u32_e64 s[4:5], s4, v5
	v_cndmask_b32_e64 v5, v100, v99, s[4:5]
                                        ; implicit-def: $vgpr99
; %bb.5308:
	s_andn2_saveexec_b64 s[4:5], s[42:43]
; %bb.5309:
	v_add_f32_e32 v5, 0x46800000, v99
; %bb.5310:
	s_or_b64 exec, exec, s[4:5]
                                        ; implicit-def: $vgpr99
.LBB94_5311:
	s_andn2_saveexec_b64 s[40:41], s[40:41]
; %bb.5312:
	s_mov_b32 s4, 0x7f800000
	v_mov_b32_e32 v5, 0x7e
	v_mov_b32_e32 v100, 0x7f
	v_cmp_lt_u32_e64 s[4:5], s4, v99
	v_cndmask_b32_e64 v5, v5, v100, s[4:5]
; %bb.5313:
	s_or_b64 exec, exec, s[40:41]
	v_lshrrev_b32_e32 v4, 24, v4
	s_movk_i32 s4, 0x80
	v_and_or_b32 v4, v4, s4, v5
	flat_store_byte v[2:3], v4
.LBB94_5314:
	s_or_b64 exec, exec, s[38:39]
                                        ; implicit-def: $vgpr4
                                        ; implicit-def: $vgpr2_vgpr3
                                        ; implicit-def: $vgpr99
.LBB94_5315:
	s_andn2_saveexec_b64 s[4:5], s[36:37]
	s_cbranch_execz .LBB94_5325
; %bb.5316:
	v_cndmask_b32_e64 v99, |v0|, |v99|, vcc
	s_mov_b32 vcc_lo, 0x47800000
	v_cmp_gt_u32_e32 vcc, vcc_lo, v99
                                        ; implicit-def: $vgpr5
	s_and_saveexec_b64 s[36:37], vcc
	s_xor_b64 s[36:37], exec, s[36:37]
	s_cbranch_execz .LBB94_5322
; %bb.5317:
	s_mov_b32 vcc_lo, 0x387fffff
	v_cmp_lt_u32_e32 vcc, vcc_lo, v99
                                        ; implicit-def: $vgpr5
	s_and_saveexec_b64 s[38:39], vcc
	s_xor_b64 vcc, exec, s[38:39]
; %bb.5318:
	v_bfe_u32 v5, v4, 21, 1
	s_mov_b32 s38, 0x80fffff
	v_add3_u32 v5, v4, v5, s38
	v_lshrrev_b32_e32 v5, 21, v5
                                        ; implicit-def: $vgpr99
; %bb.5319:
	s_andn2_saveexec_b64 vcc, vcc
; %bb.5320:
	v_add_f32_e32 v5, 0x43000000, v99
; %bb.5321:
	s_or_b64 exec, exec, vcc
                                        ; implicit-def: $vgpr99
.LBB94_5322:
	s_andn2_saveexec_b64 s[36:37], s[36:37]
; %bb.5323:
	s_mov_b32 vcc_lo, 0x7f800000
	v_mov_b32_e32 v5, 0x7c
	v_mov_b32_e32 v100, 0x7f
	v_cmp_lt_u32_e32 vcc, vcc_lo, v99
	v_cndmask_b32_e32 v5, v5, v100, vcc
; %bb.5324:
	s_or_b64 exec, exec, s[36:37]
	v_lshrrev_b32_e32 v4, 24, v4
	s_movk_i32 vcc_lo, 0x80
	v_and_or_b32 v4, v4, vcc_lo, v5
	flat_store_byte v[2:3], v4
.LBB94_5325:
	s_or_b64 exec, exec, s[4:5]
	s_or_b64 s[4:5], s[6:7], exec
                                        ; implicit-def: $vgpr4
                                        ; implicit-def: $vgpr2_vgpr3
.LBB94_5326:
	s_or_saveexec_b64 s[34:35], s[34:35]
	s_mov_b64 vcc, s[28:29]
	s_xor_b64 exec, exec, s[34:35]
	s_cbranch_execz .LBB94_5336
; %bb.5327:
	v_mov_b32_e32 v5, 14
	v_cmp_gt_i16_sdwa vcc, v11, v5 src0_sel:BYTE_0 src1_sel:DWORD
	s_mov_b64 s[36:37], s[4:5]
	s_mov_b64 s[38:39], s[28:29]
	s_and_saveexec_b64 s[40:41], vcc
	s_xor_b64 s[40:41], exec, s[40:41]
	s_cbranch_execz .LBB94_5331
; %bb.5328:
	v_mov_b32_e32 v5, 15
	v_cmp_eq_u16_sdwa s[42:43], v11, v5 src0_sel:BYTE_0 src1_sel:DWORD
	s_mov_b64 s[38:39], -1
	s_mov_b64 vcc, s[4:5]
	s_and_saveexec_b64 s[36:37], s[42:43]
	s_cbranch_execz .LBB94_5330
; %bb.5329:
	v_bfe_u32 v5, v4, 16, 1
	s_movk_i32 vcc_lo, 0x7fff
	v_add3_u32 v5, v4, v5, vcc_lo
	v_lshrrev_b32_e32 v5, 16, v5
	v_mov_b32_e32 v99, 0x7fc0
	v_cmp_o_f32_e32 vcc, v4, v4
	v_cndmask_b32_e32 v4, v99, v5, vcc
	flat_store_short v[2:3], v4
	s_xor_b64 s[38:39], exec, -1
	s_or_b64 vcc, s[4:5], exec
.LBB94_5330:
	s_or_b64 exec, exec, s[36:37]
	s_andn2_b64 s[36:37], s[28:29], exec
	s_and_b64 s[38:39], s[38:39], exec
	s_or_b64 s[38:39], s[36:37], s[38:39]
	s_andn2_b64 s[36:37], s[4:5], exec
	s_and_b64 vcc, vcc, exec
	s_or_b64 s[36:37], s[36:37], vcc
                                        ; implicit-def: $vgpr4
                                        ; implicit-def: $vgpr2_vgpr3
.LBB94_5331:
	s_andn2_saveexec_b64 s[40:41], s[40:41]
	s_cbranch_execz .LBB94_5335
; %bb.5332:
	v_mov_b32_e32 v5, 11
	v_cmp_eq_u16_sdwa s[46:47], v11, v5 src0_sel:BYTE_0 src1_sel:DWORD
	s_mov_b64 s[42:43], -1
	s_mov_b64 vcc, s[36:37]
	s_and_saveexec_b64 s[44:45], s[46:47]
	s_cbranch_execz .LBB94_5334
; %bb.5333:
	v_cmp_neq_f32_e32 vcc, 0, v4
	v_cndmask_b32_e64 v4, 0, 1, vcc
	flat_store_byte v[2:3], v4
	s_xor_b64 s[42:43], exec, -1
	s_or_b64 vcc, s[36:37], exec
.LBB94_5334:
	s_or_b64 exec, exec, s[44:45]
	s_andn2_b64 s[38:39], s[38:39], exec
	s_and_b64 s[42:43], s[42:43], exec
	s_andn2_b64 s[36:37], s[36:37], exec
	s_and_b64 vcc, vcc, exec
	s_or_b64 s[38:39], s[38:39], s[42:43]
	s_or_b64 s[36:37], s[36:37], vcc
.LBB94_5335:
	s_or_b64 exec, exec, s[40:41]
	s_andn2_b64 vcc, s[28:29], exec
	s_and_b64 s[38:39], s[38:39], exec
	s_andn2_b64 s[4:5], s[4:5], exec
	s_and_b64 s[36:37], s[36:37], exec
	s_or_b64 vcc, vcc, s[38:39]
	s_or_b64 s[4:5], s[4:5], s[36:37]
.LBB94_5336:
	s_or_b64 exec, exec, s[34:35]
	s_andn2_b64 s[28:29], s[28:29], exec
	s_and_b64 vcc, vcc, exec
	s_andn2_b64 s[6:7], s[6:7], exec
	s_and_b64 s[4:5], s[4:5], exec
	s_or_b64 s[28:29], s[28:29], vcc
	s_or_b64 s[6:7], s[6:7], s[4:5]
.LBB94_5337:
	s_or_b64 exec, exec, s[30:31]
	s_andn2_b64 s[4:5], s[20:21], exec
	s_and_b64 s[28:29], s[28:29], exec
	s_or_b64 s[4:5], s[4:5], s[28:29]
	s_and_b64 s[6:7], s[6:7], exec
                                        ; implicit-def: $vgpr4
                                        ; implicit-def: $vgpr2_vgpr3
	s_andn2_saveexec_b64 s[24:25], s[24:25]
	s_cbranch_execz .LBB94_3800
.LBB94_5338:
	v_mov_b32_e32 v5, 4
	v_cmp_gt_i16_sdwa s[28:29], v11, v5 src0_sel:BYTE_0 src1_sel:DWORD
	s_and_saveexec_b64 vcc, s[28:29]
	s_xor_b64 s[28:29], exec, vcc
	s_cbranch_execz .LBB94_5360
; %bb.5339:
	v_mov_b32_e32 v5, 7
	v_cmp_gt_i16_sdwa vcc, v11, v5 src0_sel:BYTE_0 src1_sel:DWORD
	s_and_saveexec_b64 s[30:31], vcc
	s_xor_b64 vcc, exec, s[30:31]
	s_cbranch_execz .LBB94_5349
; %bb.5340:
	v_mov_b32_e32 v5, 8
	v_cmp_gt_i16_sdwa s[30:31], v11, v5 src0_sel:BYTE_0 src1_sel:DWORD
	s_and_saveexec_b64 s[34:35], s[30:31]
	s_xor_b64 s[30:31], exec, s[34:35]
	s_cbranch_execz .LBB94_5346
; %bb.5341:
	v_mov_b32_e32 v5, 9
	v_cmp_gt_i16_sdwa s[34:35], v11, v5 src0_sel:BYTE_0 src1_sel:DWORD
	s_and_saveexec_b64 s[36:37], s[34:35]
	s_xor_b64 s[34:35], exec, s[36:37]
	s_cbranch_execz .LBB94_5343
; %bb.5342:
	v_mov_b32_e32 v102, 0
	v_cvt_f64_f32_e32 v[100:101], v4
	v_mov_b32_e32 v103, v102
	flat_store_dwordx4 v[2:3], v[100:103]
                                        ; implicit-def: $vgpr4
                                        ; implicit-def: $vgpr2_vgpr3
.LBB94_5343:
	s_andn2_saveexec_b64 s[34:35], s[34:35]
	s_cbranch_execz .LBB94_5345
; %bb.5344:
	v_mov_b32_e32 v5, 0
	flat_store_dwordx2 v[2:3], v[4:5]
.LBB94_5345:
	s_or_b64 exec, exec, s[34:35]
                                        ; implicit-def: $vgpr4
                                        ; implicit-def: $vgpr2_vgpr3
.LBB94_5346:
	s_andn2_saveexec_b64 s[30:31], s[30:31]
	s_cbranch_execz .LBB94_5348
; %bb.5347:
	v_cvt_f16_f32_e32 v4, v4
	flat_store_dword v[2:3], v4
.LBB94_5348:
	s_or_b64 exec, exec, s[30:31]
                                        ; implicit-def: $vgpr4
                                        ; implicit-def: $vgpr2_vgpr3
.LBB94_5349:
	s_andn2_saveexec_b64 vcc, vcc
	s_cbranch_execz .LBB94_5359
; %bb.5350:
	v_mov_b32_e32 v5, 5
	v_cmp_gt_i16_sdwa s[30:31], v11, v5 src0_sel:BYTE_0 src1_sel:DWORD
	s_and_saveexec_b64 s[34:35], s[30:31]
	s_xor_b64 s[30:31], exec, s[34:35]
	s_cbranch_execz .LBB94_5356
; %bb.5351:
	v_mov_b32_e32 v5, 6
	v_cmp_gt_i16_sdwa s[34:35], v11, v5 src0_sel:BYTE_0 src1_sel:DWORD
	s_and_saveexec_b64 s[36:37], s[34:35]
	s_xor_b64 s[34:35], exec, s[36:37]
	s_cbranch_execz .LBB94_5353
; %bb.5352:
	v_cvt_f64_f32_e32 v[4:5], v4
	flat_store_dwordx2 v[2:3], v[4:5]
                                        ; implicit-def: $vgpr2_vgpr3
                                        ; implicit-def: $vgpr4
.LBB94_5353:
	s_andn2_saveexec_b64 s[34:35], s[34:35]
	s_cbranch_execz .LBB94_5355
; %bb.5354:
	flat_store_dword v[2:3], v4
.LBB94_5355:
	s_or_b64 exec, exec, s[34:35]
                                        ; implicit-def: $vgpr4
                                        ; implicit-def: $vgpr2_vgpr3
.LBB94_5356:
	s_andn2_saveexec_b64 s[30:31], s[30:31]
	s_cbranch_execz .LBB94_5358
; %bb.5357:
	v_cvt_f16_f32_e32 v4, v4
	flat_store_short v[2:3], v4
.LBB94_5358:
	s_or_b64 exec, exec, s[30:31]
.LBB94_5359:
	s_or_b64 exec, exec, vcc
                                        ; implicit-def: $vgpr4
                                        ; implicit-def: $vgpr2_vgpr3
.LBB94_5360:
	s_andn2_saveexec_b64 s[28:29], s[28:29]
	s_cbranch_execz .LBB94_5378
; %bb.5361:
	v_mov_b32_e32 v5, 1
	v_cmp_gt_i16_sdwa vcc, v11, v5 src0_sel:BYTE_0 src1_sel:DWORD
	s_and_saveexec_b64 s[30:31], vcc
	s_xor_b64 s[30:31], exec, s[30:31]
	s_cbranch_execz .LBB94_5371
; %bb.5362:
	v_mov_b32_e32 v5, 2
	v_cmp_gt_i16_sdwa vcc, v11, v5 src0_sel:BYTE_0 src1_sel:DWORD
	s_and_saveexec_b64 s[34:35], vcc
	s_xor_b64 s[34:35], exec, s[34:35]
	;; [unrolled: 6-line block ×3, first 2 shown]
	s_cbranch_execz .LBB94_5365
; %bb.5364:
	v_trunc_f32_e32 v4, v4
	s_mov_b32 s38, 0x2f800000
	v_mul_f32_e64 v5, |v4|, s38
	v_floor_f32_e32 v5, v5
	s_mov_b32 s38, 0xcf800000
	v_cvt_u32_f32_e32 v99, v5
	v_fma_f32 v5, v5, s38, |v4|
	v_cvt_u32_f32_e32 v5, v5
	v_ashrrev_i32_e32 v100, 31, v4
	v_xor_b32_e32 v99, v99, v100
	v_xor_b32_e32 v4, v5, v100
	v_sub_co_u32_e32 v4, vcc, v4, v100
	v_subb_co_u32_e32 v5, vcc, v99, v100, vcc
	flat_store_dwordx2 v[2:3], v[4:5]
                                        ; implicit-def: $vgpr4
                                        ; implicit-def: $vgpr2_vgpr3
.LBB94_5365:
	s_andn2_saveexec_b64 vcc, s[36:37]
	s_cbranch_execz .LBB94_5367
; %bb.5366:
	v_cvt_i32_f32_e32 v4, v4
	flat_store_dword v[2:3], v4
.LBB94_5367:
	s_or_b64 exec, exec, vcc
                                        ; implicit-def: $vgpr4
                                        ; implicit-def: $vgpr2_vgpr3
.LBB94_5368:
	s_andn2_saveexec_b64 vcc, s[34:35]
	s_cbranch_execz .LBB94_5370
; %bb.5369:
	v_cvt_i32_f32_e32 v4, v4
	flat_store_short v[2:3], v4
.LBB94_5370:
	s_or_b64 exec, exec, vcc
                                        ; implicit-def: $vgpr4
                                        ; implicit-def: $vgpr2_vgpr3
.LBB94_5371:
	s_andn2_saveexec_b64 vcc, s[30:31]
	s_cbranch_execz .LBB94_5377
; %bb.5372:
	v_mov_b32_e32 v5, 0
	v_cmp_gt_i16_sdwa s[30:31], v11, v5 src0_sel:BYTE_0 src1_sel:DWORD
	s_and_saveexec_b64 s[34:35], s[30:31]
	s_xor_b64 s[30:31], exec, s[34:35]
	s_cbranch_execz .LBB94_5374
; %bb.5373:
	v_cvt_i32_f32_e32 v4, v4
	flat_store_byte v[2:3], v4
                                        ; implicit-def: $vgpr4
                                        ; implicit-def: $vgpr2_vgpr3
.LBB94_5374:
	s_andn2_saveexec_b64 s[30:31], s[30:31]
	s_cbranch_execz .LBB94_5376
; %bb.5375:
	v_trunc_f32_e32 v4, v4
	s_mov_b32 s34, 0x2f800000
	v_mul_f32_e64 v5, |v4|, s34
	v_floor_f32_e32 v5, v5
	s_mov_b32 s34, 0xcf800000
	v_fma_f32 v5, v5, s34, |v4|
	v_cvt_u32_f32_e32 v5, v5
	v_ashrrev_i32_e32 v4, 31, v4
	v_xor_b32_e32 v5, v5, v4
	v_sub_u32_e32 v4, v5, v4
	flat_store_byte v[2:3], v4
.LBB94_5376:
	s_or_b64 exec, exec, s[30:31]
.LBB94_5377:
	s_or_b64 exec, exec, vcc
.LBB94_5378:
	s_or_b64 exec, exec, s[28:29]
	s_or_b64 s[6:7], s[6:7], exec
	s_or_b64 exec, exec, s[24:25]
	s_mov_b64 s[28:29], 0
	s_and_saveexec_b64 s[24:25], s[6:7]
	s_cbranch_execnz .LBB94_3801
	s_branch .LBB94_3802
.LBB94_5379:
	v_mov_b32_e32 v5, 25
	v_cmp_gt_i16_sdwa s[4:5], v11, v5 src0_sel:BYTE_0 src1_sel:DWORD
	s_mov_b64 s[34:35], s[24:25]
	s_and_saveexec_b64 s[36:37], s[4:5]
	s_xor_b64 s[36:37], exec, s[36:37]
	s_cbranch_execz .LBB94_5415
; %bb.5380:
	v_mov_b32_e32 v5, 28
	v_cmp_gt_i16_sdwa s[4:5], v11, v5 src0_sel:BYTE_0 src1_sel:DWORD
	s_mov_b64 s[38:39], s[24:25]
	s_and_saveexec_b64 s[34:35], s[4:5]
	s_xor_b64 s[34:35], exec, s[34:35]
	s_cbranch_execz .LBB94_5398
; %bb.5381:
	v_mov_b32_e32 v5, 43
	v_cmp_gt_i16_sdwa s[38:39], v11, v5 src0_sel:BYTE_0 src1_sel:DWORD
	s_mov_b64 s[4:5], 0
	s_mov_b64 s[6:7], s[24:25]
	s_and_saveexec_b64 s[40:41], s[38:39]
	s_xor_b64 s[38:39], exec, s[40:41]
	s_cbranch_execz .LBB94_5393
; %bb.5382:
	v_mov_b32_e32 v5, 45
	v_cmp_gt_i16_sdwa s[4:5], v11, v5 src0_sel:BYTE_0 src1_sel:DWORD
	s_mov_b64 s[40:41], 0
	s_mov_b64 s[42:43], s[24:25]
	s_and_saveexec_b64 s[6:7], s[4:5]
	s_xor_b64 s[6:7], exec, s[6:7]
	s_cbranch_execz .LBB94_5386
; %bb.5383:
	v_mov_b32_e32 v5, 46
	v_cmp_eq_u16_sdwa s[44:45], v11, v5 src0_sel:BYTE_0 src1_sel:DWORD
	s_mov_b64 s[4:5], -1
	s_and_saveexec_b64 s[42:43], s[44:45]
	s_cbranch_execz .LBB94_5385
; %bb.5384:
	v_bfe_u32 v5, v4, 16, 1
	s_movk_i32 s4, 0x7fff
	v_add3_u32 v5, v4, v5, s4
	v_lshrrev_b32_e32 v5, 16, v5
	v_mov_b32_e32 v97, 0x7fc0
	v_cmp_o_f32_e64 s[4:5], v4, v4
	v_cndmask_b32_e64 v4, v97, v5, s[4:5]
	s_mov_b64 s[40:41], exec
	flat_store_dword v[2:3], v4
	s_xor_b64 s[4:5], exec, -1
.LBB94_5385:
	s_or_b64 exec, exec, s[42:43]
	s_andn2_b64 s[42:43], s[24:25], exec
	s_and_b64 s[4:5], s[4:5], exec
	s_or_b64 s[42:43], s[42:43], s[4:5]
	s_and_b64 s[40:41], s[40:41], exec
                                        ; implicit-def: $vgpr2_vgpr3
                                        ; implicit-def: $vgpr4
.LBB94_5386:
	s_andn2_saveexec_b64 s[44:45], s[6:7]
	s_cbranch_execz .LBB94_5392
; %bb.5387:
	v_mov_b32_e32 v5, 44
	v_cmp_eq_u16_sdwa s[48:49], v11, v5 src0_sel:BYTE_0 src1_sel:DWORD
	s_mov_b64 s[6:7], -1
	s_mov_b64 s[4:5], s[40:41]
	s_and_saveexec_b64 s[46:47], s[48:49]
	s_cbranch_execz .LBB94_5391
; %bb.5388:
	v_bfe_u32 v5, v4, 23, 8
	s_movk_i32 s4, 0xff
	v_cmp_ne_u32_e64 s[4:5], s4, v5
	v_mov_b32_e32 v97, 0xff
	s_and_saveexec_b64 s[48:49], s[4:5]
; %bb.5389:
	s_mov_b32 s6, 0x3fffff
	v_lshrrev_b32_e32 v97, 23, v4
	v_and_b32_e32 v98, 0x400000, v4
	v_and_or_b32 v4, v4, s6, v5
	v_cmp_ne_u32_e64 s[4:5], 0, v98
	v_cmp_ne_u32_e64 s[6:7], 0, v4
	s_and_b64 s[4:5], s[4:5], s[6:7]
	v_cndmask_b32_e64 v4, 0, 1, s[4:5]
	v_add_u32_e32 v97, v97, v4
; %bb.5390:
	s_or_b64 exec, exec, s[48:49]
	s_xor_b64 s[6:7], exec, -1
	s_or_b64 s[4:5], s[40:41], exec
	flat_store_byte v[2:3], v97
.LBB94_5391:
	s_or_b64 exec, exec, s[46:47]
	s_andn2_b64 s[42:43], s[42:43], exec
	s_and_b64 s[6:7], s[6:7], exec
	s_or_b64 s[42:43], s[42:43], s[6:7]
	s_andn2_b64 s[6:7], s[40:41], exec
	s_and_b64 s[4:5], s[4:5], exec
	s_or_b64 s[40:41], s[6:7], s[4:5]
.LBB94_5392:
	s_or_b64 exec, exec, s[44:45]
	s_andn2_b64 s[4:5], s[24:25], exec
	s_and_b64 s[6:7], s[42:43], exec
	s_or_b64 s[6:7], s[4:5], s[6:7]
	s_and_b64 s[4:5], s[40:41], exec
                                        ; implicit-def: $vgpr4
                                        ; implicit-def: $vgpr2_vgpr3
.LBB94_5393:
	s_andn2_saveexec_b64 s[38:39], s[38:39]
	s_cbranch_execz .LBB94_5397
; %bb.5394:
	v_mov_b32_e32 v5, 29
	v_cmp_eq_u16_sdwa s[46:47], v11, v5 src0_sel:BYTE_0 src1_sel:DWORD
	s_mov_b64 s[44:45], -1
	s_mov_b64 s[42:43], s[4:5]
	s_and_saveexec_b64 s[40:41], s[46:47]
	s_cbranch_execz .LBB94_5396
; %bb.5395:
	v_trunc_f32_e32 v4, v4
	v_mul_f32_e32 v5, 0x2f800000, v4
	v_floor_f32_e32 v97, v5
	v_fmac_f32_e32 v4, 0xcf800000, v97
	v_cvt_u32_f32_e32 v5, v97
	v_cvt_u32_f32_e32 v4, v4
	s_xor_b64 s[44:45], exec, -1
	s_or_b64 s[42:43], s[4:5], exec
	flat_store_dwordx2 v[2:3], v[4:5]
.LBB94_5396:
	s_or_b64 exec, exec, s[40:41]
	s_andn2_b64 s[6:7], s[6:7], exec
	s_and_b64 s[40:41], s[44:45], exec
	s_or_b64 s[6:7], s[6:7], s[40:41]
	s_andn2_b64 s[4:5], s[4:5], exec
	s_and_b64 s[40:41], s[42:43], exec
	s_or_b64 s[4:5], s[4:5], s[40:41]
.LBB94_5397:
	s_or_b64 exec, exec, s[38:39]
	s_andn2_b64 s[38:39], s[24:25], exec
	s_and_b64 s[6:7], s[6:7], exec
	s_or_b64 s[38:39], s[38:39], s[6:7]
	s_and_b64 s[6:7], s[4:5], exec
                                        ; implicit-def: $vgpr2_vgpr3
                                        ; implicit-def: $vgpr97
                                        ; implicit-def: $vgpr4
.LBB94_5398:
	s_andn2_saveexec_b64 s[34:35], s[34:35]
	s_cbranch_execz .LBB94_5414
; %bb.5399:
	v_mov_b32_e32 v5, 26
	v_cmp_gt_i16_sdwa s[4:5], v11, v5 src0_sel:BYTE_0 src1_sel:DWORD
	s_and_saveexec_b64 s[40:41], s[4:5]
	s_xor_b64 s[4:5], exec, s[40:41]
	s_cbranch_execz .LBB94_5405
; %bb.5400:
	v_cvt_u32_f32_e32 v4, v4
	v_mov_b32_e32 v5, 27
	v_cmp_gt_i16_sdwa s[40:41], v11, v5 src0_sel:BYTE_0 src1_sel:DWORD
	s_and_saveexec_b64 s[42:43], s[40:41]
	s_xor_b64 s[40:41], exec, s[42:43]
	s_cbranch_execz .LBB94_5402
; %bb.5401:
	flat_store_dword v[2:3], v4
                                        ; implicit-def: $vgpr2_vgpr3
                                        ; implicit-def: $vgpr4
.LBB94_5402:
	s_andn2_saveexec_b64 s[40:41], s[40:41]
	s_cbranch_execz .LBB94_5404
; %bb.5403:
	flat_store_short v[2:3], v4
.LBB94_5404:
	s_or_b64 exec, exec, s[40:41]
                                        ; implicit-def: $vgpr2_vgpr3
                                        ; implicit-def: $vgpr97
                                        ; implicit-def: $vgpr4
.LBB94_5405:
	s_andn2_saveexec_b64 s[40:41], s[4:5]
	s_cbranch_execz .LBB94_5413
; %bb.5406:
	v_cndmask_b32_e64 v97, |v0|, |v97|, vcc
	s_mov_b32 s4, 0x43800000
	v_cmp_gt_u32_e64 s[4:5], s4, v97
	v_mov_b32_e32 v98, 0x80
	s_and_saveexec_b64 s[42:43], s[4:5]
	s_cbranch_execz .LBB94_5412
; %bb.5407:
	s_mov_b32 s4, 0x3bffffff
	v_cmp_lt_u32_e64 s[4:5], s4, v97
	s_mov_b64 s[44:45], 0
                                        ; implicit-def: $vgpr5
	s_and_saveexec_b64 s[46:47], s[4:5]
	s_xor_b64 s[4:5], exec, s[46:47]
	s_cbranch_execnz .LBB94_6127
; %bb.5408:
	s_or_saveexec_b64 s[46:47], s[4:5]
                                        ; implicit-def: $sgpr48
	s_xor_b64 exec, exec, s[46:47]
	s_cbranch_execnz .LBB94_6128
.LBB94_5409:
	s_or_b64 exec, exec, s[46:47]
	v_mov_b32_e32 v98, s48
	s_and_saveexec_b64 s[4:5], s[44:45]
.LBB94_5410:
	v_lshrrev_b32_e32 v4, 24, v4
	s_movk_i32 s44, 0x80
	v_and_or_b32 v98, v4, s44, v5
.LBB94_5411:
	s_or_b64 exec, exec, s[4:5]
.LBB94_5412:
	s_or_b64 exec, exec, s[42:43]
	flat_store_byte v[2:3], v98
.LBB94_5413:
	s_or_b64 exec, exec, s[40:41]
	s_or_b64 s[6:7], s[6:7], exec
.LBB94_5414:
	s_or_b64 exec, exec, s[34:35]
	s_andn2_b64 s[4:5], s[24:25], exec
	s_and_b64 s[34:35], s[38:39], exec
	s_or_b64 s[34:35], s[4:5], s[34:35]
	s_and_b64 s[6:7], s[6:7], exec
                                        ; implicit-def: $vgpr4
                                        ; implicit-def: $vgpr2_vgpr3
                                        ; implicit-def: $vgpr97
.LBB94_5415:
	s_andn2_saveexec_b64 s[36:37], s[36:37]
	s_cbranch_execz .LBB94_5459
; %bb.5416:
	v_mov_b32_e32 v5, 22
	v_cmp_gt_i16_sdwa s[38:39], v11, v5 src0_sel:BYTE_0 src1_sel:DWORD
	s_mov_b64 s[4:5], s[6:7]
	s_and_saveexec_b64 s[40:41], s[38:39]
	s_xor_b64 s[38:39], exec, s[40:41]
	s_cbranch_execz .LBB94_5448
; %bb.5417:
	v_mov_b32_e32 v5, 23
	v_cmp_gt_i16_sdwa s[4:5], v11, v5 src0_sel:BYTE_0 src1_sel:DWORD
	s_and_saveexec_b64 s[40:41], s[4:5]
	s_xor_b64 s[40:41], exec, s[40:41]
	s_cbranch_execz .LBB94_5437
; %bb.5418:
	v_mov_b32_e32 v5, 24
	v_cmp_gt_i16_sdwa s[4:5], v11, v5 src0_sel:BYTE_0 src1_sel:DWORD
	s_and_saveexec_b64 s[42:43], s[4:5]
	s_xor_b64 s[42:43], exec, s[42:43]
	s_cbranch_execz .LBB94_5426
; %bb.5419:
	v_cndmask_b32_e64 v97, |v0|, |v97|, vcc
	s_mov_b32 s4, 0x47800000
	v_cmp_gt_u32_e64 s[4:5], s4, v97
	v_mov_b32_e32 v98, 0x80
	s_and_saveexec_b64 s[44:45], s[4:5]
	s_cbranch_execz .LBB94_5425
; %bb.5420:
	s_mov_b32 s4, 0x37ffffff
	v_cmp_lt_u32_e64 s[4:5], s4, v97
	s_mov_b64 s[46:47], 0
                                        ; implicit-def: $vgpr5
	s_and_saveexec_b64 s[48:49], s[4:5]
	s_xor_b64 s[4:5], exec, s[48:49]
	s_cbranch_execnz .LBB94_6251
; %bb.5421:
	s_or_saveexec_b64 s[48:49], s[4:5]
                                        ; implicit-def: $sgpr50
	s_xor_b64 exec, exec, s[48:49]
	s_cbranch_execnz .LBB94_6252
.LBB94_5422:
	s_or_b64 exec, exec, s[48:49]
	v_mov_b32_e32 v98, s50
	s_and_saveexec_b64 s[4:5], s[46:47]
.LBB94_5423:
	v_lshrrev_b32_e32 v4, 24, v4
	s_movk_i32 s46, 0x80
	v_and_or_b32 v98, v4, s46, v5
.LBB94_5424:
	s_or_b64 exec, exec, s[4:5]
.LBB94_5425:
	s_or_b64 exec, exec, s[44:45]
	flat_store_byte v[2:3], v98
                                        ; implicit-def: $vgpr4
                                        ; implicit-def: $vgpr2_vgpr3
                                        ; implicit-def: $vgpr97
.LBB94_5426:
	s_andn2_saveexec_b64 s[42:43], s[42:43]
	s_cbranch_execz .LBB94_5436
; %bb.5427:
	v_cndmask_b32_e64 v97, |v0|, |v97|, vcc
	s_mov_b32 s4, 0x43f00000
	v_cmp_gt_u32_e64 s[4:5], s4, v97
                                        ; implicit-def: $vgpr5
	s_and_saveexec_b64 s[44:45], s[4:5]
	s_xor_b64 s[44:45], exec, s[44:45]
	s_cbranch_execz .LBB94_5433
; %bb.5428:
	s_mov_b32 s4, 0x3c7fffff
	v_cmp_lt_u32_e64 s[4:5], s4, v97
                                        ; implicit-def: $vgpr5
	s_and_saveexec_b64 s[46:47], s[4:5]
	s_xor_b64 s[46:47], exec, s[46:47]
; %bb.5429:
	v_bfe_u32 v5, v4, 20, 1
	s_mov_b32 s4, 0x407ffff
	v_add3_u32 v5, v4, v5, s4
	v_lshrrev_b32_e32 v97, 20, v5
	v_and_b32_e32 v5, 0xff00000, v5
	s_mov_b32 s4, 0x7f00000
	v_mov_b32_e32 v98, 0x7e
	v_cmp_ne_u32_e64 s[4:5], s4, v5
	v_cndmask_b32_e64 v5, v98, v97, s[4:5]
                                        ; implicit-def: $vgpr97
; %bb.5430:
	s_andn2_saveexec_b64 s[4:5], s[46:47]
; %bb.5431:
	v_add_f32_e32 v5, 0x46800000, v97
; %bb.5432:
	s_or_b64 exec, exec, s[4:5]
                                        ; implicit-def: $vgpr97
.LBB94_5433:
	s_andn2_saveexec_b64 s[44:45], s[44:45]
; %bb.5434:
	s_mov_b32 s4, 0x7f800000
	v_mov_b32_e32 v5, 0x7e
	v_mov_b32_e32 v98, 0x7f
	v_cmp_lt_u32_e64 s[4:5], s4, v97
	v_cndmask_b32_e64 v5, v5, v98, s[4:5]
; %bb.5435:
	s_or_b64 exec, exec, s[44:45]
	v_lshrrev_b32_e32 v4, 24, v4
	s_movk_i32 s4, 0x80
	v_and_or_b32 v4, v4, s4, v5
	flat_store_byte v[2:3], v4
.LBB94_5436:
	s_or_b64 exec, exec, s[42:43]
                                        ; implicit-def: $vgpr4
                                        ; implicit-def: $vgpr2_vgpr3
                                        ; implicit-def: $vgpr97
.LBB94_5437:
	s_andn2_saveexec_b64 s[4:5], s[40:41]
	s_cbranch_execz .LBB94_5447
; %bb.5438:
	v_cndmask_b32_e64 v97, |v0|, |v97|, vcc
	s_mov_b32 vcc_lo, 0x47800000
	v_cmp_gt_u32_e32 vcc, vcc_lo, v97
                                        ; implicit-def: $vgpr5
	s_and_saveexec_b64 s[40:41], vcc
	s_xor_b64 s[40:41], exec, s[40:41]
	s_cbranch_execz .LBB94_5444
; %bb.5439:
	s_mov_b32 vcc_lo, 0x387fffff
	v_cmp_lt_u32_e32 vcc, vcc_lo, v97
                                        ; implicit-def: $vgpr5
	s_and_saveexec_b64 s[42:43], vcc
	s_xor_b64 vcc, exec, s[42:43]
; %bb.5440:
	v_bfe_u32 v5, v4, 21, 1
	s_mov_b32 s42, 0x80fffff
	v_add3_u32 v5, v4, v5, s42
	v_lshrrev_b32_e32 v5, 21, v5
                                        ; implicit-def: $vgpr97
; %bb.5441:
	s_andn2_saveexec_b64 vcc, vcc
; %bb.5442:
	v_add_f32_e32 v5, 0x43000000, v97
; %bb.5443:
	s_or_b64 exec, exec, vcc
                                        ; implicit-def: $vgpr97
.LBB94_5444:
	s_andn2_saveexec_b64 s[40:41], s[40:41]
; %bb.5445:
	s_mov_b32 vcc_lo, 0x7f800000
	v_mov_b32_e32 v5, 0x7c
	v_mov_b32_e32 v98, 0x7f
	v_cmp_lt_u32_e32 vcc, vcc_lo, v97
	v_cndmask_b32_e32 v5, v5, v98, vcc
; %bb.5446:
	s_or_b64 exec, exec, s[40:41]
	v_lshrrev_b32_e32 v4, 24, v4
	s_movk_i32 vcc_lo, 0x80
	v_and_or_b32 v4, v4, vcc_lo, v5
	flat_store_byte v[2:3], v4
.LBB94_5447:
	s_or_b64 exec, exec, s[4:5]
	s_or_b64 s[4:5], s[6:7], exec
                                        ; implicit-def: $vgpr4
                                        ; implicit-def: $vgpr2_vgpr3
.LBB94_5448:
	s_or_saveexec_b64 s[38:39], s[38:39]
	s_mov_b64 vcc, s[34:35]
	s_xor_b64 exec, exec, s[38:39]
	s_cbranch_execz .LBB94_5458
; %bb.5449:
	v_mov_b32_e32 v5, 14
	v_cmp_gt_i16_sdwa vcc, v11, v5 src0_sel:BYTE_0 src1_sel:DWORD
	s_mov_b64 s[40:41], s[4:5]
	s_mov_b64 s[42:43], s[34:35]
	s_and_saveexec_b64 s[44:45], vcc
	s_xor_b64 s[44:45], exec, s[44:45]
	s_cbranch_execz .LBB94_5453
; %bb.5450:
	v_mov_b32_e32 v5, 15
	v_cmp_eq_u16_sdwa s[46:47], v11, v5 src0_sel:BYTE_0 src1_sel:DWORD
	s_mov_b64 s[42:43], -1
	s_mov_b64 vcc, s[4:5]
	s_and_saveexec_b64 s[40:41], s[46:47]
	s_cbranch_execz .LBB94_5452
; %bb.5451:
	v_bfe_u32 v5, v4, 16, 1
	s_movk_i32 vcc_lo, 0x7fff
	v_add3_u32 v5, v4, v5, vcc_lo
	v_lshrrev_b32_e32 v5, 16, v5
	v_mov_b32_e32 v97, 0x7fc0
	v_cmp_o_f32_e32 vcc, v4, v4
	v_cndmask_b32_e32 v4, v97, v5, vcc
	flat_store_short v[2:3], v4
	s_xor_b64 s[42:43], exec, -1
	s_or_b64 vcc, s[4:5], exec
.LBB94_5452:
	s_or_b64 exec, exec, s[40:41]
	s_andn2_b64 s[40:41], s[34:35], exec
	s_and_b64 s[42:43], s[42:43], exec
	s_or_b64 s[42:43], s[40:41], s[42:43]
	s_andn2_b64 s[40:41], s[4:5], exec
	s_and_b64 vcc, vcc, exec
	s_or_b64 s[40:41], s[40:41], vcc
                                        ; implicit-def: $vgpr4
                                        ; implicit-def: $vgpr2_vgpr3
.LBB94_5453:
	s_andn2_saveexec_b64 s[44:45], s[44:45]
	s_cbranch_execz .LBB94_5457
; %bb.5454:
	v_mov_b32_e32 v5, 11
	v_cmp_eq_u16_sdwa s[50:51], v11, v5 src0_sel:BYTE_0 src1_sel:DWORD
	s_mov_b64 s[46:47], -1
	s_mov_b64 vcc, s[40:41]
	s_and_saveexec_b64 s[48:49], s[50:51]
	s_cbranch_execz .LBB94_5456
; %bb.5455:
	v_cmp_neq_f32_e32 vcc, 0, v4
	v_cndmask_b32_e64 v4, 0, 1, vcc
	flat_store_byte v[2:3], v4
	s_xor_b64 s[46:47], exec, -1
	s_or_b64 vcc, s[40:41], exec
.LBB94_5456:
	s_or_b64 exec, exec, s[48:49]
	s_andn2_b64 s[42:43], s[42:43], exec
	s_and_b64 s[46:47], s[46:47], exec
	s_andn2_b64 s[40:41], s[40:41], exec
	s_and_b64 vcc, vcc, exec
	s_or_b64 s[42:43], s[42:43], s[46:47]
	s_or_b64 s[40:41], s[40:41], vcc
.LBB94_5457:
	s_or_b64 exec, exec, s[44:45]
	s_andn2_b64 vcc, s[34:35], exec
	s_and_b64 s[42:43], s[42:43], exec
	s_andn2_b64 s[4:5], s[4:5], exec
	s_and_b64 s[40:41], s[40:41], exec
	s_or_b64 vcc, vcc, s[42:43]
	s_or_b64 s[4:5], s[4:5], s[40:41]
.LBB94_5458:
	s_or_b64 exec, exec, s[38:39]
	s_andn2_b64 s[34:35], s[34:35], exec
	s_and_b64 vcc, vcc, exec
	s_andn2_b64 s[6:7], s[6:7], exec
	s_and_b64 s[4:5], s[4:5], exec
	s_or_b64 s[34:35], s[34:35], vcc
	s_or_b64 s[6:7], s[6:7], s[4:5]
.LBB94_5459:
	s_or_b64 exec, exec, s[36:37]
	s_andn2_b64 s[4:5], s[24:25], exec
	s_and_b64 vcc, s[34:35], exec
	s_or_b64 s[4:5], s[4:5], vcc
	s_and_b64 s[6:7], s[6:7], exec
                                        ; implicit-def: $vgpr4
                                        ; implicit-def: $vgpr2_vgpr3
	s_andn2_saveexec_b64 s[28:29], s[28:29]
	s_cbranch_execz .LBB94_3807
.LBB94_5460:
	v_mov_b32_e32 v5, 4
	v_cmp_gt_i16_sdwa vcc, v11, v5 src0_sel:BYTE_0 src1_sel:DWORD
	s_and_saveexec_b64 s[34:35], vcc
	s_xor_b64 vcc, exec, s[34:35]
	s_cbranch_execz .LBB94_5482
; %bb.5461:
	v_mov_b32_e32 v5, 7
	v_cmp_gt_i16_sdwa s[34:35], v11, v5 src0_sel:BYTE_0 src1_sel:DWORD
	s_and_saveexec_b64 s[36:37], s[34:35]
	s_xor_b64 s[34:35], exec, s[36:37]
	s_cbranch_execz .LBB94_5471
; %bb.5462:
	v_mov_b32_e32 v5, 8
	v_cmp_gt_i16_sdwa s[36:37], v11, v5 src0_sel:BYTE_0 src1_sel:DWORD
	s_and_saveexec_b64 s[38:39], s[36:37]
	s_xor_b64 s[36:37], exec, s[38:39]
	;; [unrolled: 6-line block ×3, first 2 shown]
	s_cbranch_execz .LBB94_5465
; %bb.5464:
	v_mov_b32_e32 v100, 0
	v_cvt_f64_f32_e32 v[98:99], v4
	v_mov_b32_e32 v101, v100
	flat_store_dwordx4 v[2:3], v[98:101]
                                        ; implicit-def: $vgpr4
                                        ; implicit-def: $vgpr2_vgpr3
.LBB94_5465:
	s_andn2_saveexec_b64 s[38:39], s[38:39]
	s_cbranch_execz .LBB94_5467
; %bb.5466:
	v_mov_b32_e32 v5, 0
	flat_store_dwordx2 v[2:3], v[4:5]
.LBB94_5467:
	s_or_b64 exec, exec, s[38:39]
                                        ; implicit-def: $vgpr4
                                        ; implicit-def: $vgpr2_vgpr3
.LBB94_5468:
	s_andn2_saveexec_b64 s[36:37], s[36:37]
	s_cbranch_execz .LBB94_5470
; %bb.5469:
	v_cvt_f16_f32_e32 v4, v4
	flat_store_dword v[2:3], v4
.LBB94_5470:
	s_or_b64 exec, exec, s[36:37]
                                        ; implicit-def: $vgpr4
                                        ; implicit-def: $vgpr2_vgpr3
.LBB94_5471:
	s_andn2_saveexec_b64 s[34:35], s[34:35]
	s_cbranch_execz .LBB94_5481
; %bb.5472:
	v_mov_b32_e32 v5, 5
	v_cmp_gt_i16_sdwa s[36:37], v11, v5 src0_sel:BYTE_0 src1_sel:DWORD
	s_and_saveexec_b64 s[38:39], s[36:37]
	s_xor_b64 s[36:37], exec, s[38:39]
	s_cbranch_execz .LBB94_5478
; %bb.5473:
	v_mov_b32_e32 v5, 6
	v_cmp_gt_i16_sdwa s[38:39], v11, v5 src0_sel:BYTE_0 src1_sel:DWORD
	s_and_saveexec_b64 s[40:41], s[38:39]
	s_xor_b64 s[38:39], exec, s[40:41]
	s_cbranch_execz .LBB94_5475
; %bb.5474:
	v_cvt_f64_f32_e32 v[4:5], v4
	flat_store_dwordx2 v[2:3], v[4:5]
                                        ; implicit-def: $vgpr2_vgpr3
                                        ; implicit-def: $vgpr4
.LBB94_5475:
	s_andn2_saveexec_b64 s[38:39], s[38:39]
	s_cbranch_execz .LBB94_5477
; %bb.5476:
	flat_store_dword v[2:3], v4
.LBB94_5477:
	s_or_b64 exec, exec, s[38:39]
                                        ; implicit-def: $vgpr4
                                        ; implicit-def: $vgpr2_vgpr3
.LBB94_5478:
	s_andn2_saveexec_b64 s[36:37], s[36:37]
	s_cbranch_execz .LBB94_5480
; %bb.5479:
	v_cvt_f16_f32_e32 v4, v4
	flat_store_short v[2:3], v4
.LBB94_5480:
	s_or_b64 exec, exec, s[36:37]
.LBB94_5481:
	s_or_b64 exec, exec, s[34:35]
                                        ; implicit-def: $vgpr4
                                        ; implicit-def: $vgpr2_vgpr3
.LBB94_5482:
	s_andn2_saveexec_b64 s[34:35], vcc
	s_cbranch_execz .LBB94_5500
; %bb.5483:
	v_mov_b32_e32 v5, 1
	v_cmp_gt_i16_sdwa vcc, v11, v5 src0_sel:BYTE_0 src1_sel:DWORD
	s_and_saveexec_b64 s[36:37], vcc
	s_xor_b64 s[36:37], exec, s[36:37]
	s_cbranch_execz .LBB94_5493
; %bb.5484:
	v_mov_b32_e32 v5, 2
	v_cmp_gt_i16_sdwa vcc, v11, v5 src0_sel:BYTE_0 src1_sel:DWORD
	s_and_saveexec_b64 s[38:39], vcc
	s_xor_b64 s[38:39], exec, s[38:39]
	;; [unrolled: 6-line block ×3, first 2 shown]
	s_cbranch_execz .LBB94_5487
; %bb.5486:
	v_trunc_f32_e32 v4, v4
	s_mov_b32 s42, 0x2f800000
	v_mul_f32_e64 v5, |v4|, s42
	v_floor_f32_e32 v5, v5
	s_mov_b32 s42, 0xcf800000
	v_cvt_u32_f32_e32 v97, v5
	v_fma_f32 v5, v5, s42, |v4|
	v_cvt_u32_f32_e32 v5, v5
	v_ashrrev_i32_e32 v98, 31, v4
	v_xor_b32_e32 v97, v97, v98
	v_xor_b32_e32 v4, v5, v98
	v_sub_co_u32_e32 v4, vcc, v4, v98
	v_subb_co_u32_e32 v5, vcc, v97, v98, vcc
	flat_store_dwordx2 v[2:3], v[4:5]
                                        ; implicit-def: $vgpr4
                                        ; implicit-def: $vgpr2_vgpr3
.LBB94_5487:
	s_andn2_saveexec_b64 vcc, s[40:41]
	s_cbranch_execz .LBB94_5489
; %bb.5488:
	v_cvt_i32_f32_e32 v4, v4
	flat_store_dword v[2:3], v4
.LBB94_5489:
	s_or_b64 exec, exec, vcc
                                        ; implicit-def: $vgpr4
                                        ; implicit-def: $vgpr2_vgpr3
.LBB94_5490:
	s_andn2_saveexec_b64 vcc, s[38:39]
	s_cbranch_execz .LBB94_5492
; %bb.5491:
	v_cvt_i32_f32_e32 v4, v4
	flat_store_short v[2:3], v4
.LBB94_5492:
	s_or_b64 exec, exec, vcc
                                        ; implicit-def: $vgpr4
                                        ; implicit-def: $vgpr2_vgpr3
.LBB94_5493:
	s_andn2_saveexec_b64 vcc, s[36:37]
	s_cbranch_execz .LBB94_5499
; %bb.5494:
	v_mov_b32_e32 v5, 0
	v_cmp_gt_i16_sdwa s[36:37], v11, v5 src0_sel:BYTE_0 src1_sel:DWORD
	s_and_saveexec_b64 s[38:39], s[36:37]
	s_xor_b64 s[36:37], exec, s[38:39]
	s_cbranch_execz .LBB94_5496
; %bb.5495:
	v_cvt_i32_f32_e32 v4, v4
	flat_store_byte v[2:3], v4
                                        ; implicit-def: $vgpr4
                                        ; implicit-def: $vgpr2_vgpr3
.LBB94_5496:
	s_andn2_saveexec_b64 s[36:37], s[36:37]
	s_cbranch_execz .LBB94_5498
; %bb.5497:
	v_trunc_f32_e32 v4, v4
	s_mov_b32 s38, 0x2f800000
	v_mul_f32_e64 v5, |v4|, s38
	v_floor_f32_e32 v5, v5
	s_mov_b32 s38, 0xcf800000
	v_fma_f32 v5, v5, s38, |v4|
	v_cvt_u32_f32_e32 v5, v5
	v_ashrrev_i32_e32 v4, 31, v4
	v_xor_b32_e32 v5, v5, v4
	v_sub_u32_e32 v4, v5, v4
	flat_store_byte v[2:3], v4
.LBB94_5498:
	s_or_b64 exec, exec, s[36:37]
.LBB94_5499:
	s_or_b64 exec, exec, vcc
.LBB94_5500:
	s_or_b64 exec, exec, s[34:35]
	s_or_b64 s[6:7], s[6:7], exec
	s_or_b64 exec, exec, s[28:29]
	s_mov_b64 vcc, 0
	s_and_saveexec_b64 s[28:29], s[6:7]
	s_cbranch_execnz .LBB94_3808
	s_branch .LBB94_3809
.LBB94_5501:
	v_bfe_u32 v5, v4, 20, 1
	s_mov_b32 vcc_lo, 0x487ffff
	v_add3_u32 v5, v4, v5, vcc_lo
	s_mov_b64 s[26:27], exec
	v_lshrrev_b32_e32 v14, 20, v5
                                        ; implicit-def: $vgpr5
	s_or_saveexec_b64 s[28:29], s[28:29]
                                        ; implicit-def: $sgpr30
	s_xor_b64 exec, exec, s[28:29]
	s_cbranch_execz .LBB94_3688
.LBB94_5502:
	s_mov_b32 s30, 0x46000000
	v_add_f32_e64 v5, |v5|, s30
	v_and_b32_e32 v14, 0xff, v5
	v_cmp_ne_u32_e32 vcc, 0, v14
	s_andn2_b64 s[26:27], s[26:27], exec
	s_and_b64 vcc, vcc, exec
	s_mov_b32 s30, 0
	s_or_b64 s[26:27], s[26:27], vcc
	s_or_b64 exec, exec, s[28:29]
	v_mov_b32_e32 v103, s30
	s_and_saveexec_b64 s[28:29], s[26:27]
	s_cbranch_execnz .LBB94_3689
	s_branch .LBB94_3690
.LBB94_5503:
	v_mov_b32_e32 v5, 25
	v_cmp_gt_i16_sdwa s[4:5], v11, v5 src0_sel:BYTE_0 src1_sel:DWORD
	s_mov_b64 s[36:37], s[28:29]
	s_and_saveexec_b64 s[38:39], s[4:5]
	s_xor_b64 s[38:39], exec, s[38:39]
	s_cbranch_execz .LBB94_5539
; %bb.5504:
	v_mov_b32_e32 v5, 28
	v_cmp_gt_i16_sdwa s[4:5], v11, v5 src0_sel:BYTE_0 src1_sel:DWORD
	s_mov_b64 s[40:41], s[28:29]
	s_and_saveexec_b64 s[36:37], s[4:5]
	s_xor_b64 s[36:37], exec, s[36:37]
	s_cbranch_execz .LBB94_5522
; %bb.5505:
	v_mov_b32_e32 v5, 43
	v_cmp_gt_i16_sdwa s[40:41], v11, v5 src0_sel:BYTE_0 src1_sel:DWORD
	s_mov_b64 s[4:5], 0
	s_mov_b64 s[6:7], s[28:29]
	s_and_saveexec_b64 s[44:45], s[40:41]
	s_xor_b64 s[40:41], exec, s[44:45]
	s_cbranch_execz .LBB94_5517
; %bb.5506:
	v_mov_b32_e32 v5, 45
	v_cmp_gt_i16_sdwa s[4:5], v11, v5 src0_sel:BYTE_0 src1_sel:DWORD
	s_mov_b64 s[44:45], 0
	s_mov_b64 s[46:47], s[28:29]
	s_and_saveexec_b64 s[6:7], s[4:5]
	s_xor_b64 s[6:7], exec, s[6:7]
	s_cbranch_execz .LBB94_5510
; %bb.5507:
	v_mov_b32_e32 v5, 46
	v_cmp_eq_u16_sdwa s[48:49], v11, v5 src0_sel:BYTE_0 src1_sel:DWORD
	s_mov_b64 s[4:5], -1
	s_and_saveexec_b64 s[46:47], s[48:49]
	s_cbranch_execz .LBB94_5509
; %bb.5508:
	v_bfe_u32 v5, v4, 16, 1
	s_movk_i32 s4, 0x7fff
	v_add3_u32 v5, v4, v5, s4
	v_lshrrev_b32_e32 v5, 16, v5
	v_mov_b32_e32 v87, 0x7fc0
	v_cmp_o_f32_e64 s[4:5], v4, v4
	v_cndmask_b32_e64 v4, v87, v5, s[4:5]
	s_mov_b64 s[44:45], exec
	flat_store_dword v[2:3], v4
	s_xor_b64 s[4:5], exec, -1
.LBB94_5509:
	s_or_b64 exec, exec, s[46:47]
	s_andn2_b64 s[46:47], s[28:29], exec
	s_and_b64 s[4:5], s[4:5], exec
	s_or_b64 s[46:47], s[46:47], s[4:5]
	s_and_b64 s[44:45], s[44:45], exec
                                        ; implicit-def: $vgpr2_vgpr3
                                        ; implicit-def: $vgpr4
.LBB94_5510:
	s_andn2_saveexec_b64 s[48:49], s[6:7]
	s_cbranch_execz .LBB94_5516
; %bb.5511:
	v_mov_b32_e32 v5, 44
	v_cmp_eq_u16_sdwa s[52:53], v11, v5 src0_sel:BYTE_0 src1_sel:DWORD
	s_mov_b64 s[6:7], -1
	s_mov_b64 s[4:5], s[44:45]
	s_and_saveexec_b64 s[50:51], s[52:53]
	s_cbranch_execz .LBB94_5515
; %bb.5512:
	v_bfe_u32 v5, v4, 23, 8
	s_movk_i32 s4, 0xff
	v_cmp_ne_u32_e64 s[4:5], s4, v5
	v_mov_b32_e32 v87, 0xff
	s_and_saveexec_b64 s[52:53], s[4:5]
; %bb.5513:
	s_mov_b32 s6, 0x3fffff
	v_lshrrev_b32_e32 v87, 23, v4
	v_and_b32_e32 v96, 0x400000, v4
	v_and_or_b32 v4, v4, s6, v5
	v_cmp_ne_u32_e64 s[4:5], 0, v96
	v_cmp_ne_u32_e64 s[6:7], 0, v4
	s_and_b64 s[4:5], s[4:5], s[6:7]
	v_cndmask_b32_e64 v4, 0, 1, s[4:5]
	v_add_u32_e32 v87, v87, v4
; %bb.5514:
	s_or_b64 exec, exec, s[52:53]
	s_xor_b64 s[6:7], exec, -1
	s_or_b64 s[4:5], s[44:45], exec
	flat_store_byte v[2:3], v87
.LBB94_5515:
	s_or_b64 exec, exec, s[50:51]
	s_andn2_b64 s[46:47], s[46:47], exec
	s_and_b64 s[6:7], s[6:7], exec
	s_or_b64 s[46:47], s[46:47], s[6:7]
	s_andn2_b64 s[6:7], s[44:45], exec
	s_and_b64 s[4:5], s[4:5], exec
	s_or_b64 s[44:45], s[6:7], s[4:5]
.LBB94_5516:
	s_or_b64 exec, exec, s[48:49]
	s_andn2_b64 s[4:5], s[28:29], exec
	s_and_b64 s[6:7], s[46:47], exec
	s_or_b64 s[6:7], s[4:5], s[6:7]
	s_and_b64 s[4:5], s[44:45], exec
                                        ; implicit-def: $vgpr4
                                        ; implicit-def: $vgpr2_vgpr3
.LBB94_5517:
	s_andn2_saveexec_b64 s[40:41], s[40:41]
	s_cbranch_execz .LBB94_5521
; %bb.5518:
	v_mov_b32_e32 v5, 29
	v_cmp_eq_u16_sdwa s[50:51], v11, v5 src0_sel:BYTE_0 src1_sel:DWORD
	s_mov_b64 s[48:49], -1
	s_mov_b64 s[46:47], s[4:5]
	s_and_saveexec_b64 s[44:45], s[50:51]
	s_cbranch_execz .LBB94_5520
; %bb.5519:
	v_trunc_f32_e32 v4, v4
	v_mul_f32_e32 v5, 0x2f800000, v4
	v_floor_f32_e32 v87, v5
	v_fmac_f32_e32 v4, 0xcf800000, v87
	v_cvt_u32_f32_e32 v5, v87
	v_cvt_u32_f32_e32 v4, v4
	s_xor_b64 s[48:49], exec, -1
	s_or_b64 s[46:47], s[4:5], exec
	flat_store_dwordx2 v[2:3], v[4:5]
.LBB94_5520:
	s_or_b64 exec, exec, s[44:45]
	s_andn2_b64 s[6:7], s[6:7], exec
	s_and_b64 s[44:45], s[48:49], exec
	s_or_b64 s[6:7], s[6:7], s[44:45]
	s_andn2_b64 s[4:5], s[4:5], exec
	s_and_b64 s[44:45], s[46:47], exec
	s_or_b64 s[4:5], s[4:5], s[44:45]
.LBB94_5521:
	s_or_b64 exec, exec, s[40:41]
	s_andn2_b64 s[40:41], s[28:29], exec
	s_and_b64 s[6:7], s[6:7], exec
	s_or_b64 s[40:41], s[40:41], s[6:7]
	s_and_b64 s[6:7], s[4:5], exec
                                        ; implicit-def: $vgpr2_vgpr3
                                        ; implicit-def: $vgpr87
                                        ; implicit-def: $vgpr4
.LBB94_5522:
	s_andn2_saveexec_b64 s[36:37], s[36:37]
	s_cbranch_execz .LBB94_5538
; %bb.5523:
	v_mov_b32_e32 v5, 26
	v_cmp_gt_i16_sdwa s[4:5], v11, v5 src0_sel:BYTE_0 src1_sel:DWORD
	s_and_saveexec_b64 s[44:45], s[4:5]
	s_xor_b64 s[4:5], exec, s[44:45]
	s_cbranch_execz .LBB94_5529
; %bb.5524:
	v_cvt_u32_f32_e32 v4, v4
	v_mov_b32_e32 v5, 27
	v_cmp_gt_i16_sdwa s[44:45], v11, v5 src0_sel:BYTE_0 src1_sel:DWORD
	s_and_saveexec_b64 s[46:47], s[44:45]
	s_xor_b64 s[44:45], exec, s[46:47]
	s_cbranch_execz .LBB94_5526
; %bb.5525:
	flat_store_dword v[2:3], v4
                                        ; implicit-def: $vgpr2_vgpr3
                                        ; implicit-def: $vgpr4
.LBB94_5526:
	s_andn2_saveexec_b64 s[44:45], s[44:45]
	s_cbranch_execz .LBB94_5528
; %bb.5527:
	flat_store_short v[2:3], v4
.LBB94_5528:
	s_or_b64 exec, exec, s[44:45]
                                        ; implicit-def: $vgpr2_vgpr3
                                        ; implicit-def: $vgpr87
                                        ; implicit-def: $vgpr4
.LBB94_5529:
	s_andn2_saveexec_b64 s[44:45], s[4:5]
	s_cbranch_execz .LBB94_5537
; %bb.5530:
	v_cndmask_b32_e64 v87, |v0|, |v87|, vcc
	s_mov_b32 s4, 0x43800000
	v_cmp_gt_u32_e64 s[4:5], s4, v87
	v_mov_b32_e32 v96, 0x80
	s_and_saveexec_b64 s[46:47], s[4:5]
	s_cbranch_execz .LBB94_5536
; %bb.5531:
	s_mov_b32 s4, 0x3bffffff
	v_cmp_lt_u32_e64 s[4:5], s4, v87
	s_mov_b64 s[48:49], 0
                                        ; implicit-def: $vgpr5
	s_and_saveexec_b64 s[50:51], s[4:5]
	s_xor_b64 s[4:5], exec, s[50:51]
	s_cbranch_execnz .LBB94_6253
; %bb.5532:
	s_or_saveexec_b64 s[50:51], s[4:5]
                                        ; implicit-def: $sgpr52
	s_xor_b64 exec, exec, s[50:51]
	s_cbranch_execnz .LBB94_6254
.LBB94_5533:
	s_or_b64 exec, exec, s[50:51]
	v_mov_b32_e32 v96, s52
	s_and_saveexec_b64 s[4:5], s[48:49]
.LBB94_5534:
	v_lshrrev_b32_e32 v4, 24, v4
	s_movk_i32 s48, 0x80
	v_and_or_b32 v96, v4, s48, v5
.LBB94_5535:
	s_or_b64 exec, exec, s[4:5]
.LBB94_5536:
	s_or_b64 exec, exec, s[46:47]
	flat_store_byte v[2:3], v96
.LBB94_5537:
	s_or_b64 exec, exec, s[44:45]
	s_or_b64 s[6:7], s[6:7], exec
.LBB94_5538:
	s_or_b64 exec, exec, s[36:37]
	s_andn2_b64 s[4:5], s[28:29], exec
	s_and_b64 s[36:37], s[40:41], exec
	s_or_b64 s[36:37], s[4:5], s[36:37]
	s_and_b64 s[6:7], s[6:7], exec
                                        ; implicit-def: $vgpr4
                                        ; implicit-def: $vgpr2_vgpr3
                                        ; implicit-def: $vgpr87
.LBB94_5539:
	s_andn2_saveexec_b64 s[38:39], s[38:39]
	s_cbranch_execz .LBB94_5583
; %bb.5540:
	v_mov_b32_e32 v5, 22
	v_cmp_gt_i16_sdwa s[40:41], v11, v5 src0_sel:BYTE_0 src1_sel:DWORD
	s_mov_b64 s[4:5], s[6:7]
	s_and_saveexec_b64 s[44:45], s[40:41]
	s_xor_b64 s[40:41], exec, s[44:45]
	s_cbranch_execz .LBB94_5572
; %bb.5541:
	v_mov_b32_e32 v5, 23
	v_cmp_gt_i16_sdwa s[4:5], v11, v5 src0_sel:BYTE_0 src1_sel:DWORD
	s_and_saveexec_b64 s[44:45], s[4:5]
	s_xor_b64 s[44:45], exec, s[44:45]
	s_cbranch_execz .LBB94_5561
; %bb.5542:
	v_mov_b32_e32 v5, 24
	v_cmp_gt_i16_sdwa s[4:5], v11, v5 src0_sel:BYTE_0 src1_sel:DWORD
	s_and_saveexec_b64 s[46:47], s[4:5]
	s_xor_b64 s[46:47], exec, s[46:47]
	s_cbranch_execz .LBB94_5550
; %bb.5543:
	v_cndmask_b32_e64 v87, |v0|, |v87|, vcc
	s_mov_b32 s4, 0x47800000
	v_cmp_gt_u32_e64 s[4:5], s4, v87
	v_mov_b32_e32 v96, 0x80
	s_and_saveexec_b64 s[48:49], s[4:5]
	s_cbranch_execz .LBB94_5549
; %bb.5544:
	s_mov_b32 s4, 0x37ffffff
	v_cmp_lt_u32_e64 s[4:5], s4, v87
	s_mov_b64 s[50:51], 0
                                        ; implicit-def: $vgpr5
	s_and_saveexec_b64 s[52:53], s[4:5]
	s_xor_b64 s[4:5], exec, s[52:53]
	s_cbranch_execnz .LBB94_6255
; %bb.5545:
	s_or_saveexec_b64 s[52:53], s[4:5]
                                        ; implicit-def: $sgpr54
	s_xor_b64 exec, exec, s[52:53]
	s_cbranch_execnz .LBB94_6256
.LBB94_5546:
	s_or_b64 exec, exec, s[52:53]
	v_mov_b32_e32 v96, s54
	s_and_saveexec_b64 s[4:5], s[50:51]
.LBB94_5547:
	v_lshrrev_b32_e32 v4, 24, v4
	s_movk_i32 s50, 0x80
	v_and_or_b32 v96, v4, s50, v5
.LBB94_5548:
	s_or_b64 exec, exec, s[4:5]
.LBB94_5549:
	s_or_b64 exec, exec, s[48:49]
	flat_store_byte v[2:3], v96
                                        ; implicit-def: $vgpr4
                                        ; implicit-def: $vgpr2_vgpr3
                                        ; implicit-def: $vgpr87
.LBB94_5550:
	s_andn2_saveexec_b64 s[46:47], s[46:47]
	s_cbranch_execz .LBB94_5560
; %bb.5551:
	v_cndmask_b32_e64 v87, |v0|, |v87|, vcc
	s_mov_b32 s4, 0x43f00000
	v_cmp_gt_u32_e64 s[4:5], s4, v87
                                        ; implicit-def: $vgpr5
	s_and_saveexec_b64 s[48:49], s[4:5]
	s_xor_b64 s[48:49], exec, s[48:49]
	s_cbranch_execz .LBB94_5557
; %bb.5552:
	s_mov_b32 s4, 0x3c7fffff
	v_cmp_lt_u32_e64 s[4:5], s4, v87
                                        ; implicit-def: $vgpr5
	s_and_saveexec_b64 s[50:51], s[4:5]
	s_xor_b64 s[50:51], exec, s[50:51]
; %bb.5553:
	v_bfe_u32 v5, v4, 20, 1
	s_mov_b32 s4, 0x407ffff
	v_add3_u32 v5, v4, v5, s4
	v_lshrrev_b32_e32 v87, 20, v5
	v_and_b32_e32 v5, 0xff00000, v5
	s_mov_b32 s4, 0x7f00000
	v_mov_b32_e32 v96, 0x7e
	v_cmp_ne_u32_e64 s[4:5], s4, v5
	v_cndmask_b32_e64 v5, v96, v87, s[4:5]
                                        ; implicit-def: $vgpr87
; %bb.5554:
	s_andn2_saveexec_b64 s[4:5], s[50:51]
; %bb.5555:
	v_add_f32_e32 v5, 0x46800000, v87
; %bb.5556:
	s_or_b64 exec, exec, s[4:5]
                                        ; implicit-def: $vgpr87
.LBB94_5557:
	s_andn2_saveexec_b64 s[48:49], s[48:49]
; %bb.5558:
	s_mov_b32 s4, 0x7f800000
	v_mov_b32_e32 v5, 0x7e
	v_mov_b32_e32 v96, 0x7f
	v_cmp_lt_u32_e64 s[4:5], s4, v87
	v_cndmask_b32_e64 v5, v5, v96, s[4:5]
; %bb.5559:
	s_or_b64 exec, exec, s[48:49]
	v_lshrrev_b32_e32 v4, 24, v4
	s_movk_i32 s4, 0x80
	v_and_or_b32 v4, v4, s4, v5
	flat_store_byte v[2:3], v4
.LBB94_5560:
	s_or_b64 exec, exec, s[46:47]
                                        ; implicit-def: $vgpr4
                                        ; implicit-def: $vgpr2_vgpr3
                                        ; implicit-def: $vgpr87
.LBB94_5561:
	s_andn2_saveexec_b64 s[4:5], s[44:45]
	s_cbranch_execz .LBB94_5571
; %bb.5562:
	v_cndmask_b32_e64 v87, |v0|, |v87|, vcc
	s_mov_b32 vcc_lo, 0x47800000
	v_cmp_gt_u32_e32 vcc, vcc_lo, v87
                                        ; implicit-def: $vgpr5
	s_and_saveexec_b64 s[44:45], vcc
	s_xor_b64 s[44:45], exec, s[44:45]
	s_cbranch_execz .LBB94_5568
; %bb.5563:
	s_mov_b32 vcc_lo, 0x387fffff
	v_cmp_lt_u32_e32 vcc, vcc_lo, v87
                                        ; implicit-def: $vgpr5
	s_and_saveexec_b64 s[46:47], vcc
	s_xor_b64 vcc, exec, s[46:47]
; %bb.5564:
	v_bfe_u32 v5, v4, 21, 1
	s_mov_b32 s46, 0x80fffff
	v_add3_u32 v5, v4, v5, s46
	v_lshrrev_b32_e32 v5, 21, v5
                                        ; implicit-def: $vgpr87
; %bb.5565:
	s_andn2_saveexec_b64 vcc, vcc
; %bb.5566:
	v_add_f32_e32 v5, 0x43000000, v87
; %bb.5567:
	s_or_b64 exec, exec, vcc
                                        ; implicit-def: $vgpr87
.LBB94_5568:
	s_andn2_saveexec_b64 s[44:45], s[44:45]
; %bb.5569:
	s_mov_b32 vcc_lo, 0x7f800000
	v_mov_b32_e32 v5, 0x7c
	v_mov_b32_e32 v96, 0x7f
	v_cmp_lt_u32_e32 vcc, vcc_lo, v87
	v_cndmask_b32_e32 v5, v5, v96, vcc
; %bb.5570:
	s_or_b64 exec, exec, s[44:45]
	v_lshrrev_b32_e32 v4, 24, v4
	s_movk_i32 vcc_lo, 0x80
	v_and_or_b32 v4, v4, vcc_lo, v5
	flat_store_byte v[2:3], v4
.LBB94_5571:
	s_or_b64 exec, exec, s[4:5]
	s_or_b64 s[4:5], s[6:7], exec
                                        ; implicit-def: $vgpr4
                                        ; implicit-def: $vgpr2_vgpr3
.LBB94_5572:
	s_or_saveexec_b64 s[40:41], s[40:41]
	s_mov_b64 vcc, s[36:37]
	s_xor_b64 exec, exec, s[40:41]
	s_cbranch_execz .LBB94_5582
; %bb.5573:
	v_mov_b32_e32 v5, 14
	v_cmp_gt_i16_sdwa vcc, v11, v5 src0_sel:BYTE_0 src1_sel:DWORD
	s_mov_b64 s[44:45], s[4:5]
	s_mov_b64 s[46:47], s[36:37]
	s_and_saveexec_b64 s[48:49], vcc
	s_xor_b64 s[48:49], exec, s[48:49]
	s_cbranch_execz .LBB94_5577
; %bb.5574:
	v_mov_b32_e32 v5, 15
	v_cmp_eq_u16_sdwa s[50:51], v11, v5 src0_sel:BYTE_0 src1_sel:DWORD
	s_mov_b64 s[46:47], -1
	s_mov_b64 vcc, s[4:5]
	s_and_saveexec_b64 s[44:45], s[50:51]
	s_cbranch_execz .LBB94_5576
; %bb.5575:
	v_bfe_u32 v5, v4, 16, 1
	s_movk_i32 vcc_lo, 0x7fff
	v_add3_u32 v5, v4, v5, vcc_lo
	v_lshrrev_b32_e32 v5, 16, v5
	v_mov_b32_e32 v87, 0x7fc0
	v_cmp_o_f32_e32 vcc, v4, v4
	v_cndmask_b32_e32 v4, v87, v5, vcc
	flat_store_short v[2:3], v4
	s_xor_b64 s[46:47], exec, -1
	s_or_b64 vcc, s[4:5], exec
.LBB94_5576:
	s_or_b64 exec, exec, s[44:45]
	s_andn2_b64 s[44:45], s[36:37], exec
	s_and_b64 s[46:47], s[46:47], exec
	s_or_b64 s[46:47], s[44:45], s[46:47]
	s_andn2_b64 s[44:45], s[4:5], exec
	s_and_b64 vcc, vcc, exec
	s_or_b64 s[44:45], s[44:45], vcc
                                        ; implicit-def: $vgpr4
                                        ; implicit-def: $vgpr2_vgpr3
.LBB94_5577:
	s_andn2_saveexec_b64 s[48:49], s[48:49]
	s_cbranch_execz .LBB94_5581
; %bb.5578:
	v_mov_b32_e32 v5, 11
	v_cmp_eq_u16_sdwa s[54:55], v11, v5 src0_sel:BYTE_0 src1_sel:DWORD
	s_mov_b64 s[50:51], -1
	s_mov_b64 vcc, s[44:45]
	s_and_saveexec_b64 s[52:53], s[54:55]
	s_cbranch_execz .LBB94_5580
; %bb.5579:
	v_cmp_neq_f32_e32 vcc, 0, v4
	v_cndmask_b32_e64 v4, 0, 1, vcc
	flat_store_byte v[2:3], v4
	s_xor_b64 s[50:51], exec, -1
	s_or_b64 vcc, s[44:45], exec
.LBB94_5580:
	s_or_b64 exec, exec, s[52:53]
	s_andn2_b64 s[46:47], s[46:47], exec
	s_and_b64 s[50:51], s[50:51], exec
	s_andn2_b64 s[44:45], s[44:45], exec
	s_and_b64 vcc, vcc, exec
	s_or_b64 s[46:47], s[46:47], s[50:51]
	s_or_b64 s[44:45], s[44:45], vcc
.LBB94_5581:
	s_or_b64 exec, exec, s[48:49]
	s_andn2_b64 vcc, s[36:37], exec
	s_and_b64 s[46:47], s[46:47], exec
	s_andn2_b64 s[4:5], s[4:5], exec
	s_and_b64 s[44:45], s[44:45], exec
	s_or_b64 vcc, vcc, s[46:47]
	s_or_b64 s[4:5], s[4:5], s[44:45]
.LBB94_5582:
	s_or_b64 exec, exec, s[40:41]
	s_andn2_b64 s[36:37], s[36:37], exec
	s_and_b64 vcc, vcc, exec
	s_andn2_b64 s[6:7], s[6:7], exec
	s_and_b64 s[4:5], s[4:5], exec
	s_or_b64 s[36:37], s[36:37], vcc
	s_or_b64 s[6:7], s[6:7], s[4:5]
.LBB94_5583:
	s_or_b64 exec, exec, s[38:39]
	s_andn2_b64 s[4:5], s[28:29], exec
	s_and_b64 vcc, s[36:37], exec
	s_or_b64 s[4:5], s[4:5], vcc
	s_and_b64 s[6:7], s[6:7], exec
                                        ; implicit-def: $vgpr4
                                        ; implicit-def: $vgpr2_vgpr3
	s_andn2_saveexec_b64 s[34:35], s[34:35]
	s_cbranch_execz .LBB94_3814
.LBB94_5584:
	v_mov_b32_e32 v5, 4
	v_cmp_gt_i16_sdwa vcc, v11, v5 src0_sel:BYTE_0 src1_sel:DWORD
	s_and_saveexec_b64 s[36:37], vcc
	s_xor_b64 vcc, exec, s[36:37]
	s_cbranch_execz .LBB94_5606
; %bb.5585:
	v_mov_b32_e32 v5, 7
	v_cmp_gt_i16_sdwa s[36:37], v11, v5 src0_sel:BYTE_0 src1_sel:DWORD
	s_and_saveexec_b64 s[38:39], s[36:37]
	s_xor_b64 s[36:37], exec, s[38:39]
	s_cbranch_execz .LBB94_5595
; %bb.5586:
	v_mov_b32_e32 v5, 8
	v_cmp_gt_i16_sdwa s[38:39], v11, v5 src0_sel:BYTE_0 src1_sel:DWORD
	s_and_saveexec_b64 s[40:41], s[38:39]
	s_xor_b64 s[38:39], exec, s[40:41]
	;; [unrolled: 6-line block ×3, first 2 shown]
	s_cbranch_execz .LBB94_5589
; %bb.5588:
	v_mov_b32_e32 v98, 0
	v_cvt_f64_f32_e32 v[96:97], v4
	v_mov_b32_e32 v99, v98
	flat_store_dwordx4 v[2:3], v[96:99]
                                        ; implicit-def: $vgpr4
                                        ; implicit-def: $vgpr2_vgpr3
.LBB94_5589:
	s_andn2_saveexec_b64 s[40:41], s[40:41]
	s_cbranch_execz .LBB94_5591
; %bb.5590:
	v_mov_b32_e32 v5, 0
	flat_store_dwordx2 v[2:3], v[4:5]
.LBB94_5591:
	s_or_b64 exec, exec, s[40:41]
                                        ; implicit-def: $vgpr4
                                        ; implicit-def: $vgpr2_vgpr3
.LBB94_5592:
	s_andn2_saveexec_b64 s[38:39], s[38:39]
	s_cbranch_execz .LBB94_5594
; %bb.5593:
	v_cvt_f16_f32_e32 v4, v4
	flat_store_dword v[2:3], v4
.LBB94_5594:
	s_or_b64 exec, exec, s[38:39]
                                        ; implicit-def: $vgpr4
                                        ; implicit-def: $vgpr2_vgpr3
.LBB94_5595:
	s_andn2_saveexec_b64 s[36:37], s[36:37]
	s_cbranch_execz .LBB94_5605
; %bb.5596:
	v_mov_b32_e32 v5, 5
	v_cmp_gt_i16_sdwa s[38:39], v11, v5 src0_sel:BYTE_0 src1_sel:DWORD
	s_and_saveexec_b64 s[40:41], s[38:39]
	s_xor_b64 s[38:39], exec, s[40:41]
	s_cbranch_execz .LBB94_5602
; %bb.5597:
	v_mov_b32_e32 v5, 6
	v_cmp_gt_i16_sdwa s[40:41], v11, v5 src0_sel:BYTE_0 src1_sel:DWORD
	s_and_saveexec_b64 s[44:45], s[40:41]
	s_xor_b64 s[40:41], exec, s[44:45]
	s_cbranch_execz .LBB94_5599
; %bb.5598:
	v_cvt_f64_f32_e32 v[4:5], v4
	flat_store_dwordx2 v[2:3], v[4:5]
                                        ; implicit-def: $vgpr2_vgpr3
                                        ; implicit-def: $vgpr4
.LBB94_5599:
	s_andn2_saveexec_b64 s[40:41], s[40:41]
	s_cbranch_execz .LBB94_5601
; %bb.5600:
	flat_store_dword v[2:3], v4
.LBB94_5601:
	s_or_b64 exec, exec, s[40:41]
                                        ; implicit-def: $vgpr4
                                        ; implicit-def: $vgpr2_vgpr3
.LBB94_5602:
	s_andn2_saveexec_b64 s[38:39], s[38:39]
	s_cbranch_execz .LBB94_5604
; %bb.5603:
	v_cvt_f16_f32_e32 v4, v4
	flat_store_short v[2:3], v4
.LBB94_5604:
	s_or_b64 exec, exec, s[38:39]
.LBB94_5605:
	s_or_b64 exec, exec, s[36:37]
                                        ; implicit-def: $vgpr4
                                        ; implicit-def: $vgpr2_vgpr3
.LBB94_5606:
	s_andn2_saveexec_b64 s[36:37], vcc
	s_cbranch_execz .LBB94_5624
; %bb.5607:
	v_mov_b32_e32 v5, 1
	v_cmp_gt_i16_sdwa vcc, v11, v5 src0_sel:BYTE_0 src1_sel:DWORD
	s_and_saveexec_b64 s[38:39], vcc
	s_xor_b64 s[38:39], exec, s[38:39]
	s_cbranch_execz .LBB94_5617
; %bb.5608:
	v_mov_b32_e32 v5, 2
	v_cmp_gt_i16_sdwa vcc, v11, v5 src0_sel:BYTE_0 src1_sel:DWORD
	s_and_saveexec_b64 s[40:41], vcc
	s_xor_b64 s[40:41], exec, s[40:41]
	;; [unrolled: 6-line block ×3, first 2 shown]
	s_cbranch_execz .LBB94_5611
; %bb.5610:
	v_trunc_f32_e32 v4, v4
	s_mov_b32 s46, 0x2f800000
	v_mul_f32_e64 v5, |v4|, s46
	v_floor_f32_e32 v5, v5
	s_mov_b32 s46, 0xcf800000
	v_cvt_u32_f32_e32 v87, v5
	v_fma_f32 v5, v5, s46, |v4|
	v_cvt_u32_f32_e32 v5, v5
	v_ashrrev_i32_e32 v96, 31, v4
	v_xor_b32_e32 v87, v87, v96
	v_xor_b32_e32 v4, v5, v96
	v_sub_co_u32_e32 v4, vcc, v4, v96
	v_subb_co_u32_e32 v5, vcc, v87, v96, vcc
	flat_store_dwordx2 v[2:3], v[4:5]
                                        ; implicit-def: $vgpr4
                                        ; implicit-def: $vgpr2_vgpr3
.LBB94_5611:
	s_andn2_saveexec_b64 vcc, s[44:45]
	s_cbranch_execz .LBB94_5613
; %bb.5612:
	v_cvt_i32_f32_e32 v4, v4
	flat_store_dword v[2:3], v4
.LBB94_5613:
	s_or_b64 exec, exec, vcc
                                        ; implicit-def: $vgpr4
                                        ; implicit-def: $vgpr2_vgpr3
.LBB94_5614:
	s_andn2_saveexec_b64 vcc, s[40:41]
	s_cbranch_execz .LBB94_5616
; %bb.5615:
	v_cvt_i32_f32_e32 v4, v4
	flat_store_short v[2:3], v4
.LBB94_5616:
	s_or_b64 exec, exec, vcc
                                        ; implicit-def: $vgpr4
                                        ; implicit-def: $vgpr2_vgpr3
.LBB94_5617:
	s_andn2_saveexec_b64 vcc, s[38:39]
	s_cbranch_execz .LBB94_5623
; %bb.5618:
	v_mov_b32_e32 v5, 0
	v_cmp_gt_i16_sdwa s[38:39], v11, v5 src0_sel:BYTE_0 src1_sel:DWORD
	s_and_saveexec_b64 s[40:41], s[38:39]
	s_xor_b64 s[38:39], exec, s[40:41]
	s_cbranch_execz .LBB94_5620
; %bb.5619:
	v_cvt_i32_f32_e32 v4, v4
	flat_store_byte v[2:3], v4
                                        ; implicit-def: $vgpr4
                                        ; implicit-def: $vgpr2_vgpr3
.LBB94_5620:
	s_andn2_saveexec_b64 s[38:39], s[38:39]
	s_cbranch_execz .LBB94_5622
; %bb.5621:
	v_trunc_f32_e32 v4, v4
	s_mov_b32 s40, 0x2f800000
	v_mul_f32_e64 v5, |v4|, s40
	v_floor_f32_e32 v5, v5
	s_mov_b32 s40, 0xcf800000
	v_fma_f32 v5, v5, s40, |v4|
	v_cvt_u32_f32_e32 v5, v5
	v_ashrrev_i32_e32 v4, 31, v4
	v_xor_b32_e32 v5, v5, v4
	v_sub_u32_e32 v4, v5, v4
	flat_store_byte v[2:3], v4
.LBB94_5622:
	s_or_b64 exec, exec, s[38:39]
.LBB94_5623:
	s_or_b64 exec, exec, vcc
.LBB94_5624:
	s_or_b64 exec, exec, s[36:37]
	s_or_b64 s[6:7], s[6:7], exec
	s_or_b64 exec, exec, s[34:35]
	s_mov_b64 vcc, 0
	s_and_saveexec_b64 s[34:35], s[6:7]
	s_cbranch_execnz .LBB94_3815
	s_branch .LBB94_3816
.LBB94_5625:
	v_bfe_u32 v5, v4, 21, 1
	s_mov_b32 s30, 0x88fffff
	v_add3_u32 v5, v4, v5, s30
	s_mov_b64 s[28:29], exec
	v_lshrrev_b32_e32 v14, 21, v5
                                        ; implicit-def: $vgpr5
	s_or_saveexec_b64 s[30:31], vcc
                                        ; implicit-def: $sgpr34
	s_xor_b64 exec, exec, s[30:31]
	s_cbranch_execz .LBB94_3701
.LBB94_5626:
	s_mov_b32 s34, 0x42800000
	v_add_f32_e64 v5, |v5|, s34
	v_and_b32_e32 v14, 0xff, v5
	v_cmp_ne_u32_e32 vcc, 0, v14
	s_andn2_b64 s[28:29], s[28:29], exec
	s_and_b64 vcc, vcc, exec
	s_mov_b32 s34, 0
	s_or_b64 s[28:29], s[28:29], vcc
	s_or_b64 exec, exec, s[30:31]
	v_mov_b32_e32 v103, s34
	s_and_saveexec_b64 vcc, s[28:29]
	s_cbranch_execnz .LBB94_3702
	s_branch .LBB94_3703
.LBB94_5627:
	v_mov_b32_e32 v5, 25
	v_cmp_gt_i16_sdwa s[4:5], v11, v5 src0_sel:BYTE_0 src1_sel:DWORD
	s_mov_b64 s[38:39], s[6:7]
	s_and_saveexec_b64 s[40:41], s[4:5]
	s_xor_b64 s[40:41], exec, s[40:41]
	s_cbranch_execz .LBB94_5663
; %bb.5628:
	v_mov_b32_e32 v5, 28
	v_cmp_gt_i16_sdwa s[4:5], v11, v5 src0_sel:BYTE_0 src1_sel:DWORD
	s_mov_b64 s[46:47], 0
	s_mov_b64 s[38:39], s[6:7]
	s_and_saveexec_b64 s[36:37], s[4:5]
	s_xor_b64 s[36:37], exec, s[36:37]
	s_cbranch_execz .LBB94_5646
; %bb.5629:
	v_mov_b32_e32 v5, 43
	v_cmp_gt_i16_sdwa s[38:39], v11, v5 src0_sel:BYTE_0 src1_sel:DWORD
	s_mov_b64 s[4:5], 0
	;; [unrolled: 8-line block ×3, first 2 shown]
	s_mov_b64 s[48:49], s[6:7]
	s_and_saveexec_b64 s[50:51], s[4:5]
	s_xor_b64 s[50:51], exec, s[50:51]
	s_cbranch_execz .LBB94_5634
; %bb.5631:
	v_mov_b32_e32 v5, 46
	v_cmp_eq_u16_sdwa s[52:53], v11, v5 src0_sel:BYTE_0 src1_sel:DWORD
	s_mov_b64 s[4:5], -1
	s_and_saveexec_b64 s[48:49], s[52:53]
	s_cbranch_execz .LBB94_5633
; %bb.5632:
	v_bfe_u32 v5, v4, 16, 1
	s_movk_i32 s4, 0x7fff
	v_add3_u32 v5, v4, v5, s4
	v_lshrrev_b32_e32 v5, 16, v5
	v_mov_b32_e32 v85, 0x7fc0
	v_cmp_o_f32_e64 s[4:5], v4, v4
	v_cndmask_b32_e64 v4, v85, v5, s[4:5]
	s_mov_b64 s[46:47], exec
	flat_store_dword v[2:3], v4
	s_xor_b64 s[4:5], exec, -1
.LBB94_5633:
	s_or_b64 exec, exec, s[48:49]
	s_andn2_b64 s[48:49], s[6:7], exec
	s_and_b64 s[4:5], s[4:5], exec
	s_or_b64 s[48:49], s[48:49], s[4:5]
	s_and_b64 s[46:47], s[46:47], exec
                                        ; implicit-def: $vgpr2_vgpr3
                                        ; implicit-def: $vgpr4
.LBB94_5634:
	s_andn2_saveexec_b64 s[50:51], s[50:51]
	s_cbranch_execz .LBB94_5640
; %bb.5635:
	v_mov_b32_e32 v5, 44
	v_cmp_eq_u16_sdwa s[54:55], v11, v5 src0_sel:BYTE_0 src1_sel:DWORD
	s_mov_b64 s[56:57], -1
	s_mov_b64 s[4:5], s[46:47]
	s_and_saveexec_b64 s[52:53], s[54:55]
	s_cbranch_execz .LBB94_5639
; %bb.5636:
	v_bfe_u32 v5, v4, 23, 8
	s_movk_i32 s4, 0xff
	s_mov_b64 s[54:55], s[6:7]
	v_cmp_ne_u32_e64 s[4:5], s4, v5
	v_mov_b32_e32 v85, 0xff
	s_and_saveexec_b64 s[56:57], s[4:5]
; %bb.5637:
	s_mov_b32 s6, 0x3fffff
	v_lshrrev_b32_e32 v85, 23, v4
	v_and_b32_e32 v86, 0x400000, v4
	v_and_or_b32 v4, v4, s6, v5
	v_cmp_ne_u32_e64 s[4:5], 0, v86
	v_cmp_ne_u32_e64 s[6:7], 0, v4
	s_and_b64 s[4:5], s[4:5], s[6:7]
	v_cndmask_b32_e64 v4, 0, 1, s[4:5]
	v_add_u32_e32 v85, v85, v4
; %bb.5638:
	s_or_b64 exec, exec, s[56:57]
	s_xor_b64 s[56:57], exec, -1
	s_or_b64 s[4:5], s[46:47], exec
	s_mov_b64 s[6:7], s[54:55]
	flat_store_byte v[2:3], v85
.LBB94_5639:
	s_or_b64 exec, exec, s[52:53]
	s_andn2_b64 s[48:49], s[48:49], exec
	s_and_b64 s[52:53], s[56:57], exec
	s_andn2_b64 s[46:47], s[46:47], exec
	s_and_b64 s[4:5], s[4:5], exec
	s_or_b64 s[48:49], s[48:49], s[52:53]
	s_or_b64 s[46:47], s[46:47], s[4:5]
.LBB94_5640:
	s_or_b64 exec, exec, s[50:51]
	s_andn2_b64 s[4:5], s[6:7], exec
	s_and_b64 s[48:49], s[48:49], exec
	s_or_b64 s[48:49], s[4:5], s[48:49]
	s_and_b64 s[4:5], s[46:47], exec
                                        ; implicit-def: $vgpr4
                                        ; implicit-def: $vgpr2_vgpr3
.LBB94_5641:
	s_andn2_saveexec_b64 s[38:39], s[38:39]
	s_cbranch_execz .LBB94_5645
; %bb.5642:
	v_mov_b32_e32 v5, 29
	v_cmp_eq_u16_sdwa s[54:55], v11, v5 src0_sel:BYTE_0 src1_sel:DWORD
	s_mov_b64 s[52:53], -1
	s_mov_b64 s[50:51], s[4:5]
	s_and_saveexec_b64 s[46:47], s[54:55]
	s_cbranch_execz .LBB94_5644
; %bb.5643:
	v_trunc_f32_e32 v4, v4
	v_mul_f32_e32 v5, 0x2f800000, v4
	v_floor_f32_e32 v85, v5
	v_fmac_f32_e32 v4, 0xcf800000, v85
	v_cvt_u32_f32_e32 v5, v85
	v_cvt_u32_f32_e32 v4, v4
	s_xor_b64 s[52:53], exec, -1
	s_or_b64 s[50:51], s[4:5], exec
	flat_store_dwordx2 v[2:3], v[4:5]
.LBB94_5644:
	s_or_b64 exec, exec, s[46:47]
	s_andn2_b64 s[46:47], s[48:49], exec
	s_and_b64 s[48:49], s[52:53], exec
	s_or_b64 s[48:49], s[46:47], s[48:49]
	s_andn2_b64 s[4:5], s[4:5], exec
	s_and_b64 s[46:47], s[50:51], exec
	s_or_b64 s[4:5], s[4:5], s[46:47]
.LBB94_5645:
	s_or_b64 exec, exec, s[38:39]
	s_andn2_b64 s[38:39], s[6:7], exec
	s_and_b64 s[46:47], s[48:49], exec
	s_or_b64 s[38:39], s[38:39], s[46:47]
	s_and_b64 s[46:47], s[4:5], exec
                                        ; implicit-def: $vgpr2_vgpr3
                                        ; implicit-def: $vgpr85
                                        ; implicit-def: $vgpr4
.LBB94_5646:
	s_andn2_saveexec_b64 s[36:37], s[36:37]
	s_cbranch_execz .LBB94_5662
; %bb.5647:
	v_mov_b32_e32 v5, 26
	v_cmp_gt_i16_sdwa s[4:5], v11, v5 src0_sel:BYTE_0 src1_sel:DWORD
	s_and_saveexec_b64 s[48:49], s[4:5]
	s_xor_b64 s[4:5], exec, s[48:49]
	s_cbranch_execz .LBB94_5653
; %bb.5648:
	v_cvt_u32_f32_e32 v4, v4
	v_mov_b32_e32 v5, 27
	v_cmp_gt_i16_sdwa s[48:49], v11, v5 src0_sel:BYTE_0 src1_sel:DWORD
	s_and_saveexec_b64 s[50:51], s[48:49]
	s_xor_b64 s[48:49], exec, s[50:51]
	s_cbranch_execz .LBB94_5650
; %bb.5649:
	flat_store_dword v[2:3], v4
                                        ; implicit-def: $vgpr2_vgpr3
                                        ; implicit-def: $vgpr4
.LBB94_5650:
	s_andn2_saveexec_b64 s[48:49], s[48:49]
	s_cbranch_execz .LBB94_5652
; %bb.5651:
	flat_store_short v[2:3], v4
.LBB94_5652:
	s_or_b64 exec, exec, s[48:49]
                                        ; implicit-def: $vgpr2_vgpr3
                                        ; implicit-def: $vgpr85
                                        ; implicit-def: $vgpr4
.LBB94_5653:
	s_andn2_saveexec_b64 s[48:49], s[4:5]
	s_cbranch_execz .LBB94_5661
; %bb.5654:
	v_cndmask_b32_e64 v85, |v0|, |v85|, vcc
	s_mov_b32 s4, 0x43800000
	v_cmp_gt_u32_e64 s[4:5], s4, v85
	v_mov_b32_e32 v86, 0x80
	s_and_saveexec_b64 s[50:51], s[4:5]
	s_cbranch_execz .LBB94_5660
; %bb.5655:
	s_mov_b32 s4, 0x3bffffff
	v_cmp_lt_u32_e64 s[4:5], s4, v85
	s_mov_b64 s[52:53], 0
                                        ; implicit-def: $vgpr5
	s_and_saveexec_b64 s[54:55], s[4:5]
	s_xor_b64 s[4:5], exec, s[54:55]
	s_cbranch_execnz .LBB94_6257
; %bb.5656:
	s_or_saveexec_b64 s[54:55], s[4:5]
                                        ; implicit-def: $sgpr56
	s_xor_b64 exec, exec, s[54:55]
	s_cbranch_execnz .LBB94_6258
.LBB94_5657:
	s_or_b64 exec, exec, s[54:55]
	v_mov_b32_e32 v86, s56
	s_and_saveexec_b64 s[4:5], s[52:53]
.LBB94_5658:
	v_lshrrev_b32_e32 v4, 24, v4
	s_movk_i32 s52, 0x80
	v_and_or_b32 v86, v4, s52, v5
.LBB94_5659:
	s_or_b64 exec, exec, s[4:5]
.LBB94_5660:
	s_or_b64 exec, exec, s[50:51]
	flat_store_byte v[2:3], v86
.LBB94_5661:
	s_or_b64 exec, exec, s[48:49]
	s_or_b64 s[46:47], s[46:47], exec
.LBB94_5662:
	s_or_b64 exec, exec, s[36:37]
	s_andn2_b64 s[4:5], s[6:7], exec
	s_and_b64 s[36:37], s[38:39], exec
	s_or_b64 s[38:39], s[4:5], s[36:37]
	s_and_b64 s[36:37], s[46:47], exec
                                        ; implicit-def: $vgpr4
                                        ; implicit-def: $vgpr2_vgpr3
                                        ; implicit-def: $vgpr85
.LBB94_5663:
	s_andn2_saveexec_b64 s[40:41], s[40:41]
	s_cbranch_execz .LBB94_5707
; %bb.5664:
	v_mov_b32_e32 v5, 22
	v_cmp_gt_i16_sdwa s[46:47], v11, v5 src0_sel:BYTE_0 src1_sel:DWORD
	s_mov_b64 s[4:5], s[36:37]
	s_and_saveexec_b64 s[48:49], s[46:47]
	s_xor_b64 s[46:47], exec, s[48:49]
	s_cbranch_execz .LBB94_5696
; %bb.5665:
	v_mov_b32_e32 v5, 23
	v_cmp_gt_i16_sdwa s[4:5], v11, v5 src0_sel:BYTE_0 src1_sel:DWORD
	s_and_saveexec_b64 s[48:49], s[4:5]
	s_xor_b64 s[48:49], exec, s[48:49]
	s_cbranch_execz .LBB94_5685
; %bb.5666:
	v_mov_b32_e32 v5, 24
	v_cmp_gt_i16_sdwa s[4:5], v11, v5 src0_sel:BYTE_0 src1_sel:DWORD
	s_and_saveexec_b64 s[50:51], s[4:5]
	s_xor_b64 s[50:51], exec, s[50:51]
	s_cbranch_execz .LBB94_5674
; %bb.5667:
	v_cndmask_b32_e64 v85, |v0|, |v85|, vcc
	s_mov_b32 s4, 0x47800000
	v_cmp_gt_u32_e64 s[4:5], s4, v85
	v_mov_b32_e32 v86, 0x80
	s_and_saveexec_b64 s[52:53], s[4:5]
	s_cbranch_execz .LBB94_5673
; %bb.5668:
	s_mov_b32 s4, 0x37ffffff
	v_cmp_lt_u32_e64 s[4:5], s4, v85
	s_mov_b64 s[54:55], 0
                                        ; implicit-def: $vgpr5
	s_and_saveexec_b64 s[56:57], s[4:5]
	s_xor_b64 s[4:5], exec, s[56:57]
	s_cbranch_execnz .LBB94_6381
; %bb.5669:
	s_or_saveexec_b64 s[56:57], s[4:5]
                                        ; implicit-def: $sgpr58
	s_xor_b64 exec, exec, s[56:57]
	s_cbranch_execnz .LBB94_6382
.LBB94_5670:
	s_or_b64 exec, exec, s[56:57]
	v_mov_b32_e32 v86, s58
	s_and_saveexec_b64 s[4:5], s[54:55]
.LBB94_5671:
	v_lshrrev_b32_e32 v4, 24, v4
	s_movk_i32 s54, 0x80
	v_and_or_b32 v86, v4, s54, v5
.LBB94_5672:
	s_or_b64 exec, exec, s[4:5]
.LBB94_5673:
	s_or_b64 exec, exec, s[52:53]
	flat_store_byte v[2:3], v86
                                        ; implicit-def: $vgpr4
                                        ; implicit-def: $vgpr2_vgpr3
                                        ; implicit-def: $vgpr85
.LBB94_5674:
	s_andn2_saveexec_b64 s[50:51], s[50:51]
	s_cbranch_execz .LBB94_5684
; %bb.5675:
	v_cndmask_b32_e64 v85, |v0|, |v85|, vcc
	s_mov_b32 s4, 0x43f00000
	v_cmp_gt_u32_e64 s[4:5], s4, v85
                                        ; implicit-def: $vgpr5
	s_and_saveexec_b64 s[52:53], s[4:5]
	s_xor_b64 s[52:53], exec, s[52:53]
	s_cbranch_execz .LBB94_5681
; %bb.5676:
	s_mov_b32 s4, 0x3c7fffff
	v_cmp_lt_u32_e64 s[4:5], s4, v85
                                        ; implicit-def: $vgpr5
	s_and_saveexec_b64 s[54:55], s[4:5]
	s_xor_b64 s[54:55], exec, s[54:55]
; %bb.5677:
	v_bfe_u32 v5, v4, 20, 1
	s_mov_b32 s4, 0x407ffff
	v_add3_u32 v5, v4, v5, s4
	v_lshrrev_b32_e32 v85, 20, v5
	v_and_b32_e32 v5, 0xff00000, v5
	s_mov_b32 s4, 0x7f00000
	v_mov_b32_e32 v86, 0x7e
	v_cmp_ne_u32_e64 s[4:5], s4, v5
	v_cndmask_b32_e64 v5, v86, v85, s[4:5]
                                        ; implicit-def: $vgpr85
; %bb.5678:
	s_andn2_saveexec_b64 s[4:5], s[54:55]
; %bb.5679:
	v_add_f32_e32 v5, 0x46800000, v85
; %bb.5680:
	s_or_b64 exec, exec, s[4:5]
                                        ; implicit-def: $vgpr85
.LBB94_5681:
	s_andn2_saveexec_b64 s[52:53], s[52:53]
; %bb.5682:
	s_mov_b32 s4, 0x7f800000
	v_mov_b32_e32 v5, 0x7e
	v_mov_b32_e32 v86, 0x7f
	v_cmp_lt_u32_e64 s[4:5], s4, v85
	v_cndmask_b32_e64 v5, v5, v86, s[4:5]
; %bb.5683:
	s_or_b64 exec, exec, s[52:53]
	v_lshrrev_b32_e32 v4, 24, v4
	s_movk_i32 s4, 0x80
	v_and_or_b32 v4, v4, s4, v5
	flat_store_byte v[2:3], v4
.LBB94_5684:
	s_or_b64 exec, exec, s[50:51]
                                        ; implicit-def: $vgpr4
                                        ; implicit-def: $vgpr2_vgpr3
                                        ; implicit-def: $vgpr85
.LBB94_5685:
	s_andn2_saveexec_b64 s[4:5], s[48:49]
	s_cbranch_execz .LBB94_5695
; %bb.5686:
	v_cndmask_b32_e64 v85, |v0|, |v85|, vcc
	s_mov_b32 vcc_lo, 0x47800000
	v_cmp_gt_u32_e32 vcc, vcc_lo, v85
                                        ; implicit-def: $vgpr5
	s_and_saveexec_b64 s[48:49], vcc
	s_xor_b64 s[48:49], exec, s[48:49]
	s_cbranch_execz .LBB94_5692
; %bb.5687:
	s_mov_b32 vcc_lo, 0x387fffff
	v_cmp_lt_u32_e32 vcc, vcc_lo, v85
                                        ; implicit-def: $vgpr5
	s_and_saveexec_b64 s[50:51], vcc
	s_xor_b64 vcc, exec, s[50:51]
; %bb.5688:
	v_bfe_u32 v5, v4, 21, 1
	s_mov_b32 s50, 0x80fffff
	v_add3_u32 v5, v4, v5, s50
	v_lshrrev_b32_e32 v5, 21, v5
                                        ; implicit-def: $vgpr85
; %bb.5689:
	s_andn2_saveexec_b64 vcc, vcc
; %bb.5690:
	v_add_f32_e32 v5, 0x43000000, v85
; %bb.5691:
	s_or_b64 exec, exec, vcc
                                        ; implicit-def: $vgpr85
.LBB94_5692:
	s_andn2_saveexec_b64 s[48:49], s[48:49]
; %bb.5693:
	s_mov_b32 vcc_lo, 0x7f800000
	v_mov_b32_e32 v5, 0x7c
	v_mov_b32_e32 v86, 0x7f
	v_cmp_lt_u32_e32 vcc, vcc_lo, v85
	v_cndmask_b32_e32 v5, v5, v86, vcc
; %bb.5694:
	s_or_b64 exec, exec, s[48:49]
	v_lshrrev_b32_e32 v4, 24, v4
	s_movk_i32 vcc_lo, 0x80
	v_and_or_b32 v4, v4, vcc_lo, v5
	flat_store_byte v[2:3], v4
.LBB94_5695:
	s_or_b64 exec, exec, s[4:5]
	s_or_b64 s[4:5], s[36:37], exec
                                        ; implicit-def: $vgpr4
                                        ; implicit-def: $vgpr2_vgpr3
.LBB94_5696:
	s_or_saveexec_b64 s[46:47], s[46:47]
	s_mov_b64 vcc, s[38:39]
	s_xor_b64 exec, exec, s[46:47]
	s_cbranch_execz .LBB94_5706
; %bb.5697:
	v_mov_b32_e32 v5, 14
	v_cmp_gt_i16_sdwa vcc, v11, v5 src0_sel:BYTE_0 src1_sel:DWORD
	s_mov_b64 s[48:49], s[4:5]
	s_mov_b64 s[50:51], s[38:39]
	s_and_saveexec_b64 s[52:53], vcc
	s_xor_b64 s[52:53], exec, s[52:53]
	s_cbranch_execz .LBB94_5701
; %bb.5698:
	v_mov_b32_e32 v5, 15
	v_cmp_eq_u16_sdwa s[54:55], v11, v5 src0_sel:BYTE_0 src1_sel:DWORD
	s_mov_b64 s[50:51], -1
	s_mov_b64 vcc, s[4:5]
	s_and_saveexec_b64 s[48:49], s[54:55]
	s_cbranch_execz .LBB94_5700
; %bb.5699:
	v_bfe_u32 v5, v4, 16, 1
	s_movk_i32 vcc_lo, 0x7fff
	v_add3_u32 v5, v4, v5, vcc_lo
	v_lshrrev_b32_e32 v5, 16, v5
	v_mov_b32_e32 v85, 0x7fc0
	v_cmp_o_f32_e32 vcc, v4, v4
	v_cndmask_b32_e32 v4, v85, v5, vcc
	flat_store_short v[2:3], v4
	s_xor_b64 s[50:51], exec, -1
	s_or_b64 vcc, s[4:5], exec
.LBB94_5700:
	s_or_b64 exec, exec, s[48:49]
	s_andn2_b64 s[48:49], s[38:39], exec
	s_and_b64 s[50:51], s[50:51], exec
	s_or_b64 s[50:51], s[48:49], s[50:51]
	s_andn2_b64 s[48:49], s[4:5], exec
	s_and_b64 vcc, vcc, exec
	s_or_b64 s[48:49], s[48:49], vcc
                                        ; implicit-def: $vgpr4
                                        ; implicit-def: $vgpr2_vgpr3
.LBB94_5701:
	s_andn2_saveexec_b64 s[52:53], s[52:53]
	s_cbranch_execz .LBB94_5705
; %bb.5702:
	v_mov_b32_e32 v5, 11
	v_cmp_eq_u16_sdwa s[58:59], v11, v5 src0_sel:BYTE_0 src1_sel:DWORD
	s_mov_b64 s[54:55], -1
	s_mov_b64 vcc, s[48:49]
	s_and_saveexec_b64 s[56:57], s[58:59]
	s_cbranch_execz .LBB94_5704
; %bb.5703:
	v_cmp_neq_f32_e32 vcc, 0, v4
	v_cndmask_b32_e64 v4, 0, 1, vcc
	flat_store_byte v[2:3], v4
	s_xor_b64 s[54:55], exec, -1
	s_or_b64 vcc, s[48:49], exec
.LBB94_5704:
	s_or_b64 exec, exec, s[56:57]
	s_andn2_b64 s[50:51], s[50:51], exec
	s_and_b64 s[54:55], s[54:55], exec
	s_andn2_b64 s[48:49], s[48:49], exec
	s_and_b64 vcc, vcc, exec
	s_or_b64 s[50:51], s[50:51], s[54:55]
	s_or_b64 s[48:49], s[48:49], vcc
.LBB94_5705:
	s_or_b64 exec, exec, s[52:53]
	s_andn2_b64 vcc, s[38:39], exec
	s_and_b64 s[50:51], s[50:51], exec
	s_andn2_b64 s[4:5], s[4:5], exec
	s_and_b64 s[48:49], s[48:49], exec
	s_or_b64 vcc, vcc, s[50:51]
	s_or_b64 s[4:5], s[4:5], s[48:49]
.LBB94_5706:
	s_or_b64 exec, exec, s[46:47]
	s_andn2_b64 s[38:39], s[38:39], exec
	s_and_b64 vcc, vcc, exec
	s_or_b64 s[38:39], s[38:39], vcc
	s_andn2_b64 vcc, s[36:37], exec
	s_and_b64 s[4:5], s[4:5], exec
	s_or_b64 s[36:37], vcc, s[4:5]
.LBB94_5707:
	s_or_b64 exec, exec, s[40:41]
	s_andn2_b64 s[4:5], s[6:7], exec
	s_and_b64 vcc, s[38:39], exec
	s_or_b64 s[4:5], s[4:5], vcc
	s_and_b64 s[36:37], s[36:37], exec
                                        ; implicit-def: $vgpr4
                                        ; implicit-def: $vgpr2_vgpr3
	s_andn2_saveexec_b64 s[34:35], s[34:35]
	s_cbranch_execz .LBB94_3821
.LBB94_5708:
	v_mov_b32_e32 v5, 4
	v_cmp_gt_i16_sdwa vcc, v11, v5 src0_sel:BYTE_0 src1_sel:DWORD
	s_and_saveexec_b64 s[38:39], vcc
	s_xor_b64 vcc, exec, s[38:39]
	s_cbranch_execz .LBB94_5730
; %bb.5709:
	v_mov_b32_e32 v5, 7
	v_cmp_gt_i16_sdwa s[38:39], v11, v5 src0_sel:BYTE_0 src1_sel:DWORD
	s_and_saveexec_b64 s[40:41], s[38:39]
	s_xor_b64 s[38:39], exec, s[40:41]
	s_cbranch_execz .LBB94_5719
; %bb.5710:
	v_mov_b32_e32 v5, 8
	v_cmp_gt_i16_sdwa s[40:41], v11, v5 src0_sel:BYTE_0 src1_sel:DWORD
	s_and_saveexec_b64 s[46:47], s[40:41]
	s_xor_b64 s[40:41], exec, s[46:47]
	;; [unrolled: 6-line block ×3, first 2 shown]
	s_cbranch_execz .LBB94_5713
; %bb.5712:
	v_mov_b32_e32 v98, 0
	v_cvt_f64_f32_e32 v[96:97], v4
	v_mov_b32_e32 v99, v98
	flat_store_dwordx4 v[2:3], v[96:99]
                                        ; implicit-def: $vgpr4
                                        ; implicit-def: $vgpr2_vgpr3
.LBB94_5713:
	s_andn2_saveexec_b64 s[46:47], s[46:47]
	s_cbranch_execz .LBB94_5715
; %bb.5714:
	v_mov_b32_e32 v5, 0
	flat_store_dwordx2 v[2:3], v[4:5]
.LBB94_5715:
	s_or_b64 exec, exec, s[46:47]
                                        ; implicit-def: $vgpr4
                                        ; implicit-def: $vgpr2_vgpr3
.LBB94_5716:
	s_andn2_saveexec_b64 s[40:41], s[40:41]
	s_cbranch_execz .LBB94_5718
; %bb.5717:
	v_cvt_f16_f32_e32 v4, v4
	flat_store_dword v[2:3], v4
.LBB94_5718:
	s_or_b64 exec, exec, s[40:41]
                                        ; implicit-def: $vgpr4
                                        ; implicit-def: $vgpr2_vgpr3
.LBB94_5719:
	s_andn2_saveexec_b64 s[38:39], s[38:39]
	s_cbranch_execz .LBB94_5729
; %bb.5720:
	v_mov_b32_e32 v5, 5
	v_cmp_gt_i16_sdwa s[40:41], v11, v5 src0_sel:BYTE_0 src1_sel:DWORD
	s_and_saveexec_b64 s[46:47], s[40:41]
	s_xor_b64 s[40:41], exec, s[46:47]
	s_cbranch_execz .LBB94_5726
; %bb.5721:
	v_mov_b32_e32 v5, 6
	v_cmp_gt_i16_sdwa s[46:47], v11, v5 src0_sel:BYTE_0 src1_sel:DWORD
	s_and_saveexec_b64 s[48:49], s[46:47]
	s_xor_b64 s[46:47], exec, s[48:49]
	s_cbranch_execz .LBB94_5723
; %bb.5722:
	v_cvt_f64_f32_e32 v[4:5], v4
	flat_store_dwordx2 v[2:3], v[4:5]
                                        ; implicit-def: $vgpr2_vgpr3
                                        ; implicit-def: $vgpr4
.LBB94_5723:
	s_andn2_saveexec_b64 s[46:47], s[46:47]
	s_cbranch_execz .LBB94_5725
; %bb.5724:
	flat_store_dword v[2:3], v4
.LBB94_5725:
	s_or_b64 exec, exec, s[46:47]
                                        ; implicit-def: $vgpr4
                                        ; implicit-def: $vgpr2_vgpr3
.LBB94_5726:
	s_andn2_saveexec_b64 s[40:41], s[40:41]
	s_cbranch_execz .LBB94_5728
; %bb.5727:
	v_cvt_f16_f32_e32 v4, v4
	flat_store_short v[2:3], v4
.LBB94_5728:
	s_or_b64 exec, exec, s[40:41]
.LBB94_5729:
	s_or_b64 exec, exec, s[38:39]
                                        ; implicit-def: $vgpr4
                                        ; implicit-def: $vgpr2_vgpr3
.LBB94_5730:
	s_andn2_saveexec_b64 s[38:39], vcc
	s_cbranch_execz .LBB94_5748
; %bb.5731:
	v_mov_b32_e32 v5, 1
	v_cmp_gt_i16_sdwa vcc, v11, v5 src0_sel:BYTE_0 src1_sel:DWORD
	s_and_saveexec_b64 s[40:41], vcc
	s_xor_b64 s[40:41], exec, s[40:41]
	s_cbranch_execz .LBB94_5741
; %bb.5732:
	v_mov_b32_e32 v5, 2
	v_cmp_gt_i16_sdwa vcc, v11, v5 src0_sel:BYTE_0 src1_sel:DWORD
	s_and_saveexec_b64 s[46:47], vcc
	s_xor_b64 s[46:47], exec, s[46:47]
	;; [unrolled: 6-line block ×3, first 2 shown]
	s_cbranch_execz .LBB94_5735
; %bb.5734:
	v_trunc_f32_e32 v4, v4
	s_mov_b32 s50, 0x2f800000
	v_mul_f32_e64 v5, |v4|, s50
	v_floor_f32_e32 v5, v5
	s_mov_b32 s50, 0xcf800000
	v_cvt_u32_f32_e32 v85, v5
	v_fma_f32 v5, v5, s50, |v4|
	v_cvt_u32_f32_e32 v5, v5
	v_ashrrev_i32_e32 v86, 31, v4
	v_xor_b32_e32 v85, v85, v86
	v_xor_b32_e32 v4, v5, v86
	v_sub_co_u32_e32 v4, vcc, v4, v86
	v_subb_co_u32_e32 v5, vcc, v85, v86, vcc
	flat_store_dwordx2 v[2:3], v[4:5]
                                        ; implicit-def: $vgpr4
                                        ; implicit-def: $vgpr2_vgpr3
.LBB94_5735:
	s_andn2_saveexec_b64 vcc, s[48:49]
	s_cbranch_execz .LBB94_5737
; %bb.5736:
	v_cvt_i32_f32_e32 v4, v4
	flat_store_dword v[2:3], v4
.LBB94_5737:
	s_or_b64 exec, exec, vcc
                                        ; implicit-def: $vgpr4
                                        ; implicit-def: $vgpr2_vgpr3
.LBB94_5738:
	s_andn2_saveexec_b64 vcc, s[46:47]
	s_cbranch_execz .LBB94_5740
; %bb.5739:
	v_cvt_i32_f32_e32 v4, v4
	flat_store_short v[2:3], v4
.LBB94_5740:
	s_or_b64 exec, exec, vcc
                                        ; implicit-def: $vgpr4
                                        ; implicit-def: $vgpr2_vgpr3
.LBB94_5741:
	s_andn2_saveexec_b64 vcc, s[40:41]
	s_cbranch_execz .LBB94_5747
; %bb.5742:
	v_mov_b32_e32 v5, 0
	v_cmp_gt_i16_sdwa s[40:41], v11, v5 src0_sel:BYTE_0 src1_sel:DWORD
	s_and_saveexec_b64 s[46:47], s[40:41]
	s_xor_b64 s[40:41], exec, s[46:47]
	s_cbranch_execz .LBB94_5744
; %bb.5743:
	v_cvt_i32_f32_e32 v4, v4
	flat_store_byte v[2:3], v4
                                        ; implicit-def: $vgpr4
                                        ; implicit-def: $vgpr2_vgpr3
.LBB94_5744:
	s_andn2_saveexec_b64 s[40:41], s[40:41]
	s_cbranch_execz .LBB94_5746
; %bb.5745:
	v_trunc_f32_e32 v4, v4
	s_mov_b32 s46, 0x2f800000
	v_mul_f32_e64 v5, |v4|, s46
	v_floor_f32_e32 v5, v5
	s_mov_b32 s46, 0xcf800000
	v_fma_f32 v5, v5, s46, |v4|
	v_cvt_u32_f32_e32 v5, v5
	v_ashrrev_i32_e32 v4, 31, v4
	v_xor_b32_e32 v5, v5, v4
	v_sub_u32_e32 v4, v5, v4
	flat_store_byte v[2:3], v4
.LBB94_5746:
	s_or_b64 exec, exec, s[40:41]
.LBB94_5747:
	s_or_b64 exec, exec, vcc
.LBB94_5748:
	s_or_b64 exec, exec, s[38:39]
	s_or_b64 s[36:37], s[36:37], exec
	s_or_b64 exec, exec, s[34:35]
	s_mov_b64 vcc, 0
	s_and_saveexec_b64 s[34:35], s[36:37]
	s_cbranch_execnz .LBB94_3822
	s_branch .LBB94_3823
.LBB94_5749:
	v_bfe_u32 v5, v4, 20, 1
	s_mov_b32 s34, 0x487ffff
	v_add3_u32 v5, v4, v5, s34
	s_mov_b64 s[30:31], exec
	v_lshrrev_b32_e32 v5, 20, v5
                                        ; implicit-def: $vgpr103
	s_or_saveexec_b64 s[34:35], s[4:5]
                                        ; implicit-def: $sgpr36
	s_xor_b64 exec, exec, s[34:35]
	s_cbranch_execz .LBB94_4995
.LBB94_5750:
	v_add_f32_e32 v5, 0x46000000, v103
	v_and_b32_e32 v5, 0xff, v5
	v_cmp_ne_u32_e64 s[4:5], 0, v5
	s_andn2_b64 s[30:31], s[30:31], exec
	s_and_b64 s[4:5], s[4:5], exec
	s_mov_b32 s36, 0
	s_or_b64 s[30:31], s[30:31], s[4:5]
	s_or_b64 exec, exec, s[34:35]
	v_mov_b32_e32 v112, s36
	s_and_saveexec_b64 s[4:5], s[30:31]
	s_cbranch_execnz .LBB94_4996
	s_branch .LBB94_4997
.LBB94_5751:
	v_mov_b32_e32 v5, 25
	v_cmp_gt_i16_sdwa s[46:47], v11, v5 src0_sel:BYTE_0 src1_sel:DWORD
	s_mov_b64 s[40:41], s[4:5]
	s_and_saveexec_b64 s[48:49], s[46:47]
	s_xor_b64 s[46:47], exec, s[48:49]
	s_cbranch_execz .LBB94_5787
; %bb.5752:
	v_mov_b32_e32 v5, 28
	v_cmp_gt_i16_sdwa s[38:39], v11, v5 src0_sel:BYTE_0 src1_sel:DWORD
	s_mov_b64 s[48:49], 0
	s_mov_b64 s[40:41], s[4:5]
	s_and_saveexec_b64 s[50:51], s[38:39]
	s_xor_b64 s[38:39], exec, s[50:51]
	s_cbranch_execz .LBB94_5770
; %bb.5753:
	v_mov_b32_e32 v5, 43
	v_cmp_gt_i16_sdwa s[40:41], v11, v5 src0_sel:BYTE_0 src1_sel:DWORD
	s_mov_b64 s[50:51], 0
	s_mov_b64 s[54:55], s[4:5]
	s_and_saveexec_b64 s[48:49], s[40:41]
	s_xor_b64 s[40:41], exec, s[48:49]
	s_cbranch_execz .LBB94_5765
; %bb.5754:
	v_mov_b32_e32 v5, 45
	s_mov_b64 s[48:49], s[6:7]
	v_cmp_gt_i16_sdwa s[6:7], v11, v5 src0_sel:BYTE_0 src1_sel:DWORD
	s_mov_b64 s[52:53], 0
	s_mov_b64 s[50:51], s[4:5]
	;; [unrolled: 1-line block ×3, first 2 shown]
	s_and_saveexec_b64 s[4:5], s[6:7]
	s_xor_b64 s[6:7], exec, s[4:5]
	s_cbranch_execz .LBB94_5758
; %bb.5755:
	v_mov_b32_e32 v5, 46
	v_cmp_eq_u16_sdwa s[56:57], v11, v5 src0_sel:BYTE_0 src1_sel:DWORD
	s_mov_b64 s[4:5], -1
	s_and_saveexec_b64 s[54:55], s[56:57]
	s_cbranch_execz .LBB94_5757
; %bb.5756:
	v_bfe_u32 v5, v4, 16, 1
	s_movk_i32 s4, 0x7fff
	v_add3_u32 v5, v4, v5, s4
	v_lshrrev_b32_e32 v5, 16, v5
	v_mov_b32_e32 v83, 0x7fc0
	v_cmp_o_f32_e64 s[4:5], v4, v4
	v_cndmask_b32_e64 v4, v83, v5, s[4:5]
	s_mov_b64 s[52:53], exec
	flat_store_dword v[2:3], v4
	s_xor_b64 s[4:5], exec, -1
.LBB94_5757:
	s_or_b64 exec, exec, s[54:55]
	s_andn2_b64 s[54:55], s[50:51], exec
	s_and_b64 s[4:5], s[4:5], exec
	s_or_b64 s[54:55], s[54:55], s[4:5]
	s_and_b64 s[52:53], s[52:53], exec
                                        ; implicit-def: $vgpr2_vgpr3
                                        ; implicit-def: $vgpr4
.LBB94_5758:
	s_andn2_saveexec_b64 s[56:57], s[6:7]
	s_cbranch_execz .LBB94_5764
; %bb.5759:
	v_mov_b32_e32 v5, 44
	v_cmp_eq_u16_sdwa s[60:61], v11, v5 src0_sel:BYTE_0 src1_sel:DWORD
	s_mov_b64 s[6:7], -1
	s_mov_b64 s[4:5], s[52:53]
	s_and_saveexec_b64 s[58:59], s[60:61]
	s_cbranch_execz .LBB94_5763
; %bb.5760:
	v_bfe_u32 v5, v4, 23, 8
	s_movk_i32 s4, 0xff
	v_cmp_ne_u32_e64 s[4:5], s4, v5
	v_mov_b32_e32 v83, 0xff
	s_and_saveexec_b64 s[60:61], s[4:5]
; %bb.5761:
	s_mov_b32 s6, 0x3fffff
	v_lshrrev_b32_e32 v83, 23, v4
	v_and_b32_e32 v84, 0x400000, v4
	v_and_or_b32 v4, v4, s6, v5
	v_cmp_ne_u32_e64 s[4:5], 0, v84
	v_cmp_ne_u32_e64 s[6:7], 0, v4
	s_and_b64 s[4:5], s[4:5], s[6:7]
	v_cndmask_b32_e64 v4, 0, 1, s[4:5]
	v_add_u32_e32 v83, v83, v4
; %bb.5762:
	s_or_b64 exec, exec, s[60:61]
	s_xor_b64 s[6:7], exec, -1
	s_or_b64 s[4:5], s[52:53], exec
	flat_store_byte v[2:3], v83
.LBB94_5763:
	s_or_b64 exec, exec, s[58:59]
	s_andn2_b64 s[54:55], s[54:55], exec
	s_and_b64 s[6:7], s[6:7], exec
	s_or_b64 s[54:55], s[54:55], s[6:7]
	s_andn2_b64 s[6:7], s[52:53], exec
	s_and_b64 s[4:5], s[4:5], exec
	s_or_b64 s[52:53], s[6:7], s[4:5]
.LBB94_5764:
	s_or_b64 exec, exec, s[56:57]
	s_mov_b64 s[4:5], s[50:51]
	s_andn2_b64 s[6:7], s[50:51], exec
	s_and_b64 s[50:51], s[54:55], exec
	s_or_b64 s[54:55], s[6:7], s[50:51]
	s_and_b64 s[50:51], s[52:53], exec
	s_mov_b64 s[6:7], s[48:49]
                                        ; implicit-def: $vgpr4
                                        ; implicit-def: $vgpr2_vgpr3
.LBB94_5765:
	s_andn2_saveexec_b64 s[40:41], s[40:41]
	s_cbranch_execz .LBB94_5769
; %bb.5766:
	v_mov_b32_e32 v5, 29
	v_cmp_eq_u16_sdwa s[58:59], v11, v5 src0_sel:BYTE_0 src1_sel:DWORD
	s_mov_b64 s[56:57], -1
	s_mov_b64 s[52:53], s[50:51]
	s_and_saveexec_b64 s[48:49], s[58:59]
	s_cbranch_execz .LBB94_5768
; %bb.5767:
	v_trunc_f32_e32 v4, v4
	v_mul_f32_e32 v5, 0x2f800000, v4
	v_floor_f32_e32 v83, v5
	v_fmac_f32_e32 v4, 0xcf800000, v83
	v_cvt_u32_f32_e32 v5, v83
	v_cvt_u32_f32_e32 v4, v4
	s_xor_b64 s[56:57], exec, -1
	s_or_b64 s[52:53], s[50:51], exec
	flat_store_dwordx2 v[2:3], v[4:5]
.LBB94_5768:
	s_or_b64 exec, exec, s[48:49]
	s_andn2_b64 s[48:49], s[54:55], exec
	s_and_b64 s[54:55], s[56:57], exec
	s_or_b64 s[54:55], s[48:49], s[54:55]
	s_andn2_b64 s[48:49], s[50:51], exec
	s_and_b64 s[50:51], s[52:53], exec
	s_or_b64 s[50:51], s[48:49], s[50:51]
.LBB94_5769:
	s_or_b64 exec, exec, s[40:41]
	s_andn2_b64 s[40:41], s[4:5], exec
	s_and_b64 s[48:49], s[54:55], exec
	s_or_b64 s[40:41], s[40:41], s[48:49]
	s_and_b64 s[48:49], s[50:51], exec
                                        ; implicit-def: $vgpr2_vgpr3
                                        ; implicit-def: $vgpr83
                                        ; implicit-def: $vgpr4
.LBB94_5770:
	s_andn2_saveexec_b64 s[38:39], s[38:39]
	s_cbranch_execz .LBB94_5786
; %bb.5771:
	v_mov_b32_e32 v5, 26
	v_cmp_gt_i16_sdwa s[50:51], v11, v5 src0_sel:BYTE_0 src1_sel:DWORD
	s_and_saveexec_b64 s[52:53], s[50:51]
	s_xor_b64 s[50:51], exec, s[52:53]
	s_cbranch_execz .LBB94_5777
; %bb.5772:
	v_cvt_u32_f32_e32 v4, v4
	v_mov_b32_e32 v5, 27
	v_cmp_gt_i16_sdwa s[52:53], v11, v5 src0_sel:BYTE_0 src1_sel:DWORD
	s_and_saveexec_b64 s[54:55], s[52:53]
	s_xor_b64 s[52:53], exec, s[54:55]
	s_cbranch_execz .LBB94_5774
; %bb.5773:
	flat_store_dword v[2:3], v4
                                        ; implicit-def: $vgpr2_vgpr3
                                        ; implicit-def: $vgpr4
.LBB94_5774:
	s_andn2_saveexec_b64 s[52:53], s[52:53]
	s_cbranch_execz .LBB94_5776
; %bb.5775:
	flat_store_short v[2:3], v4
.LBB94_5776:
	s_or_b64 exec, exec, s[52:53]
                                        ; implicit-def: $vgpr2_vgpr3
                                        ; implicit-def: $vgpr83
                                        ; implicit-def: $vgpr4
.LBB94_5777:
	s_andn2_saveexec_b64 s[50:51], s[50:51]
	s_cbranch_execz .LBB94_5785
; %bb.5778:
	s_mov_b64 s[52:53], s[4:5]
	v_cndmask_b32_e64 v83, |v0|, |v83|, vcc
	s_mov_b32 s4, 0x43800000
	v_cmp_gt_u32_e64 s[4:5], s4, v83
	v_mov_b32_e32 v84, 0x80
	s_and_saveexec_b64 s[54:55], s[4:5]
	s_cbranch_execz .LBB94_5784
; %bb.5779:
	s_mov_b32 s4, 0x3bffffff
	v_cmp_lt_u32_e64 s[4:5], s4, v83
	s_mov_b64 s[56:57], 0
                                        ; implicit-def: $vgpr5
	s_and_saveexec_b64 s[58:59], s[4:5]
	s_xor_b64 s[4:5], exec, s[58:59]
	s_cbranch_execnz .LBB94_6383
; %bb.5780:
	s_or_saveexec_b64 s[58:59], s[4:5]
                                        ; implicit-def: $sgpr60
	s_xor_b64 exec, exec, s[58:59]
	s_cbranch_execnz .LBB94_6384
.LBB94_5781:
	s_or_b64 exec, exec, s[58:59]
	v_mov_b32_e32 v84, s60
	s_and_saveexec_b64 s[4:5], s[56:57]
.LBB94_5782:
	v_lshrrev_b32_e32 v4, 24, v4
	s_movk_i32 s56, 0x80
	v_and_or_b32 v84, v4, s56, v5
.LBB94_5783:
	s_or_b64 exec, exec, s[4:5]
.LBB94_5784:
	s_or_b64 exec, exec, s[54:55]
	s_mov_b64 s[4:5], s[52:53]
	flat_store_byte v[2:3], v84
.LBB94_5785:
	s_or_b64 exec, exec, s[50:51]
	s_or_b64 s[48:49], s[48:49], exec
.LBB94_5786:
	s_or_b64 exec, exec, s[38:39]
	s_andn2_b64 s[38:39], s[4:5], exec
	s_and_b64 s[40:41], s[40:41], exec
	s_or_b64 s[40:41], s[38:39], s[40:41]
	s_and_b64 s[38:39], s[48:49], exec
                                        ; implicit-def: $vgpr4
                                        ; implicit-def: $vgpr2_vgpr3
                                        ; implicit-def: $vgpr83
.LBB94_5787:
	s_andn2_saveexec_b64 s[46:47], s[46:47]
	s_cbranch_execz .LBB94_5831
; %bb.5788:
	v_mov_b32_e32 v5, 22
	v_cmp_gt_i16_sdwa s[48:49], v11, v5 src0_sel:BYTE_0 src1_sel:DWORD
	s_mov_b64 s[50:51], s[38:39]
	s_and_saveexec_b64 s[52:53], s[48:49]
	s_xor_b64 s[48:49], exec, s[52:53]
	s_cbranch_execz .LBB94_5820
; %bb.5789:
	v_mov_b32_e32 v5, 23
	v_cmp_gt_i16_sdwa s[50:51], v11, v5 src0_sel:BYTE_0 src1_sel:DWORD
	s_and_saveexec_b64 s[52:53], s[50:51]
	s_xor_b64 s[50:51], exec, s[52:53]
	s_cbranch_execz .LBB94_5809
; %bb.5790:
	v_mov_b32_e32 v5, 24
	s_mov_b64 s[52:53], s[4:5]
	v_cmp_gt_i16_sdwa s[4:5], v11, v5 src0_sel:BYTE_0 src1_sel:DWORD
	s_and_saveexec_b64 s[54:55], s[4:5]
	s_xor_b64 s[54:55], exec, s[54:55]
	s_cbranch_execz .LBB94_5798
; %bb.5791:
	v_cndmask_b32_e64 v83, |v0|, |v83|, vcc
	s_mov_b32 s4, 0x47800000
	v_cmp_gt_u32_e64 s[4:5], s4, v83
	v_mov_b32_e32 v84, 0x80
	s_and_saveexec_b64 s[56:57], s[4:5]
	s_cbranch_execz .LBB94_5797
; %bb.5792:
	s_mov_b32 s4, 0x37ffffff
	v_cmp_lt_u32_e64 s[4:5], s4, v83
	s_mov_b64 s[58:59], 0
                                        ; implicit-def: $vgpr5
	s_and_saveexec_b64 s[60:61], s[4:5]
	s_xor_b64 s[4:5], exec, s[60:61]
	s_cbranch_execnz .LBB94_6507
; %bb.5793:
	s_or_saveexec_b64 s[60:61], s[4:5]
                                        ; implicit-def: $sgpr62
	s_xor_b64 exec, exec, s[60:61]
	s_cbranch_execnz .LBB94_6508
.LBB94_5794:
	s_or_b64 exec, exec, s[60:61]
	v_mov_b32_e32 v84, s62
	s_and_saveexec_b64 s[4:5], s[58:59]
.LBB94_5795:
	v_lshrrev_b32_e32 v4, 24, v4
	s_movk_i32 s58, 0x80
	v_and_or_b32 v84, v4, s58, v5
.LBB94_5796:
	s_or_b64 exec, exec, s[4:5]
.LBB94_5797:
	s_or_b64 exec, exec, s[56:57]
	flat_store_byte v[2:3], v84
                                        ; implicit-def: $vgpr4
                                        ; implicit-def: $vgpr2_vgpr3
                                        ; implicit-def: $vgpr83
.LBB94_5798:
	s_andn2_saveexec_b64 s[54:55], s[54:55]
	s_cbranch_execz .LBB94_5808
; %bb.5799:
	v_cndmask_b32_e64 v83, |v0|, |v83|, vcc
	s_mov_b32 s4, 0x43f00000
	v_cmp_gt_u32_e64 s[4:5], s4, v83
                                        ; implicit-def: $vgpr5
	s_and_saveexec_b64 s[56:57], s[4:5]
	s_xor_b64 s[56:57], exec, s[56:57]
	s_cbranch_execz .LBB94_5805
; %bb.5800:
	s_mov_b32 s4, 0x3c7fffff
	v_cmp_lt_u32_e64 s[4:5], s4, v83
                                        ; implicit-def: $vgpr5
	s_and_saveexec_b64 s[58:59], s[4:5]
	s_xor_b64 s[58:59], exec, s[58:59]
; %bb.5801:
	v_bfe_u32 v5, v4, 20, 1
	s_mov_b32 s4, 0x407ffff
	v_add3_u32 v5, v4, v5, s4
	v_lshrrev_b32_e32 v83, 20, v5
	v_and_b32_e32 v5, 0xff00000, v5
	s_mov_b32 s4, 0x7f00000
	v_mov_b32_e32 v84, 0x7e
	v_cmp_ne_u32_e64 s[4:5], s4, v5
	v_cndmask_b32_e64 v5, v84, v83, s[4:5]
                                        ; implicit-def: $vgpr83
; %bb.5802:
	s_andn2_saveexec_b64 s[4:5], s[58:59]
; %bb.5803:
	v_add_f32_e32 v5, 0x46800000, v83
; %bb.5804:
	s_or_b64 exec, exec, s[4:5]
                                        ; implicit-def: $vgpr83
.LBB94_5805:
	s_andn2_saveexec_b64 s[56:57], s[56:57]
; %bb.5806:
	s_mov_b32 s4, 0x7f800000
	v_mov_b32_e32 v5, 0x7e
	v_mov_b32_e32 v84, 0x7f
	v_cmp_lt_u32_e64 s[4:5], s4, v83
	v_cndmask_b32_e64 v5, v5, v84, s[4:5]
; %bb.5807:
	s_or_b64 exec, exec, s[56:57]
	v_lshrrev_b32_e32 v4, 24, v4
	s_movk_i32 s4, 0x80
	v_and_or_b32 v4, v4, s4, v5
	flat_store_byte v[2:3], v4
.LBB94_5808:
	s_or_b64 exec, exec, s[54:55]
	s_mov_b64 s[4:5], s[52:53]
                                        ; implicit-def: $vgpr4
                                        ; implicit-def: $vgpr2_vgpr3
                                        ; implicit-def: $vgpr83
.LBB94_5809:
	s_andn2_saveexec_b64 s[50:51], s[50:51]
	s_cbranch_execz .LBB94_5819
; %bb.5810:
	v_cndmask_b32_e64 v83, |v0|, |v83|, vcc
	s_mov_b32 vcc_lo, 0x47800000
	v_cmp_gt_u32_e32 vcc, vcc_lo, v83
                                        ; implicit-def: $vgpr5
	s_and_saveexec_b64 s[52:53], vcc
	s_xor_b64 s[52:53], exec, s[52:53]
	s_cbranch_execz .LBB94_5816
; %bb.5811:
	s_mov_b32 vcc_lo, 0x387fffff
	v_cmp_lt_u32_e32 vcc, vcc_lo, v83
                                        ; implicit-def: $vgpr5
	s_and_saveexec_b64 s[54:55], vcc
	s_xor_b64 vcc, exec, s[54:55]
; %bb.5812:
	v_bfe_u32 v5, v4, 21, 1
	s_mov_b32 s54, 0x80fffff
	v_add3_u32 v5, v4, v5, s54
	v_lshrrev_b32_e32 v5, 21, v5
                                        ; implicit-def: $vgpr83
; %bb.5813:
	s_andn2_saveexec_b64 vcc, vcc
; %bb.5814:
	v_add_f32_e32 v5, 0x43000000, v83
; %bb.5815:
	s_or_b64 exec, exec, vcc
                                        ; implicit-def: $vgpr83
.LBB94_5816:
	s_andn2_saveexec_b64 s[52:53], s[52:53]
; %bb.5817:
	s_mov_b32 vcc_lo, 0x7f800000
	v_mov_b32_e32 v5, 0x7c
	v_mov_b32_e32 v84, 0x7f
	v_cmp_lt_u32_e32 vcc, vcc_lo, v83
	v_cndmask_b32_e32 v5, v5, v84, vcc
; %bb.5818:
	s_or_b64 exec, exec, s[52:53]
	v_lshrrev_b32_e32 v4, 24, v4
	s_movk_i32 vcc_lo, 0x80
	v_and_or_b32 v4, v4, vcc_lo, v5
	flat_store_byte v[2:3], v4
.LBB94_5819:
	s_or_b64 exec, exec, s[50:51]
	s_or_b64 s[50:51], s[38:39], exec
                                        ; implicit-def: $vgpr4
                                        ; implicit-def: $vgpr2_vgpr3
.LBB94_5820:
	s_or_saveexec_b64 s[48:49], s[48:49]
	s_mov_b64 vcc, s[40:41]
	s_xor_b64 exec, exec, s[48:49]
	s_cbranch_execz .LBB94_5830
; %bb.5821:
	v_mov_b32_e32 v5, 14
	v_cmp_gt_i16_sdwa vcc, v11, v5 src0_sel:BYTE_0 src1_sel:DWORD
	s_mov_b64 s[52:53], s[50:51]
	s_mov_b64 s[54:55], s[40:41]
	s_and_saveexec_b64 s[56:57], vcc
	s_xor_b64 s[56:57], exec, s[56:57]
	s_cbranch_execz .LBB94_5825
; %bb.5822:
	v_mov_b32_e32 v5, 15
	v_cmp_eq_u16_sdwa s[58:59], v11, v5 src0_sel:BYTE_0 src1_sel:DWORD
	s_mov_b64 s[54:55], -1
	s_mov_b64 vcc, s[50:51]
	s_and_saveexec_b64 s[52:53], s[58:59]
	s_cbranch_execz .LBB94_5824
; %bb.5823:
	v_bfe_u32 v5, v4, 16, 1
	s_movk_i32 vcc_lo, 0x7fff
	v_add3_u32 v5, v4, v5, vcc_lo
	v_lshrrev_b32_e32 v5, 16, v5
	v_mov_b32_e32 v83, 0x7fc0
	v_cmp_o_f32_e32 vcc, v4, v4
	v_cndmask_b32_e32 v4, v83, v5, vcc
	flat_store_short v[2:3], v4
	s_xor_b64 s[54:55], exec, -1
	s_or_b64 vcc, s[50:51], exec
.LBB94_5824:
	s_or_b64 exec, exec, s[52:53]
	s_andn2_b64 s[52:53], s[40:41], exec
	s_and_b64 s[54:55], s[54:55], exec
	s_or_b64 s[54:55], s[52:53], s[54:55]
	s_andn2_b64 s[52:53], s[50:51], exec
	s_and_b64 vcc, vcc, exec
	s_or_b64 s[52:53], s[52:53], vcc
                                        ; implicit-def: $vgpr4
                                        ; implicit-def: $vgpr2_vgpr3
.LBB94_5825:
	s_andn2_saveexec_b64 s[56:57], s[56:57]
	s_cbranch_execz .LBB94_5829
; %bb.5826:
	v_mov_b32_e32 v5, 11
	v_cmp_eq_u16_sdwa s[62:63], v11, v5 src0_sel:BYTE_0 src1_sel:DWORD
	s_mov_b64 s[58:59], -1
	s_mov_b64 vcc, s[52:53]
	s_and_saveexec_b64 s[60:61], s[62:63]
	s_cbranch_execz .LBB94_5828
; %bb.5827:
	v_cmp_neq_f32_e32 vcc, 0, v4
	v_cndmask_b32_e64 v4, 0, 1, vcc
	flat_store_byte v[2:3], v4
	s_xor_b64 s[58:59], exec, -1
	s_or_b64 vcc, s[52:53], exec
.LBB94_5828:
	s_or_b64 exec, exec, s[60:61]
	s_andn2_b64 s[54:55], s[54:55], exec
	s_and_b64 s[58:59], s[58:59], exec
	s_andn2_b64 s[52:53], s[52:53], exec
	s_and_b64 vcc, vcc, exec
	s_or_b64 s[54:55], s[54:55], s[58:59]
	s_or_b64 s[52:53], s[52:53], vcc
.LBB94_5829:
	s_or_b64 exec, exec, s[56:57]
	s_andn2_b64 vcc, s[40:41], exec
	s_and_b64 s[54:55], s[54:55], exec
	s_andn2_b64 s[50:51], s[50:51], exec
	s_and_b64 s[52:53], s[52:53], exec
	s_or_b64 vcc, vcc, s[54:55]
	s_or_b64 s[50:51], s[50:51], s[52:53]
.LBB94_5830:
	s_or_b64 exec, exec, s[48:49]
	s_andn2_b64 s[40:41], s[40:41], exec
	s_and_b64 vcc, vcc, exec
	s_or_b64 s[40:41], s[40:41], vcc
	s_andn2_b64 vcc, s[38:39], exec
	s_and_b64 s[38:39], s[50:51], exec
	s_or_b64 s[38:39], vcc, s[38:39]
.LBB94_5831:
	s_or_b64 exec, exec, s[46:47]
	s_andn2_b64 vcc, s[4:5], exec
	s_and_b64 s[40:41], s[40:41], exec
	s_or_b64 s[40:41], vcc, s[40:41]
	s_and_b64 s[38:39], s[38:39], exec
                                        ; implicit-def: $vgpr4
                                        ; implicit-def: $vgpr2_vgpr3
	s_andn2_saveexec_b64 s[34:35], s[34:35]
	s_cbranch_execz .LBB94_3828
.LBB94_5832:
	v_mov_b32_e32 v5, 4
	v_cmp_gt_i16_sdwa vcc, v11, v5 src0_sel:BYTE_0 src1_sel:DWORD
	s_and_saveexec_b64 s[46:47], vcc
	s_xor_b64 vcc, exec, s[46:47]
	s_cbranch_execz .LBB94_5854
; %bb.5833:
	v_mov_b32_e32 v5, 7
	v_cmp_gt_i16_sdwa s[46:47], v11, v5 src0_sel:BYTE_0 src1_sel:DWORD
	s_and_saveexec_b64 s[48:49], s[46:47]
	s_xor_b64 s[46:47], exec, s[48:49]
	s_cbranch_execz .LBB94_5843
; %bb.5834:
	v_mov_b32_e32 v5, 8
	v_cmp_gt_i16_sdwa s[48:49], v11, v5 src0_sel:BYTE_0 src1_sel:DWORD
	s_and_saveexec_b64 s[50:51], s[48:49]
	s_xor_b64 s[48:49], exec, s[50:51]
	;; [unrolled: 6-line block ×3, first 2 shown]
	s_cbranch_execz .LBB94_5837
; %bb.5836:
	v_mov_b32_e32 v86, 0
	v_cvt_f64_f32_e32 v[84:85], v4
	v_mov_b32_e32 v87, v86
	flat_store_dwordx4 v[2:3], v[84:87]
                                        ; implicit-def: $vgpr4
                                        ; implicit-def: $vgpr2_vgpr3
.LBB94_5837:
	s_andn2_saveexec_b64 s[50:51], s[50:51]
	s_cbranch_execz .LBB94_5839
; %bb.5838:
	v_mov_b32_e32 v5, 0
	flat_store_dwordx2 v[2:3], v[4:5]
.LBB94_5839:
	s_or_b64 exec, exec, s[50:51]
                                        ; implicit-def: $vgpr4
                                        ; implicit-def: $vgpr2_vgpr3
.LBB94_5840:
	s_andn2_saveexec_b64 s[48:49], s[48:49]
	s_cbranch_execz .LBB94_5842
; %bb.5841:
	v_cvt_f16_f32_e32 v4, v4
	flat_store_dword v[2:3], v4
.LBB94_5842:
	s_or_b64 exec, exec, s[48:49]
                                        ; implicit-def: $vgpr4
                                        ; implicit-def: $vgpr2_vgpr3
.LBB94_5843:
	s_andn2_saveexec_b64 s[46:47], s[46:47]
	s_cbranch_execz .LBB94_5853
; %bb.5844:
	v_mov_b32_e32 v5, 5
	v_cmp_gt_i16_sdwa s[48:49], v11, v5 src0_sel:BYTE_0 src1_sel:DWORD
	s_and_saveexec_b64 s[50:51], s[48:49]
	s_xor_b64 s[48:49], exec, s[50:51]
	s_cbranch_execz .LBB94_5850
; %bb.5845:
	v_mov_b32_e32 v5, 6
	v_cmp_gt_i16_sdwa s[50:51], v11, v5 src0_sel:BYTE_0 src1_sel:DWORD
	s_and_saveexec_b64 s[52:53], s[50:51]
	s_xor_b64 s[50:51], exec, s[52:53]
	s_cbranch_execz .LBB94_5847
; %bb.5846:
	v_cvt_f64_f32_e32 v[4:5], v4
	flat_store_dwordx2 v[2:3], v[4:5]
                                        ; implicit-def: $vgpr2_vgpr3
                                        ; implicit-def: $vgpr4
.LBB94_5847:
	s_andn2_saveexec_b64 s[50:51], s[50:51]
	s_cbranch_execz .LBB94_5849
; %bb.5848:
	flat_store_dword v[2:3], v4
.LBB94_5849:
	s_or_b64 exec, exec, s[50:51]
                                        ; implicit-def: $vgpr4
                                        ; implicit-def: $vgpr2_vgpr3
.LBB94_5850:
	s_andn2_saveexec_b64 s[48:49], s[48:49]
	s_cbranch_execz .LBB94_5852
; %bb.5851:
	v_cvt_f16_f32_e32 v4, v4
	flat_store_short v[2:3], v4
.LBB94_5852:
	s_or_b64 exec, exec, s[48:49]
.LBB94_5853:
	s_or_b64 exec, exec, s[46:47]
                                        ; implicit-def: $vgpr4
                                        ; implicit-def: $vgpr2_vgpr3
.LBB94_5854:
	s_andn2_saveexec_b64 s[46:47], vcc
	s_cbranch_execz .LBB94_5872
; %bb.5855:
	v_mov_b32_e32 v5, 1
	v_cmp_gt_i16_sdwa vcc, v11, v5 src0_sel:BYTE_0 src1_sel:DWORD
	s_and_saveexec_b64 s[48:49], vcc
	s_xor_b64 s[48:49], exec, s[48:49]
	s_cbranch_execz .LBB94_5865
; %bb.5856:
	v_mov_b32_e32 v5, 2
	v_cmp_gt_i16_sdwa vcc, v11, v5 src0_sel:BYTE_0 src1_sel:DWORD
	s_and_saveexec_b64 s[50:51], vcc
	s_xor_b64 s[50:51], exec, s[50:51]
	;; [unrolled: 6-line block ×3, first 2 shown]
	s_cbranch_execz .LBB94_5859
; %bb.5858:
	v_trunc_f32_e32 v4, v4
	s_mov_b32 s54, 0x2f800000
	v_mul_f32_e64 v5, |v4|, s54
	v_floor_f32_e32 v5, v5
	s_mov_b32 s54, 0xcf800000
	v_cvt_u32_f32_e32 v83, v5
	v_fma_f32 v5, v5, s54, |v4|
	v_cvt_u32_f32_e32 v5, v5
	v_ashrrev_i32_e32 v84, 31, v4
	v_xor_b32_e32 v83, v83, v84
	v_xor_b32_e32 v4, v5, v84
	v_sub_co_u32_e32 v4, vcc, v4, v84
	v_subb_co_u32_e32 v5, vcc, v83, v84, vcc
	flat_store_dwordx2 v[2:3], v[4:5]
                                        ; implicit-def: $vgpr4
                                        ; implicit-def: $vgpr2_vgpr3
.LBB94_5859:
	s_andn2_saveexec_b64 vcc, s[52:53]
	s_cbranch_execz .LBB94_5861
; %bb.5860:
	v_cvt_i32_f32_e32 v4, v4
	flat_store_dword v[2:3], v4
.LBB94_5861:
	s_or_b64 exec, exec, vcc
                                        ; implicit-def: $vgpr4
                                        ; implicit-def: $vgpr2_vgpr3
.LBB94_5862:
	s_andn2_saveexec_b64 vcc, s[50:51]
	s_cbranch_execz .LBB94_5864
; %bb.5863:
	v_cvt_i32_f32_e32 v4, v4
	flat_store_short v[2:3], v4
.LBB94_5864:
	s_or_b64 exec, exec, vcc
                                        ; implicit-def: $vgpr4
                                        ; implicit-def: $vgpr2_vgpr3
.LBB94_5865:
	s_andn2_saveexec_b64 vcc, s[48:49]
	s_cbranch_execz .LBB94_5871
; %bb.5866:
	v_mov_b32_e32 v5, 0
	v_cmp_gt_i16_sdwa s[48:49], v11, v5 src0_sel:BYTE_0 src1_sel:DWORD
	s_and_saveexec_b64 s[50:51], s[48:49]
	s_xor_b64 s[48:49], exec, s[50:51]
	s_cbranch_execz .LBB94_5868
; %bb.5867:
	v_cvt_i32_f32_e32 v4, v4
	flat_store_byte v[2:3], v4
                                        ; implicit-def: $vgpr4
                                        ; implicit-def: $vgpr2_vgpr3
.LBB94_5868:
	s_andn2_saveexec_b64 s[48:49], s[48:49]
	s_cbranch_execz .LBB94_5870
; %bb.5869:
	v_trunc_f32_e32 v4, v4
	s_mov_b32 s50, 0x2f800000
	v_mul_f32_e64 v5, |v4|, s50
	v_floor_f32_e32 v5, v5
	s_mov_b32 s50, 0xcf800000
	v_fma_f32 v5, v5, s50, |v4|
	v_cvt_u32_f32_e32 v5, v5
	v_ashrrev_i32_e32 v4, 31, v4
	v_xor_b32_e32 v5, v5, v4
	v_sub_u32_e32 v4, v5, v4
	flat_store_byte v[2:3], v4
.LBB94_5870:
	s_or_b64 exec, exec, s[48:49]
.LBB94_5871:
	s_or_b64 exec, exec, vcc
.LBB94_5872:
	s_or_b64 exec, exec, s[46:47]
	s_or_b64 s[38:39], s[38:39], exec
	s_or_b64 exec, exec, s[34:35]
	s_mov_b64 vcc, 0
	s_and_saveexec_b64 s[34:35], s[38:39]
	s_cbranch_execnz .LBB94_3829
	s_branch .LBB94_3830
.LBB94_5873:
	v_bfe_u32 v5, v4, 21, 1
	s_mov_b32 s36, 0x88fffff
	v_add3_u32 v5, v4, v5, s36
	s_mov_b64 s[34:35], exec
	v_lshrrev_b32_e32 v5, 21, v5
                                        ; implicit-def: $vgpr103
	s_or_saveexec_b64 s[36:37], s[4:5]
                                        ; implicit-def: $sgpr38
	s_xor_b64 exec, exec, s[36:37]
	s_cbranch_execz .LBB94_5008
.LBB94_5874:
	v_add_f32_e32 v5, 0x42800000, v103
	v_and_b32_e32 v5, 0xff, v5
	v_cmp_ne_u32_e64 s[4:5], 0, v5
	s_andn2_b64 s[34:35], s[34:35], exec
	s_and_b64 s[4:5], s[4:5], exec
	s_mov_b32 s38, 0
	s_or_b64 s[34:35], s[34:35], s[4:5]
	s_or_b64 exec, exec, s[36:37]
	v_mov_b32_e32 v112, s38
	s_and_saveexec_b64 s[4:5], s[34:35]
	s_cbranch_execnz .LBB94_5009
	s_branch .LBB94_5010
.LBB94_5875:
	v_bfe_u32 v5, v4, 20, 1
	s_mov_b32 s38, 0x487ffff
	v_add3_u32 v5, v4, v5, s38
	s_mov_b64 s[36:37], exec
	v_lshrrev_b32_e32 v5, 20, v5
                                        ; implicit-def: $vgpr101
	s_or_saveexec_b64 s[38:39], s[4:5]
                                        ; implicit-def: $sgpr40
	s_xor_b64 exec, exec, s[38:39]
	s_cbranch_execz .LBB94_5117
.LBB94_5876:
	v_add_f32_e32 v5, 0x46000000, v101
	v_and_b32_e32 v5, 0xff, v5
	v_cmp_ne_u32_e64 s[4:5], 0, v5
	s_andn2_b64 s[36:37], s[36:37], exec
	s_and_b64 s[4:5], s[4:5], exec
	s_mov_b32 s40, 0
	s_or_b64 s[36:37], s[36:37], s[4:5]
	s_or_b64 exec, exec, s[38:39]
	v_mov_b32_e32 v102, s40
	s_and_saveexec_b64 s[4:5], s[36:37]
	s_cbranch_execnz .LBB94_5118
	s_branch .LBB94_5119
.LBB94_5877:
	v_mov_b32_e32 v5, 25
	v_cmp_gt_i16_sdwa s[48:49], v11, v5 src0_sel:BYTE_0 src1_sel:DWORD
	s_mov_b64 s[46:47], s[34:35]
	s_and_saveexec_b64 s[50:51], s[48:49]
	s_xor_b64 s[48:49], exec, s[50:51]
	s_cbranch_execz .LBB94_5913
; %bb.5878:
	v_mov_b32_e32 v5, 28
	v_cmp_gt_i16_sdwa s[40:41], v11, v5 src0_sel:BYTE_0 src1_sel:DWORD
	s_mov_b64 s[52:53], 0
	s_mov_b64 s[54:55], s[34:35]
	s_and_saveexec_b64 s[46:47], s[40:41]
	s_xor_b64 s[40:41], exec, s[46:47]
	s_cbranch_execz .LBB94_5896
; %bb.5879:
	v_mov_b32_e32 v5, 43
	s_mov_b64 s[46:47], s[4:5]
	s_mov_b64 s[50:51], s[6:7]
	v_cmp_gt_i16_sdwa s[52:53], v11, v5 src0_sel:BYTE_0 src1_sel:DWORD
	s_mov_b64 s[4:5], 0
	s_mov_b64 s[6:7], s[34:35]
	s_and_saveexec_b64 s[54:55], s[52:53]
	s_xor_b64 s[52:53], exec, s[54:55]
	s_cbranch_execz .LBB94_5891
; %bb.5880:
	v_mov_b32_e32 v5, 45
	v_cmp_gt_i16_sdwa s[4:5], v11, v5 src0_sel:BYTE_0 src1_sel:DWORD
	s_mov_b64 s[54:55], 0
	s_mov_b64 s[56:57], s[34:35]
	s_and_saveexec_b64 s[6:7], s[4:5]
	s_xor_b64 s[6:7], exec, s[6:7]
	s_cbranch_execz .LBB94_5884
; %bb.5881:
	v_mov_b32_e32 v5, 46
	v_cmp_eq_u16_sdwa s[58:59], v11, v5 src0_sel:BYTE_0 src1_sel:DWORD
	s_mov_b64 s[4:5], -1
	s_and_saveexec_b64 s[56:57], s[58:59]
	s_cbranch_execz .LBB94_5883
; %bb.5882:
	v_bfe_u32 v5, v4, 16, 1
	s_movk_i32 s4, 0x7fff
	v_add3_u32 v5, v4, v5, s4
	v_lshrrev_b32_e32 v5, 16, v5
	v_mov_b32_e32 v81, 0x7fc0
	v_cmp_o_f32_e64 s[4:5], v4, v4
	v_cndmask_b32_e64 v4, v81, v5, s[4:5]
	s_mov_b64 s[54:55], exec
	flat_store_dword v[2:3], v4
	s_xor_b64 s[4:5], exec, -1
.LBB94_5883:
	s_or_b64 exec, exec, s[56:57]
	s_andn2_b64 s[56:57], s[34:35], exec
	s_and_b64 s[4:5], s[4:5], exec
	s_or_b64 s[56:57], s[56:57], s[4:5]
	s_and_b64 s[54:55], s[54:55], exec
                                        ; implicit-def: $vgpr2_vgpr3
                                        ; implicit-def: $vgpr4
.LBB94_5884:
	s_andn2_saveexec_b64 s[58:59], s[6:7]
	s_cbranch_execz .LBB94_5890
; %bb.5885:
	v_mov_b32_e32 v5, 44
	v_cmp_eq_u16_sdwa s[62:63], v11, v5 src0_sel:BYTE_0 src1_sel:DWORD
	s_mov_b64 s[6:7], -1
	s_mov_b64 s[4:5], s[54:55]
	s_and_saveexec_b64 s[60:61], s[62:63]
	s_cbranch_execz .LBB94_5889
; %bb.5886:
	v_bfe_u32 v5, v4, 23, 8
	s_movk_i32 s4, 0xff
	v_cmp_ne_u32_e64 s[4:5], s4, v5
	v_mov_b32_e32 v81, 0xff
	s_and_saveexec_b64 s[62:63], s[4:5]
; %bb.5887:
	s_mov_b32 s6, 0x3fffff
	v_lshrrev_b32_e32 v81, 23, v4
	v_and_b32_e32 v82, 0x400000, v4
	v_and_or_b32 v4, v4, s6, v5
	v_cmp_ne_u32_e64 s[4:5], 0, v82
	v_cmp_ne_u32_e64 s[6:7], 0, v4
	s_and_b64 s[4:5], s[4:5], s[6:7]
	v_cndmask_b32_e64 v4, 0, 1, s[4:5]
	v_add_u32_e32 v81, v81, v4
; %bb.5888:
	s_or_b64 exec, exec, s[62:63]
	s_xor_b64 s[6:7], exec, -1
	s_or_b64 s[4:5], s[54:55], exec
	flat_store_byte v[2:3], v81
.LBB94_5889:
	s_or_b64 exec, exec, s[60:61]
	s_andn2_b64 s[56:57], s[56:57], exec
	s_and_b64 s[6:7], s[6:7], exec
	s_or_b64 s[56:57], s[56:57], s[6:7]
	s_andn2_b64 s[6:7], s[54:55], exec
	s_and_b64 s[4:5], s[4:5], exec
	s_or_b64 s[54:55], s[6:7], s[4:5]
.LBB94_5890:
	s_or_b64 exec, exec, s[58:59]
	s_andn2_b64 s[4:5], s[34:35], exec
	s_and_b64 s[6:7], s[56:57], exec
	s_or_b64 s[6:7], s[4:5], s[6:7]
	s_and_b64 s[4:5], s[54:55], exec
                                        ; implicit-def: $vgpr4
                                        ; implicit-def: $vgpr2_vgpr3
.LBB94_5891:
	s_andn2_saveexec_b64 s[52:53], s[52:53]
	s_cbranch_execz .LBB94_5895
; %bb.5892:
	v_mov_b32_e32 v5, 29
	v_cmp_eq_u16_sdwa s[60:61], v11, v5 src0_sel:BYTE_0 src1_sel:DWORD
	s_mov_b64 s[58:59], -1
	s_mov_b64 s[56:57], s[4:5]
	s_and_saveexec_b64 s[54:55], s[60:61]
	s_cbranch_execz .LBB94_5894
; %bb.5893:
	v_trunc_f32_e32 v4, v4
	v_mul_f32_e32 v5, 0x2f800000, v4
	v_floor_f32_e32 v81, v5
	v_fmac_f32_e32 v4, 0xcf800000, v81
	v_cvt_u32_f32_e32 v5, v81
	v_cvt_u32_f32_e32 v4, v4
	s_xor_b64 s[58:59], exec, -1
	s_or_b64 s[56:57], s[4:5], exec
	flat_store_dwordx2 v[2:3], v[4:5]
.LBB94_5894:
	s_or_b64 exec, exec, s[54:55]
	s_andn2_b64 s[6:7], s[6:7], exec
	s_and_b64 s[54:55], s[58:59], exec
	s_or_b64 s[6:7], s[6:7], s[54:55]
	s_andn2_b64 s[4:5], s[4:5], exec
	s_and_b64 s[54:55], s[56:57], exec
	s_or_b64 s[4:5], s[4:5], s[54:55]
.LBB94_5895:
	s_or_b64 exec, exec, s[52:53]
	s_andn2_b64 s[52:53], s[34:35], exec
	s_and_b64 s[6:7], s[6:7], exec
	s_or_b64 s[54:55], s[52:53], s[6:7]
	s_and_b64 s[52:53], s[4:5], exec
	s_mov_b64 s[6:7], s[50:51]
	s_mov_b64 s[4:5], s[46:47]
                                        ; implicit-def: $vgpr2_vgpr3
                                        ; implicit-def: $vgpr81
                                        ; implicit-def: $vgpr4
.LBB94_5896:
	s_andn2_saveexec_b64 s[40:41], s[40:41]
	s_cbranch_execz .LBB94_5912
; %bb.5897:
	v_mov_b32_e32 v5, 26
	s_mov_b64 s[46:47], s[4:5]
	v_cmp_gt_i16_sdwa s[4:5], v11, v5 src0_sel:BYTE_0 src1_sel:DWORD
	s_and_saveexec_b64 s[50:51], s[4:5]
	s_xor_b64 s[4:5], exec, s[50:51]
	s_cbranch_execz .LBB94_5903
; %bb.5898:
	v_cvt_u32_f32_e32 v4, v4
	v_mov_b32_e32 v5, 27
	v_cmp_gt_i16_sdwa s[50:51], v11, v5 src0_sel:BYTE_0 src1_sel:DWORD
	s_and_saveexec_b64 s[56:57], s[50:51]
	s_xor_b64 s[50:51], exec, s[56:57]
	s_cbranch_execz .LBB94_5900
; %bb.5899:
	flat_store_dword v[2:3], v4
                                        ; implicit-def: $vgpr2_vgpr3
                                        ; implicit-def: $vgpr4
.LBB94_5900:
	s_andn2_saveexec_b64 s[50:51], s[50:51]
	s_cbranch_execz .LBB94_5902
; %bb.5901:
	flat_store_short v[2:3], v4
.LBB94_5902:
	s_or_b64 exec, exec, s[50:51]
                                        ; implicit-def: $vgpr2_vgpr3
                                        ; implicit-def: $vgpr81
                                        ; implicit-def: $vgpr4
.LBB94_5903:
	s_andn2_saveexec_b64 s[50:51], s[4:5]
	s_cbranch_execz .LBB94_5911
; %bb.5904:
	v_cndmask_b32_e64 v81, |v0|, |v81|, vcc
	s_mov_b32 s4, 0x43800000
	v_cmp_gt_u32_e64 s[4:5], s4, v81
	v_mov_b32_e32 v82, 0x80
	s_and_saveexec_b64 s[56:57], s[4:5]
	s_cbranch_execz .LBB94_5910
; %bb.5905:
	s_mov_b32 s4, 0x3bffffff
	v_cmp_lt_u32_e64 s[4:5], s4, v81
	s_mov_b64 s[58:59], 0
                                        ; implicit-def: $vgpr5
	s_and_saveexec_b64 s[60:61], s[4:5]
	s_xor_b64 s[4:5], exec, s[60:61]
	s_cbranch_execnz .LBB94_6509
; %bb.5906:
	s_or_saveexec_b64 s[60:61], s[4:5]
                                        ; implicit-def: $sgpr62
	s_xor_b64 exec, exec, s[60:61]
	s_cbranch_execnz .LBB94_6510
.LBB94_5907:
	s_or_b64 exec, exec, s[60:61]
	v_mov_b32_e32 v82, s62
	s_and_saveexec_b64 s[4:5], s[58:59]
.LBB94_5908:
	v_lshrrev_b32_e32 v4, 24, v4
	s_movk_i32 s58, 0x80
	v_and_or_b32 v82, v4, s58, v5
.LBB94_5909:
	s_or_b64 exec, exec, s[4:5]
.LBB94_5910:
	s_or_b64 exec, exec, s[56:57]
	flat_store_byte v[2:3], v82
.LBB94_5911:
	s_or_b64 exec, exec, s[50:51]
	s_or_b64 s[52:53], s[52:53], exec
	s_mov_b64 s[4:5], s[46:47]
.LBB94_5912:
	s_or_b64 exec, exec, s[40:41]
	s_andn2_b64 s[40:41], s[34:35], exec
	s_and_b64 s[46:47], s[54:55], exec
	s_or_b64 s[46:47], s[40:41], s[46:47]
	s_and_b64 s[40:41], s[52:53], exec
                                        ; implicit-def: $vgpr4
                                        ; implicit-def: $vgpr2_vgpr3
                                        ; implicit-def: $vgpr81
.LBB94_5913:
	s_andn2_saveexec_b64 s[48:49], s[48:49]
	s_cbranch_execz .LBB94_5957
; %bb.5914:
	v_mov_b32_e32 v5, 22
	v_cmp_gt_i16_sdwa s[50:51], v11, v5 src0_sel:BYTE_0 src1_sel:DWORD
	s_mov_b64 s[54:55], s[40:41]
	s_and_saveexec_b64 s[52:53], s[50:51]
	s_xor_b64 s[50:51], exec, s[52:53]
	s_cbranch_execz .LBB94_5946
; %bb.5915:
	v_mov_b32_e32 v5, 23
	s_mov_b64 s[52:53], s[4:5]
	v_cmp_gt_i16_sdwa s[4:5], v11, v5 src0_sel:BYTE_0 src1_sel:DWORD
	s_and_saveexec_b64 s[54:55], s[4:5]
	s_xor_b64 s[54:55], exec, s[54:55]
	s_cbranch_execz .LBB94_5935
; %bb.5916:
	v_mov_b32_e32 v5, 24
	v_cmp_gt_i16_sdwa s[4:5], v11, v5 src0_sel:BYTE_0 src1_sel:DWORD
	s_and_saveexec_b64 s[56:57], s[4:5]
	s_xor_b64 s[56:57], exec, s[56:57]
	s_cbranch_execz .LBB94_5924
; %bb.5917:
	v_cndmask_b32_e64 v81, |v0|, |v81|, vcc
	s_mov_b32 s4, 0x47800000
	v_cmp_gt_u32_e64 s[4:5], s4, v81
	v_mov_b32_e32 v82, 0x80
	s_and_saveexec_b64 s[58:59], s[4:5]
	s_cbranch_execz .LBB94_5923
; %bb.5918:
	s_mov_b32 s4, 0x37ffffff
	v_cmp_lt_u32_e64 s[4:5], s4, v81
	s_mov_b64 s[60:61], 0
                                        ; implicit-def: $vgpr5
	s_and_saveexec_b64 s[62:63], s[4:5]
	s_xor_b64 s[4:5], exec, s[62:63]
	s_cbranch_execnz .LBB94_6633
; %bb.5919:
	s_or_saveexec_b64 s[62:63], s[4:5]
                                        ; implicit-def: $sgpr64
	s_xor_b64 exec, exec, s[62:63]
	s_cbranch_execnz .LBB94_6634
.LBB94_5920:
	s_or_b64 exec, exec, s[62:63]
	v_mov_b32_e32 v82, s64
	s_and_saveexec_b64 s[4:5], s[60:61]
.LBB94_5921:
	v_lshrrev_b32_e32 v4, 24, v4
	s_movk_i32 s60, 0x80
	v_and_or_b32 v82, v4, s60, v5
.LBB94_5922:
	s_or_b64 exec, exec, s[4:5]
.LBB94_5923:
	s_or_b64 exec, exec, s[58:59]
	flat_store_byte v[2:3], v82
                                        ; implicit-def: $vgpr4
                                        ; implicit-def: $vgpr2_vgpr3
                                        ; implicit-def: $vgpr81
.LBB94_5924:
	s_andn2_saveexec_b64 s[56:57], s[56:57]
	s_cbranch_execz .LBB94_5934
; %bb.5925:
	v_cndmask_b32_e64 v81, |v0|, |v81|, vcc
	s_mov_b32 s4, 0x43f00000
	v_cmp_gt_u32_e64 s[4:5], s4, v81
                                        ; implicit-def: $vgpr5
	s_and_saveexec_b64 s[58:59], s[4:5]
	s_xor_b64 s[58:59], exec, s[58:59]
	s_cbranch_execz .LBB94_5931
; %bb.5926:
	s_mov_b32 s4, 0x3c7fffff
	v_cmp_lt_u32_e64 s[4:5], s4, v81
                                        ; implicit-def: $vgpr5
	s_and_saveexec_b64 s[60:61], s[4:5]
	s_xor_b64 s[60:61], exec, s[60:61]
; %bb.5927:
	v_bfe_u32 v5, v4, 20, 1
	s_mov_b32 s4, 0x407ffff
	v_add3_u32 v5, v4, v5, s4
	v_lshrrev_b32_e32 v81, 20, v5
	v_and_b32_e32 v5, 0xff00000, v5
	s_mov_b32 s4, 0x7f00000
	v_mov_b32_e32 v82, 0x7e
	v_cmp_ne_u32_e64 s[4:5], s4, v5
	v_cndmask_b32_e64 v5, v82, v81, s[4:5]
                                        ; implicit-def: $vgpr81
; %bb.5928:
	s_andn2_saveexec_b64 s[4:5], s[60:61]
; %bb.5929:
	v_add_f32_e32 v5, 0x46800000, v81
; %bb.5930:
	s_or_b64 exec, exec, s[4:5]
                                        ; implicit-def: $vgpr81
.LBB94_5931:
	s_andn2_saveexec_b64 s[58:59], s[58:59]
; %bb.5932:
	s_mov_b32 s4, 0x7f800000
	v_mov_b32_e32 v5, 0x7e
	v_mov_b32_e32 v82, 0x7f
	v_cmp_lt_u32_e64 s[4:5], s4, v81
	v_cndmask_b32_e64 v5, v5, v82, s[4:5]
; %bb.5933:
	s_or_b64 exec, exec, s[58:59]
	v_lshrrev_b32_e32 v4, 24, v4
	s_movk_i32 s4, 0x80
	v_and_or_b32 v4, v4, s4, v5
	flat_store_byte v[2:3], v4
.LBB94_5934:
	s_or_b64 exec, exec, s[56:57]
                                        ; implicit-def: $vgpr4
                                        ; implicit-def: $vgpr2_vgpr3
                                        ; implicit-def: $vgpr81
.LBB94_5935:
	s_andn2_saveexec_b64 s[4:5], s[54:55]
	s_cbranch_execz .LBB94_5945
; %bb.5936:
	v_cndmask_b32_e64 v81, |v0|, |v81|, vcc
	s_mov_b32 vcc_lo, 0x47800000
	v_cmp_gt_u32_e32 vcc, vcc_lo, v81
                                        ; implicit-def: $vgpr5
	s_and_saveexec_b64 s[54:55], vcc
	s_xor_b64 s[54:55], exec, s[54:55]
	s_cbranch_execz .LBB94_5942
; %bb.5937:
	s_mov_b32 vcc_lo, 0x387fffff
	v_cmp_lt_u32_e32 vcc, vcc_lo, v81
                                        ; implicit-def: $vgpr5
	s_and_saveexec_b64 s[56:57], vcc
	s_xor_b64 vcc, exec, s[56:57]
; %bb.5938:
	v_bfe_u32 v5, v4, 21, 1
	s_mov_b32 s56, 0x80fffff
	v_add3_u32 v5, v4, v5, s56
	v_lshrrev_b32_e32 v5, 21, v5
                                        ; implicit-def: $vgpr81
; %bb.5939:
	s_andn2_saveexec_b64 vcc, vcc
; %bb.5940:
	v_add_f32_e32 v5, 0x43000000, v81
; %bb.5941:
	s_or_b64 exec, exec, vcc
                                        ; implicit-def: $vgpr81
.LBB94_5942:
	s_andn2_saveexec_b64 s[54:55], s[54:55]
; %bb.5943:
	s_mov_b32 vcc_lo, 0x7f800000
	v_mov_b32_e32 v5, 0x7c
	v_mov_b32_e32 v82, 0x7f
	v_cmp_lt_u32_e32 vcc, vcc_lo, v81
	v_cndmask_b32_e32 v5, v5, v82, vcc
; %bb.5944:
	s_or_b64 exec, exec, s[54:55]
	v_lshrrev_b32_e32 v4, 24, v4
	s_movk_i32 vcc_lo, 0x80
	v_and_or_b32 v4, v4, vcc_lo, v5
	flat_store_byte v[2:3], v4
.LBB94_5945:
	s_or_b64 exec, exec, s[4:5]
	s_or_b64 s[54:55], s[40:41], exec
	s_mov_b64 s[4:5], s[52:53]
                                        ; implicit-def: $vgpr4
                                        ; implicit-def: $vgpr2_vgpr3
.LBB94_5946:
	s_or_saveexec_b64 s[50:51], s[50:51]
	s_mov_b64 vcc, s[46:47]
	s_xor_b64 exec, exec, s[50:51]
	s_cbranch_execz .LBB94_5956
; %bb.5947:
	v_mov_b32_e32 v5, 14
	v_cmp_gt_i16_sdwa vcc, v11, v5 src0_sel:BYTE_0 src1_sel:DWORD
	s_mov_b64 s[52:53], s[54:55]
	s_mov_b64 s[56:57], s[46:47]
	s_and_saveexec_b64 s[58:59], vcc
	s_xor_b64 s[58:59], exec, s[58:59]
	s_cbranch_execz .LBB94_5951
; %bb.5948:
	v_mov_b32_e32 v5, 15
	v_cmp_eq_u16_sdwa s[60:61], v11, v5 src0_sel:BYTE_0 src1_sel:DWORD
	s_mov_b64 s[56:57], -1
	s_mov_b64 vcc, s[54:55]
	s_and_saveexec_b64 s[52:53], s[60:61]
	s_cbranch_execz .LBB94_5950
; %bb.5949:
	v_bfe_u32 v5, v4, 16, 1
	s_movk_i32 vcc_lo, 0x7fff
	v_add3_u32 v5, v4, v5, vcc_lo
	v_lshrrev_b32_e32 v5, 16, v5
	v_mov_b32_e32 v81, 0x7fc0
	v_cmp_o_f32_e32 vcc, v4, v4
	v_cndmask_b32_e32 v4, v81, v5, vcc
	flat_store_short v[2:3], v4
	s_xor_b64 s[56:57], exec, -1
	s_or_b64 vcc, s[54:55], exec
.LBB94_5950:
	s_or_b64 exec, exec, s[52:53]
	s_andn2_b64 s[52:53], s[46:47], exec
	s_and_b64 s[56:57], s[56:57], exec
	s_or_b64 s[56:57], s[52:53], s[56:57]
	s_andn2_b64 s[52:53], s[54:55], exec
	s_and_b64 vcc, vcc, exec
	s_or_b64 s[52:53], s[52:53], vcc
                                        ; implicit-def: $vgpr4
                                        ; implicit-def: $vgpr2_vgpr3
.LBB94_5951:
	s_andn2_saveexec_b64 s[58:59], s[58:59]
	s_cbranch_execz .LBB94_5955
; %bb.5952:
	v_mov_b32_e32 v5, 11
	v_cmp_eq_u16_sdwa s[64:65], v11, v5 src0_sel:BYTE_0 src1_sel:DWORD
	s_mov_b64 s[60:61], -1
	s_mov_b64 vcc, s[52:53]
	s_and_saveexec_b64 s[62:63], s[64:65]
	s_cbranch_execz .LBB94_5954
; %bb.5953:
	v_cmp_neq_f32_e32 vcc, 0, v4
	v_cndmask_b32_e64 v4, 0, 1, vcc
	flat_store_byte v[2:3], v4
	s_xor_b64 s[60:61], exec, -1
	s_or_b64 vcc, s[52:53], exec
.LBB94_5954:
	s_or_b64 exec, exec, s[62:63]
	s_andn2_b64 s[56:57], s[56:57], exec
	s_and_b64 s[60:61], s[60:61], exec
	s_andn2_b64 s[52:53], s[52:53], exec
	s_and_b64 vcc, vcc, exec
	s_or_b64 s[56:57], s[56:57], s[60:61]
	s_or_b64 s[52:53], s[52:53], vcc
.LBB94_5955:
	s_or_b64 exec, exec, s[58:59]
	s_andn2_b64 vcc, s[46:47], exec
	s_and_b64 s[56:57], s[56:57], exec
	s_andn2_b64 s[54:55], s[54:55], exec
	s_and_b64 s[52:53], s[52:53], exec
	s_or_b64 vcc, vcc, s[56:57]
	s_or_b64 s[54:55], s[54:55], s[52:53]
.LBB94_5956:
	s_or_b64 exec, exec, s[50:51]
	s_andn2_b64 s[46:47], s[46:47], exec
	s_and_b64 vcc, vcc, exec
	s_or_b64 s[46:47], s[46:47], vcc
	s_andn2_b64 vcc, s[40:41], exec
	s_and_b64 s[40:41], s[54:55], exec
	s_or_b64 s[40:41], vcc, s[40:41]
.LBB94_5957:
	s_or_b64 exec, exec, s[48:49]
	s_andn2_b64 vcc, s[34:35], exec
	s_and_b64 s[46:47], s[46:47], exec
	s_or_b64 s[46:47], vcc, s[46:47]
	s_and_b64 s[40:41], s[40:41], exec
                                        ; implicit-def: $vgpr4
                                        ; implicit-def: $vgpr2_vgpr3
	s_andn2_saveexec_b64 s[36:37], s[36:37]
	s_cbranch_execz .LBB94_3835
.LBB94_5958:
	v_mov_b32_e32 v5, 4
	v_cmp_gt_i16_sdwa vcc, v11, v5 src0_sel:BYTE_0 src1_sel:DWORD
	s_and_saveexec_b64 s[48:49], vcc
	s_xor_b64 vcc, exec, s[48:49]
	s_cbranch_execz .LBB94_5980
; %bb.5959:
	v_mov_b32_e32 v5, 7
	v_cmp_gt_i16_sdwa s[48:49], v11, v5 src0_sel:BYTE_0 src1_sel:DWORD
	s_and_saveexec_b64 s[50:51], s[48:49]
	s_xor_b64 s[48:49], exec, s[50:51]
	s_cbranch_execz .LBB94_5969
; %bb.5960:
	v_mov_b32_e32 v5, 8
	v_cmp_gt_i16_sdwa s[50:51], v11, v5 src0_sel:BYTE_0 src1_sel:DWORD
	s_and_saveexec_b64 s[52:53], s[50:51]
	s_xor_b64 s[50:51], exec, s[52:53]
	;; [unrolled: 6-line block ×3, first 2 shown]
	s_cbranch_execz .LBB94_5963
; %bb.5962:
	v_mov_b32_e32 v84, 0
	v_cvt_f64_f32_e32 v[82:83], v4
	v_mov_b32_e32 v85, v84
	flat_store_dwordx4 v[2:3], v[82:85]
                                        ; implicit-def: $vgpr4
                                        ; implicit-def: $vgpr2_vgpr3
.LBB94_5963:
	s_andn2_saveexec_b64 s[52:53], s[52:53]
	s_cbranch_execz .LBB94_5965
; %bb.5964:
	v_mov_b32_e32 v5, 0
	flat_store_dwordx2 v[2:3], v[4:5]
.LBB94_5965:
	s_or_b64 exec, exec, s[52:53]
                                        ; implicit-def: $vgpr4
                                        ; implicit-def: $vgpr2_vgpr3
.LBB94_5966:
	s_andn2_saveexec_b64 s[50:51], s[50:51]
	s_cbranch_execz .LBB94_5968
; %bb.5967:
	v_cvt_f16_f32_e32 v4, v4
	flat_store_dword v[2:3], v4
.LBB94_5968:
	s_or_b64 exec, exec, s[50:51]
                                        ; implicit-def: $vgpr4
                                        ; implicit-def: $vgpr2_vgpr3
.LBB94_5969:
	s_andn2_saveexec_b64 s[48:49], s[48:49]
	s_cbranch_execz .LBB94_5979
; %bb.5970:
	v_mov_b32_e32 v5, 5
	v_cmp_gt_i16_sdwa s[50:51], v11, v5 src0_sel:BYTE_0 src1_sel:DWORD
	s_and_saveexec_b64 s[52:53], s[50:51]
	s_xor_b64 s[50:51], exec, s[52:53]
	s_cbranch_execz .LBB94_5976
; %bb.5971:
	v_mov_b32_e32 v5, 6
	v_cmp_gt_i16_sdwa s[52:53], v11, v5 src0_sel:BYTE_0 src1_sel:DWORD
	s_and_saveexec_b64 s[54:55], s[52:53]
	s_xor_b64 s[52:53], exec, s[54:55]
	s_cbranch_execz .LBB94_5973
; %bb.5972:
	v_cvt_f64_f32_e32 v[4:5], v4
	flat_store_dwordx2 v[2:3], v[4:5]
                                        ; implicit-def: $vgpr2_vgpr3
                                        ; implicit-def: $vgpr4
.LBB94_5973:
	s_andn2_saveexec_b64 s[52:53], s[52:53]
	s_cbranch_execz .LBB94_5975
; %bb.5974:
	flat_store_dword v[2:3], v4
.LBB94_5975:
	s_or_b64 exec, exec, s[52:53]
                                        ; implicit-def: $vgpr4
                                        ; implicit-def: $vgpr2_vgpr3
.LBB94_5976:
	s_andn2_saveexec_b64 s[50:51], s[50:51]
	s_cbranch_execz .LBB94_5978
; %bb.5977:
	v_cvt_f16_f32_e32 v4, v4
	flat_store_short v[2:3], v4
.LBB94_5978:
	s_or_b64 exec, exec, s[50:51]
.LBB94_5979:
	s_or_b64 exec, exec, s[48:49]
                                        ; implicit-def: $vgpr4
                                        ; implicit-def: $vgpr2_vgpr3
.LBB94_5980:
	s_andn2_saveexec_b64 s[48:49], vcc
	s_cbranch_execz .LBB94_5998
; %bb.5981:
	v_mov_b32_e32 v5, 1
	v_cmp_gt_i16_sdwa vcc, v11, v5 src0_sel:BYTE_0 src1_sel:DWORD
	s_and_saveexec_b64 s[50:51], vcc
	s_xor_b64 s[50:51], exec, s[50:51]
	s_cbranch_execz .LBB94_5991
; %bb.5982:
	v_mov_b32_e32 v5, 2
	v_cmp_gt_i16_sdwa vcc, v11, v5 src0_sel:BYTE_0 src1_sel:DWORD
	s_and_saveexec_b64 s[52:53], vcc
	s_xor_b64 s[52:53], exec, s[52:53]
	;; [unrolled: 6-line block ×3, first 2 shown]
	s_cbranch_execz .LBB94_5985
; %bb.5984:
	v_trunc_f32_e32 v4, v4
	s_mov_b32 s56, 0x2f800000
	v_mul_f32_e64 v5, |v4|, s56
	v_floor_f32_e32 v5, v5
	s_mov_b32 s56, 0xcf800000
	v_cvt_u32_f32_e32 v81, v5
	v_fma_f32 v5, v5, s56, |v4|
	v_cvt_u32_f32_e32 v5, v5
	v_ashrrev_i32_e32 v82, 31, v4
	v_xor_b32_e32 v81, v81, v82
	v_xor_b32_e32 v4, v5, v82
	v_sub_co_u32_e32 v4, vcc, v4, v82
	v_subb_co_u32_e32 v5, vcc, v81, v82, vcc
	flat_store_dwordx2 v[2:3], v[4:5]
                                        ; implicit-def: $vgpr4
                                        ; implicit-def: $vgpr2_vgpr3
.LBB94_5985:
	s_andn2_saveexec_b64 vcc, s[54:55]
	s_cbranch_execz .LBB94_5987
; %bb.5986:
	v_cvt_i32_f32_e32 v4, v4
	flat_store_dword v[2:3], v4
.LBB94_5987:
	s_or_b64 exec, exec, vcc
                                        ; implicit-def: $vgpr4
                                        ; implicit-def: $vgpr2_vgpr3
.LBB94_5988:
	s_andn2_saveexec_b64 vcc, s[52:53]
	s_cbranch_execz .LBB94_5990
; %bb.5989:
	v_cvt_i32_f32_e32 v4, v4
	flat_store_short v[2:3], v4
.LBB94_5990:
	s_or_b64 exec, exec, vcc
                                        ; implicit-def: $vgpr4
                                        ; implicit-def: $vgpr2_vgpr3
.LBB94_5991:
	s_andn2_saveexec_b64 vcc, s[50:51]
	s_cbranch_execz .LBB94_5997
; %bb.5992:
	v_mov_b32_e32 v5, 0
	v_cmp_gt_i16_sdwa s[50:51], v11, v5 src0_sel:BYTE_0 src1_sel:DWORD
	s_and_saveexec_b64 s[52:53], s[50:51]
	s_xor_b64 s[50:51], exec, s[52:53]
	s_cbranch_execz .LBB94_5994
; %bb.5993:
	v_cvt_i32_f32_e32 v4, v4
	flat_store_byte v[2:3], v4
                                        ; implicit-def: $vgpr4
                                        ; implicit-def: $vgpr2_vgpr3
.LBB94_5994:
	s_andn2_saveexec_b64 s[50:51], s[50:51]
	s_cbranch_execz .LBB94_5996
; %bb.5995:
	v_trunc_f32_e32 v4, v4
	s_mov_b32 s52, 0x2f800000
	v_mul_f32_e64 v5, |v4|, s52
	v_floor_f32_e32 v5, v5
	s_mov_b32 s52, 0xcf800000
	v_fma_f32 v5, v5, s52, |v4|
	v_cvt_u32_f32_e32 v5, v5
	v_ashrrev_i32_e32 v4, 31, v4
	v_xor_b32_e32 v5, v5, v4
	v_sub_u32_e32 v4, v5, v4
	flat_store_byte v[2:3], v4
.LBB94_5996:
	s_or_b64 exec, exec, s[50:51]
.LBB94_5997:
	s_or_b64 exec, exec, vcc
.LBB94_5998:
	s_or_b64 exec, exec, s[48:49]
	s_or_b64 s[40:41], s[40:41], exec
	s_or_b64 exec, exec, s[36:37]
	s_mov_b64 vcc, 0
	s_and_saveexec_b64 s[36:37], s[40:41]
	s_cbranch_execnz .LBB94_3836
	s_branch .LBB94_3837
.LBB94_5999:
	v_bfe_u32 v5, v4, 21, 1
	s_mov_b32 s40, 0x88fffff
	v_add3_u32 v5, v4, v5, s40
	s_mov_b64 s[38:39], exec
	v_lshrrev_b32_e32 v5, 21, v5
                                        ; implicit-def: $vgpr101
	s_or_saveexec_b64 s[40:41], s[4:5]
                                        ; implicit-def: $sgpr42
	s_xor_b64 exec, exec, s[40:41]
	s_cbranch_execz .LBB94_5130
.LBB94_6000:
	v_add_f32_e32 v5, 0x42800000, v101
	v_and_b32_e32 v5, 0xff, v5
	v_cmp_ne_u32_e64 s[4:5], 0, v5
	s_andn2_b64 s[38:39], s[38:39], exec
	s_and_b64 s[4:5], s[4:5], exec
	s_mov_b32 s42, 0
	s_or_b64 s[38:39], s[38:39], s[4:5]
	s_or_b64 exec, exec, s[40:41]
	v_mov_b32_e32 v102, s42
	s_and_saveexec_b64 s[4:5], s[38:39]
	s_cbranch_execnz .LBB94_5131
	s_branch .LBB94_5132
.LBB94_6001:
	v_bfe_u32 v5, v4, 20, 1
	s_mov_b32 s42, 0x487ffff
	v_add3_u32 v5, v4, v5, s42
	s_mov_b64 s[40:41], exec
	v_lshrrev_b32_e32 v5, 20, v5
                                        ; implicit-def: $vgpr99
	s_or_saveexec_b64 s[42:43], s[4:5]
                                        ; implicit-def: $sgpr44
	s_xor_b64 exec, exec, s[42:43]
	s_cbranch_execz .LBB94_5287
.LBB94_6002:
	v_add_f32_e32 v5, 0x46000000, v99
	v_and_b32_e32 v5, 0xff, v5
	v_cmp_ne_u32_e64 s[4:5], 0, v5
	s_andn2_b64 s[40:41], s[40:41], exec
	s_and_b64 s[4:5], s[4:5], exec
	s_mov_b32 s44, 0
	s_or_b64 s[40:41], s[40:41], s[4:5]
	s_or_b64 exec, exec, s[42:43]
	v_mov_b32_e32 v100, s44
	s_and_saveexec_b64 s[4:5], s[40:41]
	s_cbranch_execnz .LBB94_5288
	s_branch .LBB94_5289
.LBB94_6003:
	v_mov_b32_e32 v5, 25
	v_cmp_gt_i16_sdwa s[50:51], v11, v5 src0_sel:BYTE_0 src1_sel:DWORD
	s_mov_b64 s[48:49], s[36:37]
	s_and_saveexec_b64 s[52:53], s[50:51]
	s_xor_b64 s[50:51], exec, s[52:53]
	s_cbranch_execz .LBB94_6039
; %bb.6004:
	v_mov_b32_e32 v5, 28
	s_mov_b64 s[52:53], s[4:5]
	s_mov_b64 s[54:55], s[6:7]
	v_cmp_gt_i16_sdwa s[4:5], v11, v5 src0_sel:BYTE_0 src1_sel:DWORD
	s_mov_b64 s[6:7], 0
	s_mov_b64 s[48:49], s[36:37]
	s_and_saveexec_b64 s[46:47], s[4:5]
	s_xor_b64 s[46:47], exec, s[46:47]
	s_cbranch_execz .LBB94_6022
; %bb.6005:
	v_mov_b32_e32 v5, 43
	v_cmp_gt_i16_sdwa s[48:49], v11, v5 src0_sel:BYTE_0 src1_sel:DWORD
	s_mov_b64 s[4:5], 0
	s_mov_b64 s[6:7], s[36:37]
	s_and_saveexec_b64 s[56:57], s[48:49]
	s_xor_b64 s[48:49], exec, s[56:57]
	s_cbranch_execz .LBB94_6017
; %bb.6006:
	v_mov_b32_e32 v5, 45
	;; [unrolled: 8-line block ×3, first 2 shown]
	v_cmp_eq_u16_sdwa s[60:61], v11, v5 src0_sel:BYTE_0 src1_sel:DWORD
	s_mov_b64 s[4:5], -1
	s_and_saveexec_b64 s[58:59], s[60:61]
	s_cbranch_execz .LBB94_6009
; %bb.6008:
	v_bfe_u32 v5, v4, 16, 1
	s_movk_i32 s4, 0x7fff
	v_add3_u32 v5, v4, v5, s4
	v_lshrrev_b32_e32 v5, 16, v5
	v_mov_b32_e32 v71, 0x7fc0
	v_cmp_o_f32_e64 s[4:5], v4, v4
	v_cndmask_b32_e64 v4, v71, v5, s[4:5]
	s_mov_b64 s[56:57], exec
	flat_store_dword v[2:3], v4
	s_xor_b64 s[4:5], exec, -1
.LBB94_6009:
	s_or_b64 exec, exec, s[58:59]
	s_andn2_b64 s[58:59], s[36:37], exec
	s_and_b64 s[4:5], s[4:5], exec
	s_or_b64 s[58:59], s[58:59], s[4:5]
	s_and_b64 s[56:57], s[56:57], exec
                                        ; implicit-def: $vgpr2_vgpr3
                                        ; implicit-def: $vgpr4
.LBB94_6010:
	s_andn2_saveexec_b64 s[60:61], s[6:7]
	s_cbranch_execz .LBB94_6016
; %bb.6011:
	v_mov_b32_e32 v5, 44
	v_cmp_eq_u16_sdwa s[64:65], v11, v5 src0_sel:BYTE_0 src1_sel:DWORD
	s_mov_b64 s[6:7], -1
	s_mov_b64 s[4:5], s[56:57]
	s_and_saveexec_b64 s[62:63], s[64:65]
	s_cbranch_execz .LBB94_6015
; %bb.6012:
	v_bfe_u32 v5, v4, 23, 8
	s_movk_i32 s4, 0xff
	v_cmp_ne_u32_e64 s[4:5], s4, v5
	v_mov_b32_e32 v71, 0xff
	s_and_saveexec_b64 s[64:65], s[4:5]
; %bb.6013:
	s_mov_b32 s6, 0x3fffff
	v_lshrrev_b32_e32 v71, 23, v4
	v_and_b32_e32 v80, 0x400000, v4
	v_and_or_b32 v4, v4, s6, v5
	v_cmp_ne_u32_e64 s[4:5], 0, v80
	v_cmp_ne_u32_e64 s[6:7], 0, v4
	s_and_b64 s[4:5], s[4:5], s[6:7]
	v_cndmask_b32_e64 v4, 0, 1, s[4:5]
	v_add_u32_e32 v71, v71, v4
; %bb.6014:
	s_or_b64 exec, exec, s[64:65]
	s_xor_b64 s[6:7], exec, -1
	s_or_b64 s[4:5], s[56:57], exec
	flat_store_byte v[2:3], v71
.LBB94_6015:
	s_or_b64 exec, exec, s[62:63]
	s_andn2_b64 s[58:59], s[58:59], exec
	s_and_b64 s[6:7], s[6:7], exec
	s_or_b64 s[58:59], s[58:59], s[6:7]
	s_andn2_b64 s[6:7], s[56:57], exec
	s_and_b64 s[4:5], s[4:5], exec
	s_or_b64 s[56:57], s[6:7], s[4:5]
.LBB94_6016:
	s_or_b64 exec, exec, s[60:61]
	s_andn2_b64 s[4:5], s[36:37], exec
	s_and_b64 s[6:7], s[58:59], exec
	s_or_b64 s[6:7], s[4:5], s[6:7]
	s_and_b64 s[4:5], s[56:57], exec
                                        ; implicit-def: $vgpr4
                                        ; implicit-def: $vgpr2_vgpr3
.LBB94_6017:
	s_andn2_saveexec_b64 s[48:49], s[48:49]
	s_cbranch_execz .LBB94_6021
; %bb.6018:
	v_mov_b32_e32 v5, 29
	v_cmp_eq_u16_sdwa s[62:63], v11, v5 src0_sel:BYTE_0 src1_sel:DWORD
	s_mov_b64 s[60:61], -1
	s_mov_b64 s[58:59], s[4:5]
	s_and_saveexec_b64 s[56:57], s[62:63]
	s_cbranch_execz .LBB94_6020
; %bb.6019:
	v_trunc_f32_e32 v4, v4
	v_mul_f32_e32 v5, 0x2f800000, v4
	v_floor_f32_e32 v71, v5
	v_fmac_f32_e32 v4, 0xcf800000, v71
	v_cvt_u32_f32_e32 v5, v71
	v_cvt_u32_f32_e32 v4, v4
	s_xor_b64 s[60:61], exec, -1
	s_or_b64 s[58:59], s[4:5], exec
	flat_store_dwordx2 v[2:3], v[4:5]
.LBB94_6020:
	s_or_b64 exec, exec, s[56:57]
	s_andn2_b64 s[6:7], s[6:7], exec
	s_and_b64 s[56:57], s[60:61], exec
	s_or_b64 s[6:7], s[6:7], s[56:57]
	s_andn2_b64 s[4:5], s[4:5], exec
	s_and_b64 s[56:57], s[58:59], exec
	s_or_b64 s[4:5], s[4:5], s[56:57]
.LBB94_6021:
	s_or_b64 exec, exec, s[48:49]
	s_andn2_b64 s[48:49], s[36:37], exec
	s_and_b64 s[6:7], s[6:7], exec
	s_or_b64 s[48:49], s[48:49], s[6:7]
	s_and_b64 s[6:7], s[4:5], exec
                                        ; implicit-def: $vgpr2_vgpr3
                                        ; implicit-def: $vgpr71
                                        ; implicit-def: $vgpr4
.LBB94_6022:
	s_andn2_saveexec_b64 s[46:47], s[46:47]
	s_cbranch_execz .LBB94_6038
; %bb.6023:
	v_mov_b32_e32 v5, 26
	v_cmp_gt_i16_sdwa s[4:5], v11, v5 src0_sel:BYTE_0 src1_sel:DWORD
	s_and_saveexec_b64 s[56:57], s[4:5]
	s_xor_b64 s[4:5], exec, s[56:57]
	s_cbranch_execz .LBB94_6029
; %bb.6024:
	v_cvt_u32_f32_e32 v4, v4
	v_mov_b32_e32 v5, 27
	v_cmp_gt_i16_sdwa s[56:57], v11, v5 src0_sel:BYTE_0 src1_sel:DWORD
	s_and_saveexec_b64 s[58:59], s[56:57]
	s_xor_b64 s[56:57], exec, s[58:59]
	s_cbranch_execz .LBB94_6026
; %bb.6025:
	flat_store_dword v[2:3], v4
                                        ; implicit-def: $vgpr2_vgpr3
                                        ; implicit-def: $vgpr4
.LBB94_6026:
	s_andn2_saveexec_b64 s[56:57], s[56:57]
	s_cbranch_execz .LBB94_6028
; %bb.6027:
	flat_store_short v[2:3], v4
.LBB94_6028:
	s_or_b64 exec, exec, s[56:57]
                                        ; implicit-def: $vgpr2_vgpr3
                                        ; implicit-def: $vgpr71
                                        ; implicit-def: $vgpr4
.LBB94_6029:
	s_andn2_saveexec_b64 s[56:57], s[4:5]
	s_cbranch_execz .LBB94_6037
; %bb.6030:
	v_cndmask_b32_e64 v71, |v0|, |v71|, vcc
	s_mov_b32 s4, 0x43800000
	v_cmp_gt_u32_e64 s[4:5], s4, v71
	v_mov_b32_e32 v80, 0x80
	s_and_saveexec_b64 s[58:59], s[4:5]
	s_cbranch_execz .LBB94_6036
; %bb.6031:
	s_mov_b32 s4, 0x3bffffff
	v_cmp_lt_u32_e64 s[4:5], s4, v71
	s_mov_b64 s[60:61], 0
                                        ; implicit-def: $vgpr5
	s_and_saveexec_b64 s[62:63], s[4:5]
	s_xor_b64 s[4:5], exec, s[62:63]
	s_cbranch_execnz .LBB94_6635
; %bb.6032:
	s_or_saveexec_b64 s[62:63], s[4:5]
                                        ; implicit-def: $sgpr64
	s_xor_b64 exec, exec, s[62:63]
	s_cbranch_execnz .LBB94_6636
.LBB94_6033:
	s_or_b64 exec, exec, s[62:63]
	v_mov_b32_e32 v80, s64
	s_and_saveexec_b64 s[4:5], s[60:61]
.LBB94_6034:
	v_lshrrev_b32_e32 v4, 24, v4
	s_movk_i32 s60, 0x80
	v_and_or_b32 v80, v4, s60, v5
.LBB94_6035:
	s_or_b64 exec, exec, s[4:5]
.LBB94_6036:
	s_or_b64 exec, exec, s[58:59]
	flat_store_byte v[2:3], v80
.LBB94_6037:
	s_or_b64 exec, exec, s[56:57]
	s_or_b64 s[6:7], s[6:7], exec
.LBB94_6038:
	s_or_b64 exec, exec, s[46:47]
	s_andn2_b64 s[4:5], s[36:37], exec
	s_and_b64 s[46:47], s[48:49], exec
	s_or_b64 s[48:49], s[4:5], s[46:47]
	s_and_b64 s[46:47], s[6:7], exec
	s_mov_b64 s[6:7], s[54:55]
	s_mov_b64 s[4:5], s[52:53]
                                        ; implicit-def: $vgpr4
                                        ; implicit-def: $vgpr2_vgpr3
                                        ; implicit-def: $vgpr71
.LBB94_6039:
	s_andn2_saveexec_b64 s[50:51], s[50:51]
	s_cbranch_execz .LBB94_6083
; %bb.6040:
	v_mov_b32_e32 v5, 22
	s_mov_b64 s[52:53], s[4:5]
	v_cmp_gt_i16_sdwa s[54:55], v11, v5 src0_sel:BYTE_0 src1_sel:DWORD
	s_mov_b64 s[4:5], s[46:47]
	s_and_saveexec_b64 s[56:57], s[54:55]
	s_xor_b64 s[54:55], exec, s[56:57]
	s_cbranch_execz .LBB94_6072
; %bb.6041:
	v_mov_b32_e32 v5, 23
	v_cmp_gt_i16_sdwa s[4:5], v11, v5 src0_sel:BYTE_0 src1_sel:DWORD
	s_and_saveexec_b64 s[56:57], s[4:5]
	s_xor_b64 s[56:57], exec, s[56:57]
	s_cbranch_execz .LBB94_6061
; %bb.6042:
	v_mov_b32_e32 v5, 24
	v_cmp_gt_i16_sdwa s[4:5], v11, v5 src0_sel:BYTE_0 src1_sel:DWORD
	s_and_saveexec_b64 s[58:59], s[4:5]
	s_xor_b64 s[58:59], exec, s[58:59]
	s_cbranch_execz .LBB94_6050
; %bb.6043:
	v_cndmask_b32_e64 v71, |v0|, |v71|, vcc
	s_mov_b32 s4, 0x47800000
	v_cmp_gt_u32_e64 s[4:5], s4, v71
	v_mov_b32_e32 v80, 0x80
	s_and_saveexec_b64 s[60:61], s[4:5]
	s_cbranch_execz .LBB94_6049
; %bb.6044:
	s_mov_b32 s4, 0x37ffffff
	v_cmp_lt_u32_e64 s[4:5], s4, v71
	s_mov_b64 s[62:63], 0
                                        ; implicit-def: $vgpr5
	s_and_saveexec_b64 s[64:65], s[4:5]
	s_xor_b64 s[4:5], exec, s[64:65]
	s_cbranch_execnz .LBB94_6759
; %bb.6045:
	s_or_saveexec_b64 s[64:65], s[4:5]
                                        ; implicit-def: $sgpr66
	s_xor_b64 exec, exec, s[64:65]
	s_cbranch_execnz .LBB94_6760
.LBB94_6046:
	s_or_b64 exec, exec, s[64:65]
	v_mov_b32_e32 v80, s66
	s_and_saveexec_b64 s[4:5], s[62:63]
.LBB94_6047:
	v_lshrrev_b32_e32 v4, 24, v4
	s_movk_i32 s62, 0x80
	v_and_or_b32 v80, v4, s62, v5
.LBB94_6048:
	s_or_b64 exec, exec, s[4:5]
.LBB94_6049:
	s_or_b64 exec, exec, s[60:61]
	flat_store_byte v[2:3], v80
                                        ; implicit-def: $vgpr4
                                        ; implicit-def: $vgpr2_vgpr3
                                        ; implicit-def: $vgpr71
.LBB94_6050:
	s_andn2_saveexec_b64 s[58:59], s[58:59]
	s_cbranch_execz .LBB94_6060
; %bb.6051:
	v_cndmask_b32_e64 v71, |v0|, |v71|, vcc
	s_mov_b32 s4, 0x43f00000
	v_cmp_gt_u32_e64 s[4:5], s4, v71
                                        ; implicit-def: $vgpr5
	s_and_saveexec_b64 s[60:61], s[4:5]
	s_xor_b64 s[60:61], exec, s[60:61]
	s_cbranch_execz .LBB94_6057
; %bb.6052:
	s_mov_b32 s4, 0x3c7fffff
	v_cmp_lt_u32_e64 s[4:5], s4, v71
                                        ; implicit-def: $vgpr5
	s_and_saveexec_b64 s[62:63], s[4:5]
	s_xor_b64 s[62:63], exec, s[62:63]
; %bb.6053:
	v_bfe_u32 v5, v4, 20, 1
	s_mov_b32 s4, 0x407ffff
	v_add3_u32 v5, v4, v5, s4
	v_lshrrev_b32_e32 v71, 20, v5
	v_and_b32_e32 v5, 0xff00000, v5
	s_mov_b32 s4, 0x7f00000
	v_mov_b32_e32 v80, 0x7e
	v_cmp_ne_u32_e64 s[4:5], s4, v5
	v_cndmask_b32_e64 v5, v80, v71, s[4:5]
                                        ; implicit-def: $vgpr71
; %bb.6054:
	s_andn2_saveexec_b64 s[4:5], s[62:63]
; %bb.6055:
	v_add_f32_e32 v5, 0x46800000, v71
; %bb.6056:
	s_or_b64 exec, exec, s[4:5]
                                        ; implicit-def: $vgpr71
.LBB94_6057:
	s_andn2_saveexec_b64 s[60:61], s[60:61]
; %bb.6058:
	s_mov_b32 s4, 0x7f800000
	v_mov_b32_e32 v5, 0x7e
	v_mov_b32_e32 v80, 0x7f
	v_cmp_lt_u32_e64 s[4:5], s4, v71
	v_cndmask_b32_e64 v5, v5, v80, s[4:5]
; %bb.6059:
	s_or_b64 exec, exec, s[60:61]
	v_lshrrev_b32_e32 v4, 24, v4
	s_movk_i32 s4, 0x80
	v_and_or_b32 v4, v4, s4, v5
	flat_store_byte v[2:3], v4
.LBB94_6060:
	s_or_b64 exec, exec, s[58:59]
                                        ; implicit-def: $vgpr4
                                        ; implicit-def: $vgpr2_vgpr3
                                        ; implicit-def: $vgpr71
.LBB94_6061:
	s_andn2_saveexec_b64 s[4:5], s[56:57]
	s_cbranch_execz .LBB94_6071
; %bb.6062:
	v_cndmask_b32_e64 v71, |v0|, |v71|, vcc
	s_mov_b32 vcc_lo, 0x47800000
	v_cmp_gt_u32_e32 vcc, vcc_lo, v71
                                        ; implicit-def: $vgpr5
	s_and_saveexec_b64 s[56:57], vcc
	s_xor_b64 s[56:57], exec, s[56:57]
	s_cbranch_execz .LBB94_6068
; %bb.6063:
	s_mov_b32 vcc_lo, 0x387fffff
	v_cmp_lt_u32_e32 vcc, vcc_lo, v71
                                        ; implicit-def: $vgpr5
	s_and_saveexec_b64 s[58:59], vcc
	s_xor_b64 vcc, exec, s[58:59]
; %bb.6064:
	v_bfe_u32 v5, v4, 21, 1
	s_mov_b32 s58, 0x80fffff
	v_add3_u32 v5, v4, v5, s58
	v_lshrrev_b32_e32 v5, 21, v5
                                        ; implicit-def: $vgpr71
; %bb.6065:
	s_andn2_saveexec_b64 vcc, vcc
; %bb.6066:
	v_add_f32_e32 v5, 0x43000000, v71
; %bb.6067:
	s_or_b64 exec, exec, vcc
                                        ; implicit-def: $vgpr71
.LBB94_6068:
	s_andn2_saveexec_b64 s[56:57], s[56:57]
; %bb.6069:
	s_mov_b32 vcc_lo, 0x7f800000
	v_mov_b32_e32 v5, 0x7c
	v_mov_b32_e32 v80, 0x7f
	v_cmp_lt_u32_e32 vcc, vcc_lo, v71
	v_cndmask_b32_e32 v5, v5, v80, vcc
; %bb.6070:
	s_or_b64 exec, exec, s[56:57]
	v_lshrrev_b32_e32 v4, 24, v4
	s_movk_i32 vcc_lo, 0x80
	v_and_or_b32 v4, v4, vcc_lo, v5
	flat_store_byte v[2:3], v4
.LBB94_6071:
	s_or_b64 exec, exec, s[4:5]
	s_or_b64 s[4:5], s[46:47], exec
                                        ; implicit-def: $vgpr4
                                        ; implicit-def: $vgpr2_vgpr3
.LBB94_6072:
	s_or_saveexec_b64 s[54:55], s[54:55]
	s_mov_b64 vcc, s[48:49]
	s_xor_b64 exec, exec, s[54:55]
	s_cbranch_execz .LBB94_6082
; %bb.6073:
	v_mov_b32_e32 v5, 14
	v_cmp_gt_i16_sdwa vcc, v11, v5 src0_sel:BYTE_0 src1_sel:DWORD
	s_mov_b64 s[56:57], s[4:5]
	s_mov_b64 s[58:59], s[48:49]
	s_and_saveexec_b64 s[60:61], vcc
	s_xor_b64 s[60:61], exec, s[60:61]
	s_cbranch_execz .LBB94_6077
; %bb.6074:
	v_mov_b32_e32 v5, 15
	v_cmp_eq_u16_sdwa s[62:63], v11, v5 src0_sel:BYTE_0 src1_sel:DWORD
	s_mov_b64 s[58:59], -1
	s_mov_b64 vcc, s[4:5]
	s_and_saveexec_b64 s[56:57], s[62:63]
	s_cbranch_execz .LBB94_6076
; %bb.6075:
	v_bfe_u32 v5, v4, 16, 1
	s_movk_i32 vcc_lo, 0x7fff
	v_add3_u32 v5, v4, v5, vcc_lo
	v_lshrrev_b32_e32 v5, 16, v5
	v_mov_b32_e32 v71, 0x7fc0
	v_cmp_o_f32_e32 vcc, v4, v4
	v_cndmask_b32_e32 v4, v71, v5, vcc
	flat_store_short v[2:3], v4
	s_xor_b64 s[58:59], exec, -1
	s_or_b64 vcc, s[4:5], exec
.LBB94_6076:
	s_or_b64 exec, exec, s[56:57]
	s_andn2_b64 s[56:57], s[48:49], exec
	s_and_b64 s[58:59], s[58:59], exec
	s_or_b64 s[58:59], s[56:57], s[58:59]
	s_andn2_b64 s[56:57], s[4:5], exec
	s_and_b64 vcc, vcc, exec
	s_or_b64 s[56:57], s[56:57], vcc
                                        ; implicit-def: $vgpr4
                                        ; implicit-def: $vgpr2_vgpr3
.LBB94_6077:
	s_andn2_saveexec_b64 s[60:61], s[60:61]
	s_cbranch_execz .LBB94_6081
; %bb.6078:
	v_mov_b32_e32 v5, 11
	v_cmp_eq_u16_sdwa s[66:67], v11, v5 src0_sel:BYTE_0 src1_sel:DWORD
	s_mov_b64 s[62:63], -1
	s_mov_b64 vcc, s[56:57]
	s_and_saveexec_b64 s[64:65], s[66:67]
	s_cbranch_execz .LBB94_6080
; %bb.6079:
	v_cmp_neq_f32_e32 vcc, 0, v4
	v_cndmask_b32_e64 v4, 0, 1, vcc
	flat_store_byte v[2:3], v4
	s_xor_b64 s[62:63], exec, -1
	s_or_b64 vcc, s[56:57], exec
.LBB94_6080:
	s_or_b64 exec, exec, s[64:65]
	s_andn2_b64 s[58:59], s[58:59], exec
	s_and_b64 s[62:63], s[62:63], exec
	s_andn2_b64 s[56:57], s[56:57], exec
	s_and_b64 vcc, vcc, exec
	s_or_b64 s[58:59], s[58:59], s[62:63]
	s_or_b64 s[56:57], s[56:57], vcc
.LBB94_6081:
	s_or_b64 exec, exec, s[60:61]
	s_andn2_b64 vcc, s[48:49], exec
	s_and_b64 s[58:59], s[58:59], exec
	s_andn2_b64 s[4:5], s[4:5], exec
	s_and_b64 s[56:57], s[56:57], exec
	s_or_b64 vcc, vcc, s[58:59]
	s_or_b64 s[4:5], s[4:5], s[56:57]
.LBB94_6082:
	s_or_b64 exec, exec, s[54:55]
	s_andn2_b64 s[48:49], s[48:49], exec
	s_and_b64 vcc, vcc, exec
	s_or_b64 s[48:49], s[48:49], vcc
	s_andn2_b64 vcc, s[46:47], exec
	s_and_b64 s[4:5], s[4:5], exec
	s_or_b64 s[46:47], vcc, s[4:5]
	s_mov_b64 s[4:5], s[52:53]
.LBB94_6083:
	s_or_b64 exec, exec, s[50:51]
	s_andn2_b64 vcc, s[36:37], exec
	s_and_b64 s[48:49], s[48:49], exec
	s_or_b64 s[48:49], vcc, s[48:49]
	s_and_b64 s[46:47], s[46:47], exec
                                        ; implicit-def: $vgpr4
                                        ; implicit-def: $vgpr2_vgpr3
	s_andn2_saveexec_b64 s[40:41], s[40:41]
	s_cbranch_execz .LBB94_3842
.LBB94_6084:
	v_mov_b32_e32 v5, 4
	v_cmp_gt_i16_sdwa vcc, v11, v5 src0_sel:BYTE_0 src1_sel:DWORD
	s_and_saveexec_b64 s[50:51], vcc
	s_xor_b64 vcc, exec, s[50:51]
	s_cbranch_execz .LBB94_6106
; %bb.6085:
	v_mov_b32_e32 v5, 7
	v_cmp_gt_i16_sdwa s[50:51], v11, v5 src0_sel:BYTE_0 src1_sel:DWORD
	s_and_saveexec_b64 s[52:53], s[50:51]
	s_xor_b64 s[50:51], exec, s[52:53]
	s_cbranch_execz .LBB94_6095
; %bb.6086:
	v_mov_b32_e32 v5, 8
	v_cmp_gt_i16_sdwa s[52:53], v11, v5 src0_sel:BYTE_0 src1_sel:DWORD
	s_and_saveexec_b64 s[54:55], s[52:53]
	s_xor_b64 s[52:53], exec, s[54:55]
	;; [unrolled: 6-line block ×3, first 2 shown]
	s_cbranch_execz .LBB94_6089
; %bb.6088:
	v_mov_b32_e32 v82, 0
	v_cvt_f64_f32_e32 v[80:81], v4
	v_mov_b32_e32 v83, v82
	flat_store_dwordx4 v[2:3], v[80:83]
                                        ; implicit-def: $vgpr4
                                        ; implicit-def: $vgpr2_vgpr3
.LBB94_6089:
	s_andn2_saveexec_b64 s[54:55], s[54:55]
	s_cbranch_execz .LBB94_6091
; %bb.6090:
	v_mov_b32_e32 v5, 0
	flat_store_dwordx2 v[2:3], v[4:5]
.LBB94_6091:
	s_or_b64 exec, exec, s[54:55]
                                        ; implicit-def: $vgpr4
                                        ; implicit-def: $vgpr2_vgpr3
.LBB94_6092:
	s_andn2_saveexec_b64 s[52:53], s[52:53]
	s_cbranch_execz .LBB94_6094
; %bb.6093:
	v_cvt_f16_f32_e32 v4, v4
	flat_store_dword v[2:3], v4
.LBB94_6094:
	s_or_b64 exec, exec, s[52:53]
                                        ; implicit-def: $vgpr4
                                        ; implicit-def: $vgpr2_vgpr3
.LBB94_6095:
	s_andn2_saveexec_b64 s[50:51], s[50:51]
	s_cbranch_execz .LBB94_6105
; %bb.6096:
	v_mov_b32_e32 v5, 5
	v_cmp_gt_i16_sdwa s[52:53], v11, v5 src0_sel:BYTE_0 src1_sel:DWORD
	s_and_saveexec_b64 s[54:55], s[52:53]
	s_xor_b64 s[52:53], exec, s[54:55]
	s_cbranch_execz .LBB94_6102
; %bb.6097:
	v_mov_b32_e32 v5, 6
	v_cmp_gt_i16_sdwa s[54:55], v11, v5 src0_sel:BYTE_0 src1_sel:DWORD
	s_and_saveexec_b64 s[56:57], s[54:55]
	s_xor_b64 s[54:55], exec, s[56:57]
	s_cbranch_execz .LBB94_6099
; %bb.6098:
	v_cvt_f64_f32_e32 v[4:5], v4
	flat_store_dwordx2 v[2:3], v[4:5]
                                        ; implicit-def: $vgpr2_vgpr3
                                        ; implicit-def: $vgpr4
.LBB94_6099:
	s_andn2_saveexec_b64 s[54:55], s[54:55]
	s_cbranch_execz .LBB94_6101
; %bb.6100:
	flat_store_dword v[2:3], v4
.LBB94_6101:
	s_or_b64 exec, exec, s[54:55]
                                        ; implicit-def: $vgpr4
                                        ; implicit-def: $vgpr2_vgpr3
.LBB94_6102:
	s_andn2_saveexec_b64 s[52:53], s[52:53]
	s_cbranch_execz .LBB94_6104
; %bb.6103:
	v_cvt_f16_f32_e32 v4, v4
	flat_store_short v[2:3], v4
.LBB94_6104:
	s_or_b64 exec, exec, s[52:53]
.LBB94_6105:
	s_or_b64 exec, exec, s[50:51]
                                        ; implicit-def: $vgpr4
                                        ; implicit-def: $vgpr2_vgpr3
.LBB94_6106:
	s_andn2_saveexec_b64 s[50:51], vcc
	s_cbranch_execz .LBB94_6124
; %bb.6107:
	v_mov_b32_e32 v5, 1
	v_cmp_gt_i16_sdwa vcc, v11, v5 src0_sel:BYTE_0 src1_sel:DWORD
	s_and_saveexec_b64 s[52:53], vcc
	s_xor_b64 s[52:53], exec, s[52:53]
	s_cbranch_execz .LBB94_6117
; %bb.6108:
	v_mov_b32_e32 v5, 2
	v_cmp_gt_i16_sdwa vcc, v11, v5 src0_sel:BYTE_0 src1_sel:DWORD
	s_and_saveexec_b64 s[54:55], vcc
	s_xor_b64 s[54:55], exec, s[54:55]
	;; [unrolled: 6-line block ×3, first 2 shown]
	s_cbranch_execz .LBB94_6111
; %bb.6110:
	v_trunc_f32_e32 v4, v4
	s_mov_b32 s58, 0x2f800000
	v_mul_f32_e64 v5, |v4|, s58
	v_floor_f32_e32 v5, v5
	s_mov_b32 s58, 0xcf800000
	v_cvt_u32_f32_e32 v71, v5
	v_fma_f32 v5, v5, s58, |v4|
	v_cvt_u32_f32_e32 v5, v5
	v_ashrrev_i32_e32 v80, 31, v4
	v_xor_b32_e32 v71, v71, v80
	v_xor_b32_e32 v4, v5, v80
	v_sub_co_u32_e32 v4, vcc, v4, v80
	v_subb_co_u32_e32 v5, vcc, v71, v80, vcc
	flat_store_dwordx2 v[2:3], v[4:5]
                                        ; implicit-def: $vgpr4
                                        ; implicit-def: $vgpr2_vgpr3
.LBB94_6111:
	s_andn2_saveexec_b64 vcc, s[56:57]
	s_cbranch_execz .LBB94_6113
; %bb.6112:
	v_cvt_i32_f32_e32 v4, v4
	flat_store_dword v[2:3], v4
.LBB94_6113:
	s_or_b64 exec, exec, vcc
                                        ; implicit-def: $vgpr4
                                        ; implicit-def: $vgpr2_vgpr3
.LBB94_6114:
	s_andn2_saveexec_b64 vcc, s[54:55]
	s_cbranch_execz .LBB94_6116
; %bb.6115:
	v_cvt_i32_f32_e32 v4, v4
	flat_store_short v[2:3], v4
.LBB94_6116:
	s_or_b64 exec, exec, vcc
                                        ; implicit-def: $vgpr4
                                        ; implicit-def: $vgpr2_vgpr3
.LBB94_6117:
	s_andn2_saveexec_b64 vcc, s[52:53]
	s_cbranch_execz .LBB94_6123
; %bb.6118:
	v_mov_b32_e32 v5, 0
	v_cmp_gt_i16_sdwa s[52:53], v11, v5 src0_sel:BYTE_0 src1_sel:DWORD
	s_and_saveexec_b64 s[54:55], s[52:53]
	s_xor_b64 s[52:53], exec, s[54:55]
	s_cbranch_execz .LBB94_6120
; %bb.6119:
	v_cvt_i32_f32_e32 v4, v4
	flat_store_byte v[2:3], v4
                                        ; implicit-def: $vgpr4
                                        ; implicit-def: $vgpr2_vgpr3
.LBB94_6120:
	s_andn2_saveexec_b64 s[52:53], s[52:53]
	s_cbranch_execz .LBB94_6122
; %bb.6121:
	v_trunc_f32_e32 v4, v4
	s_mov_b32 s54, 0x2f800000
	v_mul_f32_e64 v5, |v4|, s54
	v_floor_f32_e32 v5, v5
	s_mov_b32 s54, 0xcf800000
	v_fma_f32 v5, v5, s54, |v4|
	v_cvt_u32_f32_e32 v5, v5
	v_ashrrev_i32_e32 v4, 31, v4
	v_xor_b32_e32 v5, v5, v4
	v_sub_u32_e32 v4, v5, v4
	flat_store_byte v[2:3], v4
.LBB94_6122:
	s_or_b64 exec, exec, s[52:53]
.LBB94_6123:
	s_or_b64 exec, exec, vcc
.LBB94_6124:
	s_or_b64 exec, exec, s[50:51]
	s_or_b64 s[46:47], s[46:47], exec
	s_or_b64 exec, exec, s[40:41]
	s_mov_b64 vcc, 0
	s_and_saveexec_b64 s[40:41], s[46:47]
	s_cbranch_execnz .LBB94_3843
	s_branch .LBB94_3844
.LBB94_6125:
	v_bfe_u32 v5, v4, 21, 1
	s_mov_b32 s44, 0x88fffff
	v_add3_u32 v5, v4, v5, s44
	s_mov_b64 s[42:43], exec
	v_lshrrev_b32_e32 v5, 21, v5
                                        ; implicit-def: $vgpr99
	s_or_saveexec_b64 s[44:45], s[4:5]
                                        ; implicit-def: $sgpr46
	s_xor_b64 exec, exec, s[44:45]
	s_cbranch_execz .LBB94_5300
.LBB94_6126:
	v_add_f32_e32 v5, 0x42800000, v99
	v_and_b32_e32 v5, 0xff, v5
	v_cmp_ne_u32_e64 s[4:5], 0, v5
	s_andn2_b64 s[42:43], s[42:43], exec
	s_and_b64 s[4:5], s[4:5], exec
	s_mov_b32 s46, 0
	s_or_b64 s[42:43], s[42:43], s[4:5]
	s_or_b64 exec, exec, s[44:45]
	v_mov_b32_e32 v100, s46
	s_and_saveexec_b64 s[4:5], s[42:43]
	s_cbranch_execnz .LBB94_5301
	s_branch .LBB94_5302
.LBB94_6127:
	v_bfe_u32 v5, v4, 20, 1
	s_mov_b32 s46, 0x487ffff
	v_add3_u32 v5, v4, v5, s46
	s_mov_b64 s[44:45], exec
	v_lshrrev_b32_e32 v5, 20, v5
                                        ; implicit-def: $vgpr97
	s_or_saveexec_b64 s[46:47], s[4:5]
                                        ; implicit-def: $sgpr48
	s_xor_b64 exec, exec, s[46:47]
	s_cbranch_execz .LBB94_5409
.LBB94_6128:
	v_add_f32_e32 v5, 0x46000000, v97
	v_and_b32_e32 v5, 0xff, v5
	v_cmp_ne_u32_e64 s[4:5], 0, v5
	s_andn2_b64 s[44:45], s[44:45], exec
	s_and_b64 s[4:5], s[4:5], exec
	s_mov_b32 s48, 0
	s_or_b64 s[44:45], s[44:45], s[4:5]
	s_or_b64 exec, exec, s[46:47]
	v_mov_b32_e32 v98, s48
	s_and_saveexec_b64 s[4:5], s[44:45]
	s_cbranch_execnz .LBB94_5410
	s_branch .LBB94_5411
.LBB94_6129:
	s_mov_b64 s[46:47], s[4:5]
	v_readlane_b32 s4, v44, 60
	v_mov_b32_e32 v5, 25
	v_readlane_b32 s5, v44, 61
	s_mov_b64 s[48:49], s[6:7]
	v_cmp_gt_i16_sdwa s[52:53], v11, v5 src0_sel:BYTE_0 src1_sel:DWORD
	s_mov_b64 s[6:7], 0
	s_mov_b64 s[50:51], s[4:5]
	s_and_saveexec_b64 s[54:55], s[52:53]
	s_xor_b64 s[52:53], exec, s[54:55]
	s_cbranch_execz .LBB94_6165
; %bb.6130:
	v_mov_b32_e32 v5, 28
	v_cmp_gt_i16_sdwa s[50:51], v11, v5 src0_sel:BYTE_0 src1_sel:DWORD
	s_mov_b64 s[54:55], s[4:5]
	s_and_saveexec_b64 s[4:5], s[50:51]
	s_xor_b64 s[50:51], exec, s[4:5]
	s_cbranch_execz .LBB94_6148
; %bb.6131:
	v_mov_b32_e32 v5, 43
	v_readlane_b32 s6, v44, 60
	v_cmp_gt_i16_sdwa s[54:55], v11, v5 src0_sel:BYTE_0 src1_sel:DWORD
	s_mov_b64 s[4:5], 0
	v_readlane_b32 s7, v44, 61
	s_and_saveexec_b64 s[56:57], s[54:55]
	s_xor_b64 s[54:55], exec, s[56:57]
	s_cbranch_execz .LBB94_6143
; %bb.6132:
	v_mov_b32_e32 v5, 45
	v_readlane_b32 s58, v44, 60
	v_cmp_gt_i16_sdwa s[4:5], v11, v5 src0_sel:BYTE_0 src1_sel:DWORD
	s_mov_b64 s[56:57], 0
	v_readlane_b32 s59, v44, 61
	s_and_saveexec_b64 s[6:7], s[4:5]
	s_xor_b64 s[6:7], exec, s[6:7]
	s_cbranch_execz .LBB94_6136
; %bb.6133:
	v_mov_b32_e32 v5, 46
	v_cmp_eq_u16_sdwa s[60:61], v11, v5 src0_sel:BYTE_0 src1_sel:DWORD
	s_mov_b64 s[4:5], -1
	s_and_saveexec_b64 s[58:59], s[60:61]
	s_cbranch_execz .LBB94_6135
; %bb.6134:
	v_bfe_u32 v5, v4, 16, 1
	s_movk_i32 s4, 0x7fff
	v_add3_u32 v5, v4, v5, s4
	v_lshrrev_b32_e32 v5, 16, v5
	v_mov_b32_e32 v69, 0x7fc0
	v_cmp_o_f32_e64 s[4:5], v4, v4
	v_cndmask_b32_e64 v4, v69, v5, s[4:5]
	s_mov_b64 s[56:57], exec
	flat_store_dword v[2:3], v4
	s_xor_b64 s[4:5], exec, -1
.LBB94_6135:
	s_or_b64 exec, exec, s[58:59]
	v_readlane_b32 s58, v44, 60
	v_readlane_b32 s59, v44, 61
	s_andn2_b64 s[58:59], s[58:59], exec
	s_and_b64 s[4:5], s[4:5], exec
	s_or_b64 s[58:59], s[58:59], s[4:5]
	s_and_b64 s[56:57], s[56:57], exec
                                        ; implicit-def: $vgpr2_vgpr3
                                        ; implicit-def: $vgpr4
.LBB94_6136:
	s_andn2_saveexec_b64 s[60:61], s[6:7]
	s_cbranch_execz .LBB94_6142
; %bb.6137:
	v_mov_b32_e32 v5, 44
	v_cmp_eq_u16_sdwa s[64:65], v11, v5 src0_sel:BYTE_0 src1_sel:DWORD
	s_mov_b64 s[6:7], -1
	s_mov_b64 s[4:5], s[56:57]
	s_and_saveexec_b64 s[62:63], s[64:65]
	s_cbranch_execz .LBB94_6141
; %bb.6138:
	v_bfe_u32 v5, v4, 23, 8
	s_movk_i32 s4, 0xff
	v_cmp_ne_u32_e64 s[4:5], s4, v5
	v_mov_b32_e32 v69, 0xff
	s_and_saveexec_b64 s[64:65], s[4:5]
; %bb.6139:
	s_mov_b32 s6, 0x3fffff
	v_lshrrev_b32_e32 v69, 23, v4
	v_and_b32_e32 v70, 0x400000, v4
	v_and_or_b32 v4, v4, s6, v5
	v_cmp_ne_u32_e64 s[4:5], 0, v70
	v_cmp_ne_u32_e64 s[6:7], 0, v4
	s_and_b64 s[4:5], s[4:5], s[6:7]
	v_cndmask_b32_e64 v4, 0, 1, s[4:5]
	v_add_u32_e32 v69, v69, v4
; %bb.6140:
	s_or_b64 exec, exec, s[64:65]
	s_xor_b64 s[6:7], exec, -1
	s_or_b64 s[4:5], s[56:57], exec
	flat_store_byte v[2:3], v69
.LBB94_6141:
	s_or_b64 exec, exec, s[62:63]
	s_andn2_b64 s[58:59], s[58:59], exec
	s_and_b64 s[6:7], s[6:7], exec
	s_or_b64 s[58:59], s[58:59], s[6:7]
	s_andn2_b64 s[6:7], s[56:57], exec
	s_and_b64 s[4:5], s[4:5], exec
	s_or_b64 s[56:57], s[6:7], s[4:5]
.LBB94_6142:
	s_or_b64 exec, exec, s[60:61]
	v_readlane_b32 s4, v44, 60
	v_readlane_b32 s5, v44, 61
	s_andn2_b64 s[4:5], s[4:5], exec
	s_and_b64 s[6:7], s[58:59], exec
	s_or_b64 s[6:7], s[4:5], s[6:7]
	s_and_b64 s[4:5], s[56:57], exec
                                        ; implicit-def: $vgpr4
                                        ; implicit-def: $vgpr2_vgpr3
.LBB94_6143:
	s_andn2_saveexec_b64 s[54:55], s[54:55]
	s_cbranch_execz .LBB94_6147
; %bb.6144:
	v_mov_b32_e32 v5, 29
	v_cmp_eq_u16_sdwa s[62:63], v11, v5 src0_sel:BYTE_0 src1_sel:DWORD
	s_mov_b64 s[60:61], -1
	s_mov_b64 s[58:59], s[4:5]
	s_and_saveexec_b64 s[56:57], s[62:63]
	s_cbranch_execz .LBB94_6146
; %bb.6145:
	v_trunc_f32_e32 v4, v4
	v_mul_f32_e32 v5, 0x2f800000, v4
	v_floor_f32_e32 v69, v5
	v_fmac_f32_e32 v4, 0xcf800000, v69
	v_cvt_u32_f32_e32 v5, v69
	v_cvt_u32_f32_e32 v4, v4
	s_xor_b64 s[60:61], exec, -1
	s_or_b64 s[58:59], s[4:5], exec
	flat_store_dwordx2 v[2:3], v[4:5]
.LBB94_6146:
	s_or_b64 exec, exec, s[56:57]
	s_andn2_b64 s[6:7], s[6:7], exec
	s_and_b64 s[56:57], s[60:61], exec
	s_or_b64 s[6:7], s[6:7], s[56:57]
	s_andn2_b64 s[4:5], s[4:5], exec
	s_and_b64 s[56:57], s[58:59], exec
	s_or_b64 s[4:5], s[4:5], s[56:57]
.LBB94_6147:
	s_or_b64 exec, exec, s[54:55]
	v_readlane_b32 s54, v44, 60
	v_readlane_b32 s55, v44, 61
	s_andn2_b64 s[54:55], s[54:55], exec
	s_and_b64 s[6:7], s[6:7], exec
	s_or_b64 s[54:55], s[54:55], s[6:7]
	s_and_b64 s[6:7], s[4:5], exec
                                        ; implicit-def: $vgpr2_vgpr3
                                        ; implicit-def: $vgpr69
                                        ; implicit-def: $vgpr4
.LBB94_6148:
	s_andn2_saveexec_b64 s[50:51], s[50:51]
	s_cbranch_execz .LBB94_6164
; %bb.6149:
	v_mov_b32_e32 v5, 26
	v_cmp_gt_i16_sdwa s[4:5], v11, v5 src0_sel:BYTE_0 src1_sel:DWORD
	s_and_saveexec_b64 s[56:57], s[4:5]
	s_xor_b64 s[4:5], exec, s[56:57]
	s_cbranch_execz .LBB94_6155
; %bb.6150:
	v_cvt_u32_f32_e32 v4, v4
	v_mov_b32_e32 v5, 27
	v_cmp_gt_i16_sdwa s[56:57], v11, v5 src0_sel:BYTE_0 src1_sel:DWORD
	s_and_saveexec_b64 s[58:59], s[56:57]
	s_xor_b64 s[56:57], exec, s[58:59]
	s_cbranch_execz .LBB94_6152
; %bb.6151:
	flat_store_dword v[2:3], v4
                                        ; implicit-def: $vgpr2_vgpr3
                                        ; implicit-def: $vgpr4
.LBB94_6152:
	s_andn2_saveexec_b64 s[56:57], s[56:57]
	s_cbranch_execz .LBB94_6154
; %bb.6153:
	flat_store_short v[2:3], v4
.LBB94_6154:
	s_or_b64 exec, exec, s[56:57]
                                        ; implicit-def: $vgpr2_vgpr3
                                        ; implicit-def: $vgpr69
                                        ; implicit-def: $vgpr4
.LBB94_6155:
	s_andn2_saveexec_b64 s[56:57], s[4:5]
	s_cbranch_execz .LBB94_6163
; %bb.6156:
	v_cndmask_b32_e64 v69, |v0|, |v69|, vcc
	s_mov_b32 s4, 0x43800000
	v_cmp_gt_u32_e64 s[4:5], s4, v69
	v_mov_b32_e32 v70, 0x80
	s_and_saveexec_b64 s[58:59], s[4:5]
	s_cbranch_execz .LBB94_6162
; %bb.6157:
	s_mov_b32 s4, 0x3bffffff
	v_cmp_lt_u32_e64 s[4:5], s4, v69
	s_mov_b64 s[60:61], 0
                                        ; implicit-def: $vgpr5
	s_and_saveexec_b64 s[62:63], s[4:5]
	s_xor_b64 s[4:5], exec, s[62:63]
	s_cbranch_execnz .LBB94_6761
; %bb.6158:
	s_or_saveexec_b64 s[62:63], s[4:5]
                                        ; implicit-def: $sgpr64
	s_xor_b64 exec, exec, s[62:63]
	s_cbranch_execnz .LBB94_6762
.LBB94_6159:
	s_or_b64 exec, exec, s[62:63]
	v_mov_b32_e32 v70, s64
	s_and_saveexec_b64 s[4:5], s[60:61]
.LBB94_6160:
	v_lshrrev_b32_e32 v4, 24, v4
	s_movk_i32 s60, 0x80
	v_and_or_b32 v70, v4, s60, v5
.LBB94_6161:
	s_or_b64 exec, exec, s[4:5]
.LBB94_6162:
	s_or_b64 exec, exec, s[58:59]
	flat_store_byte v[2:3], v70
.LBB94_6163:
	s_or_b64 exec, exec, s[56:57]
	s_or_b64 s[6:7], s[6:7], exec
.LBB94_6164:
	s_or_b64 exec, exec, s[50:51]
	v_readlane_b32 s4, v44, 60
	v_readlane_b32 s5, v44, 61
	s_andn2_b64 s[50:51], s[4:5], exec
	s_and_b64 s[54:55], s[54:55], exec
	s_or_b64 s[50:51], s[50:51], s[54:55]
	s_and_b64 s[6:7], s[6:7], exec
                                        ; implicit-def: $vgpr4
                                        ; implicit-def: $vgpr2_vgpr3
                                        ; implicit-def: $vgpr69
.LBB94_6165:
	s_andn2_saveexec_b64 s[52:53], s[52:53]
	s_cbranch_execz .LBB94_6209
; %bb.6166:
	v_mov_b32_e32 v5, 22
	v_cmp_gt_i16_sdwa s[54:55], v11, v5 src0_sel:BYTE_0 src1_sel:DWORD
	s_mov_b64 s[4:5], s[6:7]
	s_and_saveexec_b64 s[56:57], s[54:55]
	s_xor_b64 s[54:55], exec, s[56:57]
	s_cbranch_execz .LBB94_6198
; %bb.6167:
	v_mov_b32_e32 v5, 23
	v_cmp_gt_i16_sdwa s[4:5], v11, v5 src0_sel:BYTE_0 src1_sel:DWORD
	s_and_saveexec_b64 s[56:57], s[4:5]
	s_xor_b64 s[56:57], exec, s[56:57]
	s_cbranch_execz .LBB94_6187
; %bb.6168:
	v_mov_b32_e32 v5, 24
	v_cmp_gt_i16_sdwa s[4:5], v11, v5 src0_sel:BYTE_0 src1_sel:DWORD
	s_and_saveexec_b64 s[58:59], s[4:5]
	s_xor_b64 s[58:59], exec, s[58:59]
	s_cbranch_execz .LBB94_6176
; %bb.6169:
	v_cndmask_b32_e64 v69, |v0|, |v69|, vcc
	s_mov_b32 s4, 0x47800000
	v_cmp_gt_u32_e64 s[4:5], s4, v69
	v_mov_b32_e32 v70, 0x80
	s_and_saveexec_b64 s[60:61], s[4:5]
	s_cbranch_execz .LBB94_6175
; %bb.6170:
	s_mov_b32 s4, 0x37ffffff
	v_cmp_lt_u32_e64 s[4:5], s4, v69
	s_mov_b64 s[62:63], 0
                                        ; implicit-def: $vgpr5
	s_and_saveexec_b64 s[64:65], s[4:5]
	s_xor_b64 s[4:5], exec, s[64:65]
	s_cbranch_execnz .LBB94_6887
; %bb.6171:
	s_or_saveexec_b64 s[64:65], s[4:5]
                                        ; implicit-def: $sgpr66
	s_xor_b64 exec, exec, s[64:65]
	s_cbranch_execnz .LBB94_6888
.LBB94_6172:
	s_or_b64 exec, exec, s[64:65]
	v_mov_b32_e32 v70, s66
	s_and_saveexec_b64 s[4:5], s[62:63]
.LBB94_6173:
	v_lshrrev_b32_e32 v4, 24, v4
	s_movk_i32 s62, 0x80
	v_and_or_b32 v70, v4, s62, v5
.LBB94_6174:
	s_or_b64 exec, exec, s[4:5]
.LBB94_6175:
	s_or_b64 exec, exec, s[60:61]
	flat_store_byte v[2:3], v70
                                        ; implicit-def: $vgpr4
                                        ; implicit-def: $vgpr2_vgpr3
                                        ; implicit-def: $vgpr69
.LBB94_6176:
	s_andn2_saveexec_b64 s[58:59], s[58:59]
	s_cbranch_execz .LBB94_6186
; %bb.6177:
	v_cndmask_b32_e64 v69, |v0|, |v69|, vcc
	s_mov_b32 s4, 0x43f00000
	v_cmp_gt_u32_e64 s[4:5], s4, v69
                                        ; implicit-def: $vgpr5
	s_and_saveexec_b64 s[60:61], s[4:5]
	s_xor_b64 s[60:61], exec, s[60:61]
	s_cbranch_execz .LBB94_6183
; %bb.6178:
	s_mov_b32 s4, 0x3c7fffff
	v_cmp_lt_u32_e64 s[4:5], s4, v69
                                        ; implicit-def: $vgpr5
	s_and_saveexec_b64 s[62:63], s[4:5]
	s_xor_b64 s[62:63], exec, s[62:63]
; %bb.6179:
	v_bfe_u32 v5, v4, 20, 1
	s_mov_b32 s4, 0x407ffff
	v_add3_u32 v5, v4, v5, s4
	v_lshrrev_b32_e32 v69, 20, v5
	v_and_b32_e32 v5, 0xff00000, v5
	s_mov_b32 s4, 0x7f00000
	v_mov_b32_e32 v70, 0x7e
	v_cmp_ne_u32_e64 s[4:5], s4, v5
	v_cndmask_b32_e64 v5, v70, v69, s[4:5]
                                        ; implicit-def: $vgpr69
; %bb.6180:
	s_andn2_saveexec_b64 s[4:5], s[62:63]
; %bb.6181:
	v_add_f32_e32 v5, 0x46800000, v69
; %bb.6182:
	s_or_b64 exec, exec, s[4:5]
                                        ; implicit-def: $vgpr69
.LBB94_6183:
	s_andn2_saveexec_b64 s[60:61], s[60:61]
; %bb.6184:
	s_mov_b32 s4, 0x7f800000
	v_mov_b32_e32 v5, 0x7e
	v_mov_b32_e32 v70, 0x7f
	v_cmp_lt_u32_e64 s[4:5], s4, v69
	v_cndmask_b32_e64 v5, v5, v70, s[4:5]
; %bb.6185:
	s_or_b64 exec, exec, s[60:61]
	v_lshrrev_b32_e32 v4, 24, v4
	s_movk_i32 s4, 0x80
	v_and_or_b32 v4, v4, s4, v5
	flat_store_byte v[2:3], v4
.LBB94_6186:
	s_or_b64 exec, exec, s[58:59]
                                        ; implicit-def: $vgpr4
                                        ; implicit-def: $vgpr2_vgpr3
                                        ; implicit-def: $vgpr69
.LBB94_6187:
	s_andn2_saveexec_b64 s[4:5], s[56:57]
	s_cbranch_execz .LBB94_6197
; %bb.6188:
	v_cndmask_b32_e64 v69, |v0|, |v69|, vcc
	s_mov_b32 vcc_lo, 0x47800000
	v_cmp_gt_u32_e32 vcc, vcc_lo, v69
                                        ; implicit-def: $vgpr5
	s_and_saveexec_b64 s[56:57], vcc
	s_xor_b64 s[56:57], exec, s[56:57]
	s_cbranch_execz .LBB94_6194
; %bb.6189:
	s_mov_b32 vcc_lo, 0x387fffff
	v_cmp_lt_u32_e32 vcc, vcc_lo, v69
                                        ; implicit-def: $vgpr5
	s_and_saveexec_b64 s[58:59], vcc
	s_xor_b64 vcc, exec, s[58:59]
; %bb.6190:
	v_bfe_u32 v5, v4, 21, 1
	s_mov_b32 s58, 0x80fffff
	v_add3_u32 v5, v4, v5, s58
	v_lshrrev_b32_e32 v5, 21, v5
                                        ; implicit-def: $vgpr69
; %bb.6191:
	s_andn2_saveexec_b64 vcc, vcc
; %bb.6192:
	v_add_f32_e32 v5, 0x43000000, v69
; %bb.6193:
	s_or_b64 exec, exec, vcc
                                        ; implicit-def: $vgpr69
.LBB94_6194:
	s_andn2_saveexec_b64 s[56:57], s[56:57]
; %bb.6195:
	s_mov_b32 vcc_lo, 0x7f800000
	v_mov_b32_e32 v5, 0x7c
	v_mov_b32_e32 v70, 0x7f
	v_cmp_lt_u32_e32 vcc, vcc_lo, v69
	v_cndmask_b32_e32 v5, v5, v70, vcc
; %bb.6196:
	s_or_b64 exec, exec, s[56:57]
	v_lshrrev_b32_e32 v4, 24, v4
	s_movk_i32 vcc_lo, 0x80
	v_and_or_b32 v4, v4, vcc_lo, v5
	flat_store_byte v[2:3], v4
.LBB94_6197:
	s_or_b64 exec, exec, s[4:5]
	s_or_b64 s[4:5], s[6:7], exec
                                        ; implicit-def: $vgpr4
                                        ; implicit-def: $vgpr2_vgpr3
.LBB94_6198:
	s_or_saveexec_b64 s[54:55], s[54:55]
	s_mov_b64 vcc, s[50:51]
	s_xor_b64 exec, exec, s[54:55]
	s_cbranch_execz .LBB94_6208
; %bb.6199:
	v_mov_b32_e32 v5, 14
	v_cmp_gt_i16_sdwa vcc, v11, v5 src0_sel:BYTE_0 src1_sel:DWORD
	s_mov_b64 s[56:57], s[4:5]
	s_mov_b64 s[58:59], s[50:51]
	s_and_saveexec_b64 s[60:61], vcc
	s_xor_b64 s[60:61], exec, s[60:61]
	s_cbranch_execz .LBB94_6203
; %bb.6200:
	v_mov_b32_e32 v5, 15
	v_cmp_eq_u16_sdwa s[62:63], v11, v5 src0_sel:BYTE_0 src1_sel:DWORD
	s_mov_b64 s[58:59], -1
	s_mov_b64 vcc, s[4:5]
	s_and_saveexec_b64 s[56:57], s[62:63]
	s_cbranch_execz .LBB94_6202
; %bb.6201:
	v_bfe_u32 v5, v4, 16, 1
	s_movk_i32 vcc_lo, 0x7fff
	v_add3_u32 v5, v4, v5, vcc_lo
	v_lshrrev_b32_e32 v5, 16, v5
	v_mov_b32_e32 v69, 0x7fc0
	v_cmp_o_f32_e32 vcc, v4, v4
	v_cndmask_b32_e32 v4, v69, v5, vcc
	flat_store_short v[2:3], v4
	s_xor_b64 s[58:59], exec, -1
	s_or_b64 vcc, s[4:5], exec
.LBB94_6202:
	s_or_b64 exec, exec, s[56:57]
	s_andn2_b64 s[56:57], s[50:51], exec
	s_and_b64 s[58:59], s[58:59], exec
	s_or_b64 s[58:59], s[56:57], s[58:59]
	s_andn2_b64 s[56:57], s[4:5], exec
	s_and_b64 vcc, vcc, exec
	s_or_b64 s[56:57], s[56:57], vcc
                                        ; implicit-def: $vgpr4
                                        ; implicit-def: $vgpr2_vgpr3
.LBB94_6203:
	s_andn2_saveexec_b64 s[60:61], s[60:61]
	s_cbranch_execz .LBB94_6207
; %bb.6204:
	v_mov_b32_e32 v5, 11
	v_cmp_eq_u16_sdwa s[66:67], v11, v5 src0_sel:BYTE_0 src1_sel:DWORD
	s_mov_b64 s[62:63], -1
	s_mov_b64 vcc, s[56:57]
	s_and_saveexec_b64 s[64:65], s[66:67]
	s_cbranch_execz .LBB94_6206
; %bb.6205:
	v_cmp_neq_f32_e32 vcc, 0, v4
	v_cndmask_b32_e64 v4, 0, 1, vcc
	flat_store_byte v[2:3], v4
	s_xor_b64 s[62:63], exec, -1
	s_or_b64 vcc, s[56:57], exec
.LBB94_6206:
	s_or_b64 exec, exec, s[64:65]
	s_andn2_b64 s[58:59], s[58:59], exec
	s_and_b64 s[62:63], s[62:63], exec
	s_andn2_b64 s[56:57], s[56:57], exec
	s_and_b64 vcc, vcc, exec
	s_or_b64 s[58:59], s[58:59], s[62:63]
	s_or_b64 s[56:57], s[56:57], vcc
.LBB94_6207:
	s_or_b64 exec, exec, s[60:61]
	s_andn2_b64 vcc, s[50:51], exec
	s_and_b64 s[58:59], s[58:59], exec
	s_andn2_b64 s[4:5], s[4:5], exec
	s_and_b64 s[56:57], s[56:57], exec
	s_or_b64 vcc, vcc, s[58:59]
	s_or_b64 s[4:5], s[4:5], s[56:57]
.LBB94_6208:
	s_or_b64 exec, exec, s[54:55]
	s_andn2_b64 s[6:7], s[6:7], exec
	s_and_b64 s[4:5], s[4:5], exec
	s_andn2_b64 s[50:51], s[50:51], exec
	s_and_b64 vcc, vcc, exec
	s_or_b64 s[6:7], s[6:7], s[4:5]
	v_readlane_b32 s4, v44, 60
	s_or_b64 s[50:51], s[50:51], vcc
	v_readlane_b32 s5, v44, 61
.LBB94_6209:
	s_or_b64 exec, exec, s[52:53]
	s_andn2_b64 s[4:5], s[4:5], exec
	s_and_b64 vcc, s[50:51], exec
	s_or_b64 s[50:51], s[4:5], vcc
	s_and_b64 s[52:53], s[6:7], exec
	s_mov_b64 s[6:7], s[48:49]
	s_mov_b64 s[4:5], s[46:47]
                                        ; implicit-def: $vgpr4
                                        ; implicit-def: $vgpr2_vgpr3
	s_andn2_saveexec_b64 s[40:41], s[40:41]
	s_cbranch_execz .LBB94_3849
.LBB94_6210:
	v_mov_b32_e32 v5, 4
	v_cmp_gt_i16_sdwa vcc, v11, v5 src0_sel:BYTE_0 src1_sel:DWORD
	s_and_saveexec_b64 s[46:47], vcc
	s_xor_b64 vcc, exec, s[46:47]
	s_cbranch_execz .LBB94_6232
; %bb.6211:
	v_mov_b32_e32 v5, 7
	v_cmp_gt_i16_sdwa s[46:47], v11, v5 src0_sel:BYTE_0 src1_sel:DWORD
	s_and_saveexec_b64 s[48:49], s[46:47]
	s_xor_b64 s[46:47], exec, s[48:49]
	s_cbranch_execz .LBB94_6221
; %bb.6212:
	v_mov_b32_e32 v5, 8
	v_cmp_gt_i16_sdwa s[48:49], v11, v5 src0_sel:BYTE_0 src1_sel:DWORD
	s_and_saveexec_b64 s[54:55], s[48:49]
	s_xor_b64 s[48:49], exec, s[54:55]
	;; [unrolled: 6-line block ×3, first 2 shown]
	s_cbranch_execz .LBB94_6215
; %bb.6214:
	v_mov_b32_e32 v82, 0
	v_cvt_f64_f32_e32 v[80:81], v4
	v_mov_b32_e32 v83, v82
	flat_store_dwordx4 v[2:3], v[80:83]
                                        ; implicit-def: $vgpr4
                                        ; implicit-def: $vgpr2_vgpr3
.LBB94_6215:
	s_andn2_saveexec_b64 s[54:55], s[54:55]
	s_cbranch_execz .LBB94_6217
; %bb.6216:
	v_mov_b32_e32 v5, 0
	flat_store_dwordx2 v[2:3], v[4:5]
.LBB94_6217:
	s_or_b64 exec, exec, s[54:55]
                                        ; implicit-def: $vgpr4
                                        ; implicit-def: $vgpr2_vgpr3
.LBB94_6218:
	s_andn2_saveexec_b64 s[48:49], s[48:49]
	s_cbranch_execz .LBB94_6220
; %bb.6219:
	v_cvt_f16_f32_e32 v4, v4
	flat_store_dword v[2:3], v4
.LBB94_6220:
	s_or_b64 exec, exec, s[48:49]
                                        ; implicit-def: $vgpr4
                                        ; implicit-def: $vgpr2_vgpr3
.LBB94_6221:
	s_andn2_saveexec_b64 s[46:47], s[46:47]
	s_cbranch_execz .LBB94_6231
; %bb.6222:
	v_mov_b32_e32 v5, 5
	v_cmp_gt_i16_sdwa s[48:49], v11, v5 src0_sel:BYTE_0 src1_sel:DWORD
	s_and_saveexec_b64 s[54:55], s[48:49]
	s_xor_b64 s[48:49], exec, s[54:55]
	s_cbranch_execz .LBB94_6228
; %bb.6223:
	v_mov_b32_e32 v5, 6
	v_cmp_gt_i16_sdwa s[54:55], v11, v5 src0_sel:BYTE_0 src1_sel:DWORD
	s_and_saveexec_b64 s[56:57], s[54:55]
	s_xor_b64 s[54:55], exec, s[56:57]
	s_cbranch_execz .LBB94_6225
; %bb.6224:
	v_cvt_f64_f32_e32 v[4:5], v4
	flat_store_dwordx2 v[2:3], v[4:5]
                                        ; implicit-def: $vgpr2_vgpr3
                                        ; implicit-def: $vgpr4
.LBB94_6225:
	s_andn2_saveexec_b64 s[54:55], s[54:55]
	s_cbranch_execz .LBB94_6227
; %bb.6226:
	flat_store_dword v[2:3], v4
.LBB94_6227:
	s_or_b64 exec, exec, s[54:55]
                                        ; implicit-def: $vgpr4
                                        ; implicit-def: $vgpr2_vgpr3
.LBB94_6228:
	s_andn2_saveexec_b64 s[48:49], s[48:49]
	s_cbranch_execz .LBB94_6230
; %bb.6229:
	v_cvt_f16_f32_e32 v4, v4
	flat_store_short v[2:3], v4
.LBB94_6230:
	s_or_b64 exec, exec, s[48:49]
.LBB94_6231:
	s_or_b64 exec, exec, s[46:47]
                                        ; implicit-def: $vgpr4
                                        ; implicit-def: $vgpr2_vgpr3
.LBB94_6232:
	s_andn2_saveexec_b64 s[46:47], vcc
	s_cbranch_execz .LBB94_6250
; %bb.6233:
	v_mov_b32_e32 v5, 1
	v_cmp_gt_i16_sdwa vcc, v11, v5 src0_sel:BYTE_0 src1_sel:DWORD
	s_and_saveexec_b64 s[48:49], vcc
	s_xor_b64 s[48:49], exec, s[48:49]
	s_cbranch_execz .LBB94_6243
; %bb.6234:
	v_mov_b32_e32 v5, 2
	v_cmp_gt_i16_sdwa vcc, v11, v5 src0_sel:BYTE_0 src1_sel:DWORD
	s_and_saveexec_b64 s[54:55], vcc
	s_xor_b64 s[54:55], exec, s[54:55]
	;; [unrolled: 6-line block ×3, first 2 shown]
	s_cbranch_execz .LBB94_6237
; %bb.6236:
	v_trunc_f32_e32 v4, v4
	s_mov_b32 s58, 0x2f800000
	v_mul_f32_e64 v5, |v4|, s58
	v_floor_f32_e32 v5, v5
	s_mov_b32 s58, 0xcf800000
	v_cvt_u32_f32_e32 v69, v5
	v_fma_f32 v5, v5, s58, |v4|
	v_cvt_u32_f32_e32 v5, v5
	v_ashrrev_i32_e32 v70, 31, v4
	v_xor_b32_e32 v69, v69, v70
	v_xor_b32_e32 v4, v5, v70
	v_sub_co_u32_e32 v4, vcc, v4, v70
	v_subb_co_u32_e32 v5, vcc, v69, v70, vcc
	flat_store_dwordx2 v[2:3], v[4:5]
                                        ; implicit-def: $vgpr4
                                        ; implicit-def: $vgpr2_vgpr3
.LBB94_6237:
	s_andn2_saveexec_b64 vcc, s[56:57]
	s_cbranch_execz .LBB94_6239
; %bb.6238:
	v_cvt_i32_f32_e32 v4, v4
	flat_store_dword v[2:3], v4
.LBB94_6239:
	s_or_b64 exec, exec, vcc
                                        ; implicit-def: $vgpr4
                                        ; implicit-def: $vgpr2_vgpr3
.LBB94_6240:
	s_andn2_saveexec_b64 vcc, s[54:55]
	s_cbranch_execz .LBB94_6242
; %bb.6241:
	v_cvt_i32_f32_e32 v4, v4
	flat_store_short v[2:3], v4
.LBB94_6242:
	s_or_b64 exec, exec, vcc
                                        ; implicit-def: $vgpr4
                                        ; implicit-def: $vgpr2_vgpr3
.LBB94_6243:
	s_andn2_saveexec_b64 vcc, s[48:49]
	s_cbranch_execz .LBB94_6249
; %bb.6244:
	v_mov_b32_e32 v5, 0
	v_cmp_gt_i16_sdwa s[48:49], v11, v5 src0_sel:BYTE_0 src1_sel:DWORD
	s_and_saveexec_b64 s[54:55], s[48:49]
	s_xor_b64 s[48:49], exec, s[54:55]
	s_cbranch_execz .LBB94_6246
; %bb.6245:
	v_cvt_i32_f32_e32 v4, v4
	flat_store_byte v[2:3], v4
                                        ; implicit-def: $vgpr4
                                        ; implicit-def: $vgpr2_vgpr3
.LBB94_6246:
	s_andn2_saveexec_b64 s[48:49], s[48:49]
	s_cbranch_execz .LBB94_6248
; %bb.6247:
	v_trunc_f32_e32 v4, v4
	s_mov_b32 s54, 0x2f800000
	v_mul_f32_e64 v5, |v4|, s54
	v_floor_f32_e32 v5, v5
	s_mov_b32 s54, 0xcf800000
	v_fma_f32 v5, v5, s54, |v4|
	v_cvt_u32_f32_e32 v5, v5
	v_ashrrev_i32_e32 v4, 31, v4
	v_xor_b32_e32 v5, v5, v4
	v_sub_u32_e32 v4, v5, v4
	flat_store_byte v[2:3], v4
.LBB94_6248:
	s_or_b64 exec, exec, s[48:49]
.LBB94_6249:
	s_or_b64 exec, exec, vcc
.LBB94_6250:
	s_or_b64 exec, exec, s[46:47]
	s_or_b64 s[52:53], s[52:53], exec
	s_or_b64 exec, exec, s[40:41]
	s_mov_b64 vcc, 0
	s_and_saveexec_b64 s[40:41], s[52:53]
	s_cbranch_execnz .LBB94_3850
	s_branch .LBB94_3851
.LBB94_6251:
	v_bfe_u32 v5, v4, 21, 1
	s_mov_b32 s48, 0x88fffff
	v_add3_u32 v5, v4, v5, s48
	s_mov_b64 s[46:47], exec
	v_lshrrev_b32_e32 v5, 21, v5
                                        ; implicit-def: $vgpr97
	s_or_saveexec_b64 s[48:49], s[4:5]
                                        ; implicit-def: $sgpr50
	s_xor_b64 exec, exec, s[48:49]
	s_cbranch_execz .LBB94_5422
.LBB94_6252:
	v_add_f32_e32 v5, 0x42800000, v97
	v_and_b32_e32 v5, 0xff, v5
	v_cmp_ne_u32_e64 s[4:5], 0, v5
	s_andn2_b64 s[46:47], s[46:47], exec
	s_and_b64 s[4:5], s[4:5], exec
	s_mov_b32 s50, 0
	s_or_b64 s[46:47], s[46:47], s[4:5]
	s_or_b64 exec, exec, s[48:49]
	v_mov_b32_e32 v98, s50
	s_and_saveexec_b64 s[4:5], s[46:47]
	s_cbranch_execnz .LBB94_5423
	s_branch .LBB94_5424
.LBB94_6253:
	v_bfe_u32 v5, v4, 20, 1
	s_mov_b32 s50, 0x487ffff
	v_add3_u32 v5, v4, v5, s50
	s_mov_b64 s[48:49], exec
	v_lshrrev_b32_e32 v5, 20, v5
                                        ; implicit-def: $vgpr87
	s_or_saveexec_b64 s[50:51], s[4:5]
                                        ; implicit-def: $sgpr52
	s_xor_b64 exec, exec, s[50:51]
	s_cbranch_execz .LBB94_5533
.LBB94_6254:
	v_add_f32_e32 v5, 0x46000000, v87
	v_and_b32_e32 v5, 0xff, v5
	v_cmp_ne_u32_e64 s[4:5], 0, v5
	s_andn2_b64 s[48:49], s[48:49], exec
	s_and_b64 s[4:5], s[4:5], exec
	s_mov_b32 s52, 0
	s_or_b64 s[48:49], s[48:49], s[4:5]
	s_or_b64 exec, exec, s[50:51]
	v_mov_b32_e32 v96, s52
	s_and_saveexec_b64 s[4:5], s[48:49]
	s_cbranch_execnz .LBB94_5534
	s_branch .LBB94_5535
.LBB94_6255:
	v_bfe_u32 v5, v4, 21, 1
	s_mov_b32 s52, 0x88fffff
	v_add3_u32 v5, v4, v5, s52
	s_mov_b64 s[50:51], exec
	v_lshrrev_b32_e32 v5, 21, v5
                                        ; implicit-def: $vgpr87
	s_or_saveexec_b64 s[52:53], s[4:5]
                                        ; implicit-def: $sgpr54
	s_xor_b64 exec, exec, s[52:53]
	s_cbranch_execz .LBB94_5546
.LBB94_6256:
	v_add_f32_e32 v5, 0x42800000, v87
	v_and_b32_e32 v5, 0xff, v5
	v_cmp_ne_u32_e64 s[4:5], 0, v5
	s_andn2_b64 s[50:51], s[50:51], exec
	s_and_b64 s[4:5], s[4:5], exec
	s_mov_b32 s54, 0
	s_or_b64 s[50:51], s[50:51], s[4:5]
	s_or_b64 exec, exec, s[52:53]
	v_mov_b32_e32 v96, s54
	s_and_saveexec_b64 s[4:5], s[50:51]
	s_cbranch_execnz .LBB94_5547
	s_branch .LBB94_5548
.LBB94_6257:
	v_bfe_u32 v5, v4, 20, 1
	s_mov_b32 s54, 0x487ffff
	v_add3_u32 v5, v4, v5, s54
	s_mov_b64 s[52:53], exec
	v_lshrrev_b32_e32 v5, 20, v5
                                        ; implicit-def: $vgpr85
	s_or_saveexec_b64 s[54:55], s[4:5]
                                        ; implicit-def: $sgpr56
	s_xor_b64 exec, exec, s[54:55]
	s_cbranch_execz .LBB94_5657
.LBB94_6258:
	v_add_f32_e32 v5, 0x46000000, v85
	v_and_b32_e32 v5, 0xff, v5
	v_cmp_ne_u32_e64 s[4:5], 0, v5
	s_andn2_b64 s[52:53], s[52:53], exec
	s_and_b64 s[4:5], s[4:5], exec
	s_mov_b32 s56, 0
	s_or_b64 s[52:53], s[52:53], s[4:5]
	s_or_b64 exec, exec, s[54:55]
	v_mov_b32_e32 v86, s56
	s_and_saveexec_b64 s[4:5], s[52:53]
	s_cbranch_execnz .LBB94_5658
	s_branch .LBB94_5659
.LBB94_6259:
	v_mov_b32_e32 v5, 25
	v_cmp_gt_i16_sdwa s[4:5], v11, v5 src0_sel:BYTE_0 src1_sel:DWORD
	s_mov_b64 s[46:47], s[38:39]
	s_and_saveexec_b64 s[48:49], s[4:5]
	s_xor_b64 s[48:49], exec, s[48:49]
	s_cbranch_execz .LBB94_6295
; %bb.6260:
	v_mov_b32_e32 v5, 28
	v_cmp_gt_i16_sdwa s[4:5], v11, v5 src0_sel:BYTE_0 src1_sel:DWORD
	s_mov_b64 s[50:51], s[38:39]
	s_and_saveexec_b64 s[46:47], s[4:5]
	s_xor_b64 s[46:47], exec, s[46:47]
	s_cbranch_execz .LBB94_6278
; %bb.6261:
	v_mov_b32_e32 v5, 43
	v_cmp_gt_i16_sdwa s[50:51], v11, v5 src0_sel:BYTE_0 src1_sel:DWORD
	s_mov_b64 s[4:5], 0
	s_mov_b64 s[6:7], s[38:39]
	s_and_saveexec_b64 s[52:53], s[50:51]
	s_xor_b64 s[50:51], exec, s[52:53]
	s_cbranch_execz .LBB94_6273
; %bb.6262:
	v_mov_b32_e32 v5, 45
	v_cmp_gt_i16_sdwa s[4:5], v11, v5 src0_sel:BYTE_0 src1_sel:DWORD
	s_mov_b64 s[52:53], 0
	s_mov_b64 s[54:55], s[38:39]
	s_and_saveexec_b64 s[6:7], s[4:5]
	s_xor_b64 s[6:7], exec, s[6:7]
	s_cbranch_execz .LBB94_6266
; %bb.6263:
	v_mov_b32_e32 v5, 46
	v_cmp_eq_u16_sdwa s[56:57], v11, v5 src0_sel:BYTE_0 src1_sel:DWORD
	s_mov_b64 s[4:5], -1
	s_and_saveexec_b64 s[54:55], s[56:57]
	s_cbranch_execz .LBB94_6265
; %bb.6264:
	v_bfe_u32 v5, v4, 16, 1
	s_movk_i32 s4, 0x7fff
	v_add3_u32 v5, v4, v5, s4
	v_lshrrev_b32_e32 v5, 16, v5
	v_mov_b32_e32 v65, 0x7fc0
	v_cmp_o_f32_e64 s[4:5], v4, v4
	v_cndmask_b32_e64 v4, v65, v5, s[4:5]
	s_mov_b64 s[52:53], exec
	flat_store_dword v[2:3], v4
	s_xor_b64 s[4:5], exec, -1
.LBB94_6265:
	s_or_b64 exec, exec, s[54:55]
	s_andn2_b64 s[54:55], s[38:39], exec
	s_and_b64 s[4:5], s[4:5], exec
	s_or_b64 s[54:55], s[54:55], s[4:5]
	s_and_b64 s[52:53], s[52:53], exec
                                        ; implicit-def: $vgpr2_vgpr3
                                        ; implicit-def: $vgpr4
.LBB94_6266:
	s_andn2_saveexec_b64 s[56:57], s[6:7]
	s_cbranch_execz .LBB94_6272
; %bb.6267:
	v_mov_b32_e32 v5, 44
	v_cmp_eq_u16_sdwa s[60:61], v11, v5 src0_sel:BYTE_0 src1_sel:DWORD
	s_mov_b64 s[6:7], -1
	s_mov_b64 s[4:5], s[52:53]
	s_and_saveexec_b64 s[58:59], s[60:61]
	s_cbranch_execz .LBB94_6271
; %bb.6268:
	v_bfe_u32 v5, v4, 23, 8
	s_movk_i32 s4, 0xff
	v_cmp_ne_u32_e64 s[4:5], s4, v5
	v_mov_b32_e32 v65, 0xff
	s_and_saveexec_b64 s[60:61], s[4:5]
; %bb.6269:
	s_mov_b32 s6, 0x3fffff
	v_lshrrev_b32_e32 v65, 23, v4
	v_and_b32_e32 v66, 0x400000, v4
	v_and_or_b32 v4, v4, s6, v5
	v_cmp_ne_u32_e64 s[4:5], 0, v66
	v_cmp_ne_u32_e64 s[6:7], 0, v4
	s_and_b64 s[4:5], s[4:5], s[6:7]
	v_cndmask_b32_e64 v4, 0, 1, s[4:5]
	v_add_u32_e32 v65, v65, v4
; %bb.6270:
	s_or_b64 exec, exec, s[60:61]
	s_xor_b64 s[6:7], exec, -1
	s_or_b64 s[4:5], s[52:53], exec
	flat_store_byte v[2:3], v65
.LBB94_6271:
	s_or_b64 exec, exec, s[58:59]
	s_andn2_b64 s[54:55], s[54:55], exec
	s_and_b64 s[6:7], s[6:7], exec
	s_or_b64 s[54:55], s[54:55], s[6:7]
	s_andn2_b64 s[6:7], s[52:53], exec
	s_and_b64 s[4:5], s[4:5], exec
	s_or_b64 s[52:53], s[6:7], s[4:5]
.LBB94_6272:
	s_or_b64 exec, exec, s[56:57]
	s_andn2_b64 s[4:5], s[38:39], exec
	s_and_b64 s[6:7], s[54:55], exec
	s_or_b64 s[6:7], s[4:5], s[6:7]
	s_and_b64 s[4:5], s[52:53], exec
                                        ; implicit-def: $vgpr4
                                        ; implicit-def: $vgpr2_vgpr3
.LBB94_6273:
	s_andn2_saveexec_b64 s[50:51], s[50:51]
	s_cbranch_execz .LBB94_6277
; %bb.6274:
	v_mov_b32_e32 v5, 29
	v_cmp_eq_u16_sdwa s[58:59], v11, v5 src0_sel:BYTE_0 src1_sel:DWORD
	s_mov_b64 s[56:57], -1
	s_mov_b64 s[54:55], s[4:5]
	s_and_saveexec_b64 s[52:53], s[58:59]
	s_cbranch_execz .LBB94_6276
; %bb.6275:
	v_trunc_f32_e32 v4, v4
	v_mul_f32_e32 v5, 0x2f800000, v4
	v_floor_f32_e32 v65, v5
	v_fmac_f32_e32 v4, 0xcf800000, v65
	v_cvt_u32_f32_e32 v5, v65
	v_cvt_u32_f32_e32 v4, v4
	s_xor_b64 s[56:57], exec, -1
	s_or_b64 s[54:55], s[4:5], exec
	flat_store_dwordx2 v[2:3], v[4:5]
.LBB94_6276:
	s_or_b64 exec, exec, s[52:53]
	s_andn2_b64 s[6:7], s[6:7], exec
	s_and_b64 s[52:53], s[56:57], exec
	s_or_b64 s[6:7], s[6:7], s[52:53]
	s_andn2_b64 s[4:5], s[4:5], exec
	s_and_b64 s[52:53], s[54:55], exec
	s_or_b64 s[4:5], s[4:5], s[52:53]
.LBB94_6277:
	s_or_b64 exec, exec, s[50:51]
	s_andn2_b64 s[50:51], s[38:39], exec
	s_and_b64 s[6:7], s[6:7], exec
	s_or_b64 s[50:51], s[50:51], s[6:7]
	s_and_b64 s[6:7], s[4:5], exec
                                        ; implicit-def: $vgpr2_vgpr3
                                        ; implicit-def: $vgpr65
                                        ; implicit-def: $vgpr4
.LBB94_6278:
	s_andn2_saveexec_b64 s[46:47], s[46:47]
	s_cbranch_execz .LBB94_6294
; %bb.6279:
	v_mov_b32_e32 v5, 26
	v_cmp_gt_i16_sdwa s[4:5], v11, v5 src0_sel:BYTE_0 src1_sel:DWORD
	s_and_saveexec_b64 s[52:53], s[4:5]
	s_xor_b64 s[4:5], exec, s[52:53]
	s_cbranch_execz .LBB94_6285
; %bb.6280:
	v_cvt_u32_f32_e32 v4, v4
	v_mov_b32_e32 v5, 27
	v_cmp_gt_i16_sdwa s[52:53], v11, v5 src0_sel:BYTE_0 src1_sel:DWORD
	s_and_saveexec_b64 s[54:55], s[52:53]
	s_xor_b64 s[52:53], exec, s[54:55]
	s_cbranch_execz .LBB94_6282
; %bb.6281:
	flat_store_dword v[2:3], v4
                                        ; implicit-def: $vgpr2_vgpr3
                                        ; implicit-def: $vgpr4
.LBB94_6282:
	s_andn2_saveexec_b64 s[52:53], s[52:53]
	s_cbranch_execz .LBB94_6284
; %bb.6283:
	flat_store_short v[2:3], v4
.LBB94_6284:
	s_or_b64 exec, exec, s[52:53]
                                        ; implicit-def: $vgpr2_vgpr3
                                        ; implicit-def: $vgpr65
                                        ; implicit-def: $vgpr4
.LBB94_6285:
	s_andn2_saveexec_b64 s[52:53], s[4:5]
	s_cbranch_execz .LBB94_6293
; %bb.6286:
	v_cndmask_b32_e64 v65, |v0|, |v65|, vcc
	s_mov_b32 s4, 0x43800000
	v_cmp_gt_u32_e64 s[4:5], s4, v65
	v_mov_b32_e32 v66, 0x80
	s_and_saveexec_b64 s[54:55], s[4:5]
	s_cbranch_execz .LBB94_6292
; %bb.6287:
	s_mov_b32 s4, 0x3bffffff
	v_cmp_lt_u32_e64 s[4:5], s4, v65
	s_mov_b64 s[56:57], 0
                                        ; implicit-def: $vgpr5
	s_and_saveexec_b64 s[58:59], s[4:5]
	s_xor_b64 s[4:5], exec, s[58:59]
	s_cbranch_execnz .LBB94_7013
; %bb.6288:
	s_or_saveexec_b64 s[58:59], s[4:5]
                                        ; implicit-def: $sgpr60
	s_xor_b64 exec, exec, s[58:59]
	s_cbranch_execnz .LBB94_7014
.LBB94_6289:
	s_or_b64 exec, exec, s[58:59]
	v_mov_b32_e32 v66, s60
	s_and_saveexec_b64 s[4:5], s[56:57]
.LBB94_6290:
	v_lshrrev_b32_e32 v4, 24, v4
	s_movk_i32 s56, 0x80
	v_and_or_b32 v66, v4, s56, v5
.LBB94_6291:
	s_or_b64 exec, exec, s[4:5]
.LBB94_6292:
	s_or_b64 exec, exec, s[54:55]
	flat_store_byte v[2:3], v66
.LBB94_6293:
	s_or_b64 exec, exec, s[52:53]
	s_or_b64 s[6:7], s[6:7], exec
.LBB94_6294:
	s_or_b64 exec, exec, s[46:47]
	s_andn2_b64 s[4:5], s[38:39], exec
	s_and_b64 s[46:47], s[50:51], exec
	s_or_b64 s[46:47], s[4:5], s[46:47]
	s_and_b64 s[6:7], s[6:7], exec
                                        ; implicit-def: $vgpr4
                                        ; implicit-def: $vgpr2_vgpr3
                                        ; implicit-def: $vgpr65
.LBB94_6295:
	s_andn2_saveexec_b64 s[48:49], s[48:49]
	s_cbranch_execz .LBB94_6339
; %bb.6296:
	v_mov_b32_e32 v5, 22
	v_cmp_gt_i16_sdwa s[50:51], v11, v5 src0_sel:BYTE_0 src1_sel:DWORD
	s_mov_b64 s[4:5], s[6:7]
	s_and_saveexec_b64 s[52:53], s[50:51]
	s_xor_b64 s[50:51], exec, s[52:53]
	s_cbranch_execz .LBB94_6328
; %bb.6297:
	v_mov_b32_e32 v5, 23
	v_cmp_gt_i16_sdwa s[4:5], v11, v5 src0_sel:BYTE_0 src1_sel:DWORD
	s_and_saveexec_b64 s[52:53], s[4:5]
	s_xor_b64 s[52:53], exec, s[52:53]
	s_cbranch_execz .LBB94_6317
; %bb.6298:
	v_mov_b32_e32 v5, 24
	v_cmp_gt_i16_sdwa s[4:5], v11, v5 src0_sel:BYTE_0 src1_sel:DWORD
	s_and_saveexec_b64 s[54:55], s[4:5]
	s_xor_b64 s[54:55], exec, s[54:55]
	s_cbranch_execz .LBB94_6306
; %bb.6299:
	v_cndmask_b32_e64 v65, |v0|, |v65|, vcc
	s_mov_b32 s4, 0x47800000
	v_cmp_gt_u32_e64 s[4:5], s4, v65
	v_mov_b32_e32 v66, 0x80
	s_and_saveexec_b64 s[56:57], s[4:5]
	s_cbranch_execz .LBB94_6305
; %bb.6300:
	s_mov_b32 s4, 0x37ffffff
	v_cmp_lt_u32_e64 s[4:5], s4, v65
	s_mov_b64 s[58:59], 0
                                        ; implicit-def: $vgpr5
	s_and_saveexec_b64 s[60:61], s[4:5]
	s_xor_b64 s[4:5], exec, s[60:61]
	s_cbranch_execnz .LBB94_7137
; %bb.6301:
	s_or_saveexec_b64 s[60:61], s[4:5]
                                        ; implicit-def: $sgpr62
	s_xor_b64 exec, exec, s[60:61]
	s_cbranch_execnz .LBB94_7138
.LBB94_6302:
	s_or_b64 exec, exec, s[60:61]
	v_mov_b32_e32 v66, s62
	s_and_saveexec_b64 s[4:5], s[58:59]
.LBB94_6303:
	v_lshrrev_b32_e32 v4, 24, v4
	s_movk_i32 s58, 0x80
	v_and_or_b32 v66, v4, s58, v5
.LBB94_6304:
	s_or_b64 exec, exec, s[4:5]
.LBB94_6305:
	s_or_b64 exec, exec, s[56:57]
	flat_store_byte v[2:3], v66
                                        ; implicit-def: $vgpr4
                                        ; implicit-def: $vgpr2_vgpr3
                                        ; implicit-def: $vgpr65
.LBB94_6306:
	s_andn2_saveexec_b64 s[54:55], s[54:55]
	s_cbranch_execz .LBB94_6316
; %bb.6307:
	v_cndmask_b32_e64 v65, |v0|, |v65|, vcc
	s_mov_b32 s4, 0x43f00000
	v_cmp_gt_u32_e64 s[4:5], s4, v65
                                        ; implicit-def: $vgpr5
	s_and_saveexec_b64 s[56:57], s[4:5]
	s_xor_b64 s[56:57], exec, s[56:57]
	s_cbranch_execz .LBB94_6313
; %bb.6308:
	s_mov_b32 s4, 0x3c7fffff
	v_cmp_lt_u32_e64 s[4:5], s4, v65
                                        ; implicit-def: $vgpr5
	s_and_saveexec_b64 s[58:59], s[4:5]
	s_xor_b64 s[58:59], exec, s[58:59]
; %bb.6309:
	v_bfe_u32 v5, v4, 20, 1
	s_mov_b32 s4, 0x407ffff
	v_add3_u32 v5, v4, v5, s4
	v_lshrrev_b32_e32 v65, 20, v5
	v_and_b32_e32 v5, 0xff00000, v5
	s_mov_b32 s4, 0x7f00000
	v_mov_b32_e32 v66, 0x7e
	v_cmp_ne_u32_e64 s[4:5], s4, v5
	v_cndmask_b32_e64 v5, v66, v65, s[4:5]
                                        ; implicit-def: $vgpr65
; %bb.6310:
	s_andn2_saveexec_b64 s[4:5], s[58:59]
; %bb.6311:
	v_add_f32_e32 v5, 0x46800000, v65
; %bb.6312:
	s_or_b64 exec, exec, s[4:5]
                                        ; implicit-def: $vgpr65
.LBB94_6313:
	s_andn2_saveexec_b64 s[56:57], s[56:57]
; %bb.6314:
	s_mov_b32 s4, 0x7f800000
	v_mov_b32_e32 v5, 0x7e
	v_mov_b32_e32 v66, 0x7f
	v_cmp_lt_u32_e64 s[4:5], s4, v65
	v_cndmask_b32_e64 v5, v5, v66, s[4:5]
; %bb.6315:
	s_or_b64 exec, exec, s[56:57]
	v_lshrrev_b32_e32 v4, 24, v4
	s_movk_i32 s4, 0x80
	v_and_or_b32 v4, v4, s4, v5
	flat_store_byte v[2:3], v4
.LBB94_6316:
	s_or_b64 exec, exec, s[54:55]
                                        ; implicit-def: $vgpr4
                                        ; implicit-def: $vgpr2_vgpr3
                                        ; implicit-def: $vgpr65
.LBB94_6317:
	s_andn2_saveexec_b64 s[4:5], s[52:53]
	s_cbranch_execz .LBB94_6327
; %bb.6318:
	v_cndmask_b32_e64 v65, |v0|, |v65|, vcc
	s_mov_b32 vcc_lo, 0x47800000
	v_cmp_gt_u32_e32 vcc, vcc_lo, v65
                                        ; implicit-def: $vgpr5
	s_and_saveexec_b64 s[52:53], vcc
	s_xor_b64 s[52:53], exec, s[52:53]
	s_cbranch_execz .LBB94_6324
; %bb.6319:
	s_mov_b32 vcc_lo, 0x387fffff
	v_cmp_lt_u32_e32 vcc, vcc_lo, v65
                                        ; implicit-def: $vgpr5
	s_and_saveexec_b64 s[54:55], vcc
	s_xor_b64 vcc, exec, s[54:55]
; %bb.6320:
	v_bfe_u32 v5, v4, 21, 1
	s_mov_b32 s54, 0x80fffff
	v_add3_u32 v5, v4, v5, s54
	v_lshrrev_b32_e32 v5, 21, v5
                                        ; implicit-def: $vgpr65
; %bb.6321:
	s_andn2_saveexec_b64 vcc, vcc
; %bb.6322:
	v_add_f32_e32 v5, 0x43000000, v65
; %bb.6323:
	s_or_b64 exec, exec, vcc
                                        ; implicit-def: $vgpr65
.LBB94_6324:
	s_andn2_saveexec_b64 s[52:53], s[52:53]
; %bb.6325:
	s_mov_b32 vcc_lo, 0x7f800000
	v_mov_b32_e32 v5, 0x7c
	v_mov_b32_e32 v66, 0x7f
	v_cmp_lt_u32_e32 vcc, vcc_lo, v65
	v_cndmask_b32_e32 v5, v5, v66, vcc
; %bb.6326:
	s_or_b64 exec, exec, s[52:53]
	v_lshrrev_b32_e32 v4, 24, v4
	s_movk_i32 vcc_lo, 0x80
	v_and_or_b32 v4, v4, vcc_lo, v5
	flat_store_byte v[2:3], v4
.LBB94_6327:
	s_or_b64 exec, exec, s[4:5]
	s_or_b64 s[4:5], s[6:7], exec
                                        ; implicit-def: $vgpr4
                                        ; implicit-def: $vgpr2_vgpr3
.LBB94_6328:
	s_or_saveexec_b64 s[50:51], s[50:51]
	s_mov_b64 vcc, s[46:47]
	s_xor_b64 exec, exec, s[50:51]
	s_cbranch_execz .LBB94_6338
; %bb.6329:
	v_mov_b32_e32 v5, 14
	v_cmp_gt_i16_sdwa vcc, v11, v5 src0_sel:BYTE_0 src1_sel:DWORD
	s_mov_b64 s[52:53], s[4:5]
	s_mov_b64 s[54:55], s[46:47]
	s_and_saveexec_b64 s[56:57], vcc
	s_xor_b64 s[56:57], exec, s[56:57]
	s_cbranch_execz .LBB94_6333
; %bb.6330:
	v_mov_b32_e32 v5, 15
	v_cmp_eq_u16_sdwa s[58:59], v11, v5 src0_sel:BYTE_0 src1_sel:DWORD
	s_mov_b64 s[54:55], -1
	s_mov_b64 vcc, s[4:5]
	s_and_saveexec_b64 s[52:53], s[58:59]
	s_cbranch_execz .LBB94_6332
; %bb.6331:
	v_bfe_u32 v5, v4, 16, 1
	s_movk_i32 vcc_lo, 0x7fff
	v_add3_u32 v5, v4, v5, vcc_lo
	v_lshrrev_b32_e32 v5, 16, v5
	v_mov_b32_e32 v65, 0x7fc0
	v_cmp_o_f32_e32 vcc, v4, v4
	v_cndmask_b32_e32 v4, v65, v5, vcc
	flat_store_short v[2:3], v4
	s_xor_b64 s[54:55], exec, -1
	s_or_b64 vcc, s[4:5], exec
.LBB94_6332:
	s_or_b64 exec, exec, s[52:53]
	s_andn2_b64 s[52:53], s[46:47], exec
	s_and_b64 s[54:55], s[54:55], exec
	s_or_b64 s[54:55], s[52:53], s[54:55]
	s_andn2_b64 s[52:53], s[4:5], exec
	s_and_b64 vcc, vcc, exec
	s_or_b64 s[52:53], s[52:53], vcc
                                        ; implicit-def: $vgpr4
                                        ; implicit-def: $vgpr2_vgpr3
.LBB94_6333:
	s_andn2_saveexec_b64 s[56:57], s[56:57]
	s_cbranch_execz .LBB94_6337
; %bb.6334:
	v_mov_b32_e32 v5, 11
	v_cmp_eq_u16_sdwa s[62:63], v11, v5 src0_sel:BYTE_0 src1_sel:DWORD
	s_mov_b64 s[58:59], -1
	s_mov_b64 vcc, s[52:53]
	s_and_saveexec_b64 s[60:61], s[62:63]
	s_cbranch_execz .LBB94_6336
; %bb.6335:
	v_cmp_neq_f32_e32 vcc, 0, v4
	v_cndmask_b32_e64 v4, 0, 1, vcc
	flat_store_byte v[2:3], v4
	s_xor_b64 s[58:59], exec, -1
	s_or_b64 vcc, s[52:53], exec
.LBB94_6336:
	s_or_b64 exec, exec, s[60:61]
	s_andn2_b64 s[54:55], s[54:55], exec
	s_and_b64 s[58:59], s[58:59], exec
	s_andn2_b64 s[52:53], s[52:53], exec
	s_and_b64 vcc, vcc, exec
	s_or_b64 s[54:55], s[54:55], s[58:59]
	s_or_b64 s[52:53], s[52:53], vcc
.LBB94_6337:
	s_or_b64 exec, exec, s[56:57]
	s_andn2_b64 vcc, s[46:47], exec
	s_and_b64 s[54:55], s[54:55], exec
	s_andn2_b64 s[4:5], s[4:5], exec
	s_and_b64 s[52:53], s[52:53], exec
	s_or_b64 vcc, vcc, s[54:55]
	s_or_b64 s[4:5], s[4:5], s[52:53]
.LBB94_6338:
	s_or_b64 exec, exec, s[50:51]
	s_andn2_b64 s[46:47], s[46:47], exec
	s_and_b64 vcc, vcc, exec
	s_andn2_b64 s[6:7], s[6:7], exec
	s_and_b64 s[4:5], s[4:5], exec
	s_or_b64 s[46:47], s[46:47], vcc
	s_or_b64 s[6:7], s[6:7], s[4:5]
.LBB94_6339:
	s_or_b64 exec, exec, s[48:49]
	s_andn2_b64 s[4:5], s[38:39], exec
	s_and_b64 vcc, s[46:47], exec
	s_or_b64 s[4:5], s[4:5], vcc
	s_and_b64 s[6:7], s[6:7], exec
                                        ; implicit-def: $vgpr4
                                        ; implicit-def: $vgpr2_vgpr3
	s_andn2_saveexec_b64 s[44:45], s[44:45]
	s_cbranch_execz .LBB94_3985
.LBB94_6340:
	v_mov_b32_e32 v5, 4
	v_cmp_gt_i16_sdwa vcc, v11, v5 src0_sel:BYTE_0 src1_sel:DWORD
	s_and_saveexec_b64 s[46:47], vcc
	s_xor_b64 vcc, exec, s[46:47]
	s_cbranch_execz .LBB94_6362
; %bb.6341:
	v_mov_b32_e32 v5, 7
	v_cmp_gt_i16_sdwa s[46:47], v11, v5 src0_sel:BYTE_0 src1_sel:DWORD
	s_and_saveexec_b64 s[48:49], s[46:47]
	s_xor_b64 s[46:47], exec, s[48:49]
	s_cbranch_execz .LBB94_6351
; %bb.6342:
	v_mov_b32_e32 v5, 8
	v_cmp_gt_i16_sdwa s[48:49], v11, v5 src0_sel:BYTE_0 src1_sel:DWORD
	s_and_saveexec_b64 s[50:51], s[48:49]
	s_xor_b64 s[48:49], exec, s[50:51]
	;; [unrolled: 6-line block ×3, first 2 shown]
	s_cbranch_execz .LBB94_6345
; %bb.6344:
	v_mov_b32_e32 v68, 0
	v_cvt_f64_f32_e32 v[66:67], v4
	v_mov_b32_e32 v69, v68
	flat_store_dwordx4 v[2:3], v[66:69]
                                        ; implicit-def: $vgpr4
                                        ; implicit-def: $vgpr2_vgpr3
.LBB94_6345:
	s_andn2_saveexec_b64 s[50:51], s[50:51]
	s_cbranch_execz .LBB94_6347
; %bb.6346:
	v_mov_b32_e32 v5, 0
	flat_store_dwordx2 v[2:3], v[4:5]
.LBB94_6347:
	s_or_b64 exec, exec, s[50:51]
                                        ; implicit-def: $vgpr4
                                        ; implicit-def: $vgpr2_vgpr3
.LBB94_6348:
	s_andn2_saveexec_b64 s[48:49], s[48:49]
	s_cbranch_execz .LBB94_6350
; %bb.6349:
	v_cvt_f16_f32_e32 v4, v4
	flat_store_dword v[2:3], v4
.LBB94_6350:
	s_or_b64 exec, exec, s[48:49]
                                        ; implicit-def: $vgpr4
                                        ; implicit-def: $vgpr2_vgpr3
.LBB94_6351:
	s_andn2_saveexec_b64 s[46:47], s[46:47]
	s_cbranch_execz .LBB94_6361
; %bb.6352:
	v_mov_b32_e32 v5, 5
	v_cmp_gt_i16_sdwa s[48:49], v11, v5 src0_sel:BYTE_0 src1_sel:DWORD
	s_and_saveexec_b64 s[50:51], s[48:49]
	s_xor_b64 s[48:49], exec, s[50:51]
	s_cbranch_execz .LBB94_6358
; %bb.6353:
	v_mov_b32_e32 v5, 6
	v_cmp_gt_i16_sdwa s[50:51], v11, v5 src0_sel:BYTE_0 src1_sel:DWORD
	s_and_saveexec_b64 s[52:53], s[50:51]
	s_xor_b64 s[50:51], exec, s[52:53]
	s_cbranch_execz .LBB94_6355
; %bb.6354:
	v_cvt_f64_f32_e32 v[4:5], v4
	flat_store_dwordx2 v[2:3], v[4:5]
                                        ; implicit-def: $vgpr2_vgpr3
                                        ; implicit-def: $vgpr4
.LBB94_6355:
	s_andn2_saveexec_b64 s[50:51], s[50:51]
	s_cbranch_execz .LBB94_6357
; %bb.6356:
	flat_store_dword v[2:3], v4
.LBB94_6357:
	s_or_b64 exec, exec, s[50:51]
                                        ; implicit-def: $vgpr4
                                        ; implicit-def: $vgpr2_vgpr3
.LBB94_6358:
	s_andn2_saveexec_b64 s[48:49], s[48:49]
	s_cbranch_execz .LBB94_6360
; %bb.6359:
	v_cvt_f16_f32_e32 v4, v4
	flat_store_short v[2:3], v4
.LBB94_6360:
	s_or_b64 exec, exec, s[48:49]
.LBB94_6361:
	s_or_b64 exec, exec, s[46:47]
                                        ; implicit-def: $vgpr4
                                        ; implicit-def: $vgpr2_vgpr3
.LBB94_6362:
	s_andn2_saveexec_b64 s[46:47], vcc
	s_cbranch_execz .LBB94_6380
; %bb.6363:
	v_mov_b32_e32 v5, 1
	v_cmp_gt_i16_sdwa vcc, v11, v5 src0_sel:BYTE_0 src1_sel:DWORD
	s_and_saveexec_b64 s[48:49], vcc
	s_xor_b64 s[48:49], exec, s[48:49]
	s_cbranch_execz .LBB94_6373
; %bb.6364:
	v_mov_b32_e32 v5, 2
	v_cmp_gt_i16_sdwa vcc, v11, v5 src0_sel:BYTE_0 src1_sel:DWORD
	s_and_saveexec_b64 s[50:51], vcc
	s_xor_b64 s[50:51], exec, s[50:51]
	;; [unrolled: 6-line block ×3, first 2 shown]
	s_cbranch_execz .LBB94_6367
; %bb.6366:
	v_trunc_f32_e32 v4, v4
	s_mov_b32 s54, 0x2f800000
	v_mul_f32_e64 v5, |v4|, s54
	v_floor_f32_e32 v5, v5
	s_mov_b32 s54, 0xcf800000
	v_cvt_u32_f32_e32 v65, v5
	v_fma_f32 v5, v5, s54, |v4|
	v_cvt_u32_f32_e32 v5, v5
	v_ashrrev_i32_e32 v66, 31, v4
	v_xor_b32_e32 v65, v65, v66
	v_xor_b32_e32 v4, v5, v66
	v_sub_co_u32_e32 v4, vcc, v4, v66
	v_subb_co_u32_e32 v5, vcc, v65, v66, vcc
	flat_store_dwordx2 v[2:3], v[4:5]
                                        ; implicit-def: $vgpr4
                                        ; implicit-def: $vgpr2_vgpr3
.LBB94_6367:
	s_andn2_saveexec_b64 vcc, s[52:53]
	s_cbranch_execz .LBB94_6369
; %bb.6368:
	v_cvt_i32_f32_e32 v4, v4
	flat_store_dword v[2:3], v4
.LBB94_6369:
	s_or_b64 exec, exec, vcc
                                        ; implicit-def: $vgpr4
                                        ; implicit-def: $vgpr2_vgpr3
.LBB94_6370:
	s_andn2_saveexec_b64 vcc, s[50:51]
	s_cbranch_execz .LBB94_6372
; %bb.6371:
	v_cvt_i32_f32_e32 v4, v4
	flat_store_short v[2:3], v4
.LBB94_6372:
	s_or_b64 exec, exec, vcc
                                        ; implicit-def: $vgpr4
                                        ; implicit-def: $vgpr2_vgpr3
.LBB94_6373:
	s_andn2_saveexec_b64 vcc, s[48:49]
	s_cbranch_execz .LBB94_6379
; %bb.6374:
	v_mov_b32_e32 v5, 0
	v_cmp_gt_i16_sdwa s[48:49], v11, v5 src0_sel:BYTE_0 src1_sel:DWORD
	s_and_saveexec_b64 s[50:51], s[48:49]
	s_xor_b64 s[48:49], exec, s[50:51]
	s_cbranch_execz .LBB94_6376
; %bb.6375:
	v_cvt_i32_f32_e32 v4, v4
	flat_store_byte v[2:3], v4
                                        ; implicit-def: $vgpr4
                                        ; implicit-def: $vgpr2_vgpr3
.LBB94_6376:
	s_andn2_saveexec_b64 s[48:49], s[48:49]
	s_cbranch_execz .LBB94_6378
; %bb.6377:
	v_trunc_f32_e32 v4, v4
	s_mov_b32 s50, 0x2f800000
	v_mul_f32_e64 v5, |v4|, s50
	v_floor_f32_e32 v5, v5
	s_mov_b32 s50, 0xcf800000
	v_fma_f32 v5, v5, s50, |v4|
	v_cvt_u32_f32_e32 v5, v5
	v_ashrrev_i32_e32 v4, 31, v4
	v_xor_b32_e32 v5, v5, v4
	v_sub_u32_e32 v4, v5, v4
	flat_store_byte v[2:3], v4
.LBB94_6378:
	s_or_b64 exec, exec, s[48:49]
.LBB94_6379:
	s_or_b64 exec, exec, vcc
.LBB94_6380:
	s_or_b64 exec, exec, s[46:47]
	s_or_b64 s[6:7], s[6:7], exec
	s_or_b64 exec, exec, s[44:45]
	s_mov_b64 vcc, 0
	s_and_saveexec_b64 s[44:45], s[6:7]
	s_cbranch_execnz .LBB94_3986
	s_branch .LBB94_3987
.LBB94_6381:
	v_bfe_u32 v5, v4, 21, 1
	s_mov_b32 s56, 0x88fffff
	v_add3_u32 v5, v4, v5, s56
	s_mov_b64 s[54:55], exec
	v_lshrrev_b32_e32 v5, 21, v5
                                        ; implicit-def: $vgpr85
	s_or_saveexec_b64 s[56:57], s[4:5]
                                        ; implicit-def: $sgpr58
	s_xor_b64 exec, exec, s[56:57]
	s_cbranch_execz .LBB94_5670
.LBB94_6382:
	v_add_f32_e32 v5, 0x42800000, v85
	v_and_b32_e32 v5, 0xff, v5
	v_cmp_ne_u32_e64 s[4:5], 0, v5
	s_andn2_b64 s[54:55], s[54:55], exec
	s_and_b64 s[4:5], s[4:5], exec
	s_mov_b32 s58, 0
	s_or_b64 s[54:55], s[54:55], s[4:5]
	s_or_b64 exec, exec, s[56:57]
	v_mov_b32_e32 v86, s58
	s_and_saveexec_b64 s[4:5], s[54:55]
	s_cbranch_execnz .LBB94_5671
	s_branch .LBB94_5672
.LBB94_6383:
	v_bfe_u32 v5, v4, 20, 1
	s_mov_b32 s58, 0x487ffff
	v_add3_u32 v5, v4, v5, s58
	s_mov_b64 s[56:57], exec
	v_lshrrev_b32_e32 v5, 20, v5
                                        ; implicit-def: $vgpr83
	s_or_saveexec_b64 s[58:59], s[4:5]
                                        ; implicit-def: $sgpr60
	s_xor_b64 exec, exec, s[58:59]
	s_cbranch_execz .LBB94_5781
.LBB94_6384:
	v_add_f32_e32 v5, 0x46000000, v83
	v_and_b32_e32 v5, 0xff, v5
	v_cmp_ne_u32_e64 s[4:5], 0, v5
	s_andn2_b64 s[56:57], s[56:57], exec
	s_and_b64 s[4:5], s[4:5], exec
	s_mov_b32 s60, 0
	s_or_b64 s[56:57], s[56:57], s[4:5]
	s_or_b64 exec, exec, s[58:59]
	v_mov_b32_e32 v84, s60
	s_and_saveexec_b64 s[4:5], s[56:57]
	s_cbranch_execnz .LBB94_5782
	s_branch .LBB94_5783
.LBB94_6385:
	v_mov_b32_e32 v5, 25
	v_readlane_b32 s46, v43, 14
	v_cmp_gt_i16_sdwa s[4:5], v11, v5 src0_sel:BYTE_0 src1_sel:DWORD
	v_readlane_b32 s47, v43, 15
	s_and_saveexec_b64 s[48:49], s[4:5]
	s_xor_b64 s[48:49], exec, s[48:49]
	s_cbranch_execz .LBB94_6421
; %bb.6386:
	v_mov_b32_e32 v5, 28
	v_readlane_b32 s50, v43, 14
	v_cmp_gt_i16_sdwa s[4:5], v11, v5 src0_sel:BYTE_0 src1_sel:DWORD
	v_readlane_b32 s51, v43, 15
	s_and_saveexec_b64 s[46:47], s[4:5]
	s_xor_b64 s[46:47], exec, s[46:47]
	s_cbranch_execz .LBB94_6404
; %bb.6387:
	v_mov_b32_e32 v5, 43
	v_readlane_b32 s6, v43, 14
	v_cmp_gt_i16_sdwa s[50:51], v11, v5 src0_sel:BYTE_0 src1_sel:DWORD
	s_mov_b64 s[4:5], 0
	v_readlane_b32 s7, v43, 15
	s_and_saveexec_b64 s[52:53], s[50:51]
	s_xor_b64 s[50:51], exec, s[52:53]
	s_cbranch_execz .LBB94_6399
; %bb.6388:
	v_mov_b32_e32 v5, 45
	v_readlane_b32 s54, v43, 14
	v_cmp_gt_i16_sdwa s[4:5], v11, v5 src0_sel:BYTE_0 src1_sel:DWORD
	s_mov_b64 s[52:53], 0
	v_readlane_b32 s55, v43, 15
	s_and_saveexec_b64 s[6:7], s[4:5]
	s_xor_b64 s[6:7], exec, s[6:7]
	s_cbranch_execz .LBB94_6392
; %bb.6389:
	v_mov_b32_e32 v5, 46
	v_cmp_eq_u16_sdwa s[56:57], v11, v5 src0_sel:BYTE_0 src1_sel:DWORD
	s_mov_b64 s[4:5], -1
	s_and_saveexec_b64 s[54:55], s[56:57]
	s_cbranch_execz .LBB94_6391
; %bb.6390:
	v_bfe_u32 v5, v4, 16, 1
	s_movk_i32 s4, 0x7fff
	v_add3_u32 v5, v4, v5, s4
	v_lshrrev_b32_e32 v5, 16, v5
	v_mov_b32_e32 v55, 0x7fc0
	v_cmp_o_f32_e64 s[4:5], v4, v4
	v_cndmask_b32_e64 v4, v55, v5, s[4:5]
	s_mov_b64 s[52:53], exec
	flat_store_dword v[2:3], v4
	s_xor_b64 s[4:5], exec, -1
.LBB94_6391:
	s_or_b64 exec, exec, s[54:55]
	v_readlane_b32 s54, v43, 14
	v_readlane_b32 s55, v43, 15
	s_andn2_b64 s[54:55], s[54:55], exec
	s_and_b64 s[4:5], s[4:5], exec
	s_or_b64 s[54:55], s[54:55], s[4:5]
	s_and_b64 s[52:53], s[52:53], exec
                                        ; implicit-def: $vgpr2_vgpr3
                                        ; implicit-def: $vgpr4
.LBB94_6392:
	s_andn2_saveexec_b64 s[56:57], s[6:7]
	s_cbranch_execz .LBB94_6398
; %bb.6393:
	v_mov_b32_e32 v5, 44
	v_cmp_eq_u16_sdwa s[60:61], v11, v5 src0_sel:BYTE_0 src1_sel:DWORD
	s_mov_b64 s[6:7], -1
	s_mov_b64 s[4:5], s[52:53]
	s_and_saveexec_b64 s[58:59], s[60:61]
	s_cbranch_execz .LBB94_6397
; %bb.6394:
	v_bfe_u32 v5, v4, 23, 8
	s_movk_i32 s4, 0xff
	v_cmp_ne_u32_e64 s[4:5], s4, v5
	v_mov_b32_e32 v55, 0xff
	s_and_saveexec_b64 s[60:61], s[4:5]
; %bb.6395:
	s_mov_b32 s6, 0x3fffff
	v_lshrrev_b32_e32 v55, 23, v4
	v_and_b32_e32 v64, 0x400000, v4
	v_and_or_b32 v4, v4, s6, v5
	v_cmp_ne_u32_e64 s[4:5], 0, v64
	v_cmp_ne_u32_e64 s[6:7], 0, v4
	s_and_b64 s[4:5], s[4:5], s[6:7]
	v_cndmask_b32_e64 v4, 0, 1, s[4:5]
	v_add_u32_e32 v55, v55, v4
; %bb.6396:
	s_or_b64 exec, exec, s[60:61]
	s_xor_b64 s[6:7], exec, -1
	s_or_b64 s[4:5], s[52:53], exec
	flat_store_byte v[2:3], v55
.LBB94_6397:
	s_or_b64 exec, exec, s[58:59]
	s_andn2_b64 s[54:55], s[54:55], exec
	s_and_b64 s[6:7], s[6:7], exec
	s_or_b64 s[54:55], s[54:55], s[6:7]
	s_andn2_b64 s[6:7], s[52:53], exec
	s_and_b64 s[4:5], s[4:5], exec
	s_or_b64 s[52:53], s[6:7], s[4:5]
.LBB94_6398:
	s_or_b64 exec, exec, s[56:57]
	v_readlane_b32 s4, v43, 14
	v_readlane_b32 s5, v43, 15
	s_andn2_b64 s[4:5], s[4:5], exec
	s_and_b64 s[6:7], s[54:55], exec
	s_or_b64 s[6:7], s[4:5], s[6:7]
	s_and_b64 s[4:5], s[52:53], exec
                                        ; implicit-def: $vgpr4
                                        ; implicit-def: $vgpr2_vgpr3
.LBB94_6399:
	s_andn2_saveexec_b64 s[50:51], s[50:51]
	s_cbranch_execz .LBB94_6403
; %bb.6400:
	v_mov_b32_e32 v5, 29
	v_cmp_eq_u16_sdwa s[58:59], v11, v5 src0_sel:BYTE_0 src1_sel:DWORD
	s_mov_b64 s[56:57], -1
	s_mov_b64 s[54:55], s[4:5]
	s_and_saveexec_b64 s[52:53], s[58:59]
	s_cbranch_execz .LBB94_6402
; %bb.6401:
	v_trunc_f32_e32 v4, v4
	v_mul_f32_e32 v5, 0x2f800000, v4
	v_floor_f32_e32 v55, v5
	v_fmac_f32_e32 v4, 0xcf800000, v55
	v_cvt_u32_f32_e32 v5, v55
	v_cvt_u32_f32_e32 v4, v4
	s_xor_b64 s[56:57], exec, -1
	s_or_b64 s[54:55], s[4:5], exec
	flat_store_dwordx2 v[2:3], v[4:5]
.LBB94_6402:
	s_or_b64 exec, exec, s[52:53]
	s_andn2_b64 s[6:7], s[6:7], exec
	s_and_b64 s[52:53], s[56:57], exec
	s_or_b64 s[6:7], s[6:7], s[52:53]
	s_andn2_b64 s[4:5], s[4:5], exec
	s_and_b64 s[52:53], s[54:55], exec
	s_or_b64 s[4:5], s[4:5], s[52:53]
.LBB94_6403:
	s_or_b64 exec, exec, s[50:51]
	v_readlane_b32 s50, v43, 14
	v_readlane_b32 s51, v43, 15
	s_andn2_b64 s[50:51], s[50:51], exec
	s_and_b64 s[6:7], s[6:7], exec
	s_or_b64 s[50:51], s[50:51], s[6:7]
	s_and_b64 s[6:7], s[4:5], exec
                                        ; implicit-def: $vgpr2_vgpr3
                                        ; implicit-def: $vgpr55
                                        ; implicit-def: $vgpr4
.LBB94_6404:
	s_andn2_saveexec_b64 s[46:47], s[46:47]
	s_cbranch_execz .LBB94_6420
; %bb.6405:
	v_mov_b32_e32 v5, 26
	v_cmp_gt_i16_sdwa s[4:5], v11, v5 src0_sel:BYTE_0 src1_sel:DWORD
	s_and_saveexec_b64 s[52:53], s[4:5]
	s_xor_b64 s[4:5], exec, s[52:53]
	s_cbranch_execz .LBB94_6411
; %bb.6406:
	v_cvt_u32_f32_e32 v4, v4
	v_mov_b32_e32 v5, 27
	v_cmp_gt_i16_sdwa s[52:53], v11, v5 src0_sel:BYTE_0 src1_sel:DWORD
	s_and_saveexec_b64 s[54:55], s[52:53]
	s_xor_b64 s[52:53], exec, s[54:55]
	s_cbranch_execz .LBB94_6408
; %bb.6407:
	flat_store_dword v[2:3], v4
                                        ; implicit-def: $vgpr2_vgpr3
                                        ; implicit-def: $vgpr4
.LBB94_6408:
	s_andn2_saveexec_b64 s[52:53], s[52:53]
	s_cbranch_execz .LBB94_6410
; %bb.6409:
	flat_store_short v[2:3], v4
.LBB94_6410:
	s_or_b64 exec, exec, s[52:53]
                                        ; implicit-def: $vgpr2_vgpr3
                                        ; implicit-def: $vgpr55
                                        ; implicit-def: $vgpr4
.LBB94_6411:
	s_andn2_saveexec_b64 s[52:53], s[4:5]
	s_cbranch_execz .LBB94_6419
; %bb.6412:
	v_cndmask_b32_e64 v55, |v0|, |v55|, vcc
	s_mov_b32 s4, 0x43800000
	v_cmp_gt_u32_e64 s[4:5], s4, v55
	v_mov_b32_e32 v64, 0x80
	s_and_saveexec_b64 s[54:55], s[4:5]
	s_cbranch_execz .LBB94_6418
; %bb.6413:
	s_mov_b32 s4, 0x3bffffff
	v_cmp_lt_u32_e64 s[4:5], s4, v55
	s_mov_b64 s[56:57], 0
                                        ; implicit-def: $vgpr5
	s_and_saveexec_b64 s[58:59], s[4:5]
	s_xor_b64 s[4:5], exec, s[58:59]
	s_cbranch_execnz .LBB94_7139
; %bb.6414:
	s_or_saveexec_b64 s[58:59], s[4:5]
                                        ; implicit-def: $sgpr60
	s_xor_b64 exec, exec, s[58:59]
	s_cbranch_execnz .LBB94_7140
.LBB94_6415:
	s_or_b64 exec, exec, s[58:59]
	v_mov_b32_e32 v64, s60
	s_and_saveexec_b64 s[4:5], s[56:57]
.LBB94_6416:
	v_lshrrev_b32_e32 v4, 24, v4
	s_movk_i32 s56, 0x80
	v_and_or_b32 v64, v4, s56, v5
.LBB94_6417:
	s_or_b64 exec, exec, s[4:5]
.LBB94_6418:
	s_or_b64 exec, exec, s[54:55]
	flat_store_byte v[2:3], v64
.LBB94_6419:
	s_or_b64 exec, exec, s[52:53]
	s_or_b64 s[6:7], s[6:7], exec
.LBB94_6420:
	s_or_b64 exec, exec, s[46:47]
	v_readlane_b32 s4, v43, 14
	v_readlane_b32 s5, v43, 15
	s_andn2_b64 s[4:5], s[4:5], exec
	s_and_b64 s[46:47], s[50:51], exec
	s_or_b64 s[46:47], s[4:5], s[46:47]
	s_and_b64 s[6:7], s[6:7], exec
                                        ; implicit-def: $vgpr4
                                        ; implicit-def: $vgpr2_vgpr3
                                        ; implicit-def: $vgpr55
.LBB94_6421:
	s_andn2_saveexec_b64 s[48:49], s[48:49]
	s_cbranch_execz .LBB94_6465
; %bb.6422:
	v_mov_b32_e32 v5, 22
	v_cmp_gt_i16_sdwa s[50:51], v11, v5 src0_sel:BYTE_0 src1_sel:DWORD
	s_mov_b64 s[4:5], s[6:7]
	s_and_saveexec_b64 s[52:53], s[50:51]
	s_xor_b64 s[50:51], exec, s[52:53]
	s_cbranch_execz .LBB94_6454
; %bb.6423:
	v_mov_b32_e32 v5, 23
	v_cmp_gt_i16_sdwa s[4:5], v11, v5 src0_sel:BYTE_0 src1_sel:DWORD
	s_and_saveexec_b64 s[52:53], s[4:5]
	s_xor_b64 s[52:53], exec, s[52:53]
	s_cbranch_execz .LBB94_6443
; %bb.6424:
	v_mov_b32_e32 v5, 24
	v_cmp_gt_i16_sdwa s[4:5], v11, v5 src0_sel:BYTE_0 src1_sel:DWORD
	s_and_saveexec_b64 s[54:55], s[4:5]
	s_xor_b64 s[54:55], exec, s[54:55]
	s_cbranch_execz .LBB94_6432
; %bb.6425:
	v_cndmask_b32_e64 v55, |v0|, |v55|, vcc
	s_mov_b32 s4, 0x47800000
	v_cmp_gt_u32_e64 s[4:5], s4, v55
	v_mov_b32_e32 v64, 0x80
	s_and_saveexec_b64 s[56:57], s[4:5]
	s_cbranch_execz .LBB94_6431
; %bb.6426:
	s_mov_b32 s4, 0x37ffffff
	v_cmp_lt_u32_e64 s[4:5], s4, v55
	s_mov_b64 s[58:59], 0
                                        ; implicit-def: $vgpr5
	s_and_saveexec_b64 s[60:61], s[4:5]
	s_xor_b64 s[4:5], exec, s[60:61]
	s_cbranch_execnz .LBB94_7263
; %bb.6427:
	s_or_saveexec_b64 s[60:61], s[4:5]
                                        ; implicit-def: $sgpr62
	s_xor_b64 exec, exec, s[60:61]
	s_cbranch_execnz .LBB94_7264
.LBB94_6428:
	s_or_b64 exec, exec, s[60:61]
	v_mov_b32_e32 v64, s62
	s_and_saveexec_b64 s[4:5], s[58:59]
.LBB94_6429:
	v_lshrrev_b32_e32 v4, 24, v4
	s_movk_i32 s58, 0x80
	v_and_or_b32 v64, v4, s58, v5
.LBB94_6430:
	s_or_b64 exec, exec, s[4:5]
.LBB94_6431:
	s_or_b64 exec, exec, s[56:57]
	flat_store_byte v[2:3], v64
                                        ; implicit-def: $vgpr4
                                        ; implicit-def: $vgpr2_vgpr3
                                        ; implicit-def: $vgpr55
.LBB94_6432:
	s_andn2_saveexec_b64 s[54:55], s[54:55]
	s_cbranch_execz .LBB94_6442
; %bb.6433:
	v_cndmask_b32_e64 v55, |v0|, |v55|, vcc
	s_mov_b32 s4, 0x43f00000
	v_cmp_gt_u32_e64 s[4:5], s4, v55
                                        ; implicit-def: $vgpr5
	s_and_saveexec_b64 s[56:57], s[4:5]
	s_xor_b64 s[56:57], exec, s[56:57]
	s_cbranch_execz .LBB94_6439
; %bb.6434:
	s_mov_b32 s4, 0x3c7fffff
	v_cmp_lt_u32_e64 s[4:5], s4, v55
                                        ; implicit-def: $vgpr5
	s_and_saveexec_b64 s[58:59], s[4:5]
	s_xor_b64 s[58:59], exec, s[58:59]
; %bb.6435:
	v_bfe_u32 v5, v4, 20, 1
	s_mov_b32 s4, 0x407ffff
	v_add3_u32 v5, v4, v5, s4
	v_lshrrev_b32_e32 v55, 20, v5
	v_and_b32_e32 v5, 0xff00000, v5
	s_mov_b32 s4, 0x7f00000
	v_mov_b32_e32 v64, 0x7e
	v_cmp_ne_u32_e64 s[4:5], s4, v5
	v_cndmask_b32_e64 v5, v64, v55, s[4:5]
                                        ; implicit-def: $vgpr55
; %bb.6436:
	s_andn2_saveexec_b64 s[4:5], s[58:59]
; %bb.6437:
	v_add_f32_e32 v5, 0x46800000, v55
; %bb.6438:
	s_or_b64 exec, exec, s[4:5]
                                        ; implicit-def: $vgpr55
.LBB94_6439:
	s_andn2_saveexec_b64 s[56:57], s[56:57]
; %bb.6440:
	s_mov_b32 s4, 0x7f800000
	v_mov_b32_e32 v5, 0x7e
	v_mov_b32_e32 v64, 0x7f
	v_cmp_lt_u32_e64 s[4:5], s4, v55
	v_cndmask_b32_e64 v5, v5, v64, s[4:5]
; %bb.6441:
	s_or_b64 exec, exec, s[56:57]
	v_lshrrev_b32_e32 v4, 24, v4
	s_movk_i32 s4, 0x80
	v_and_or_b32 v4, v4, s4, v5
	flat_store_byte v[2:3], v4
.LBB94_6442:
	s_or_b64 exec, exec, s[54:55]
                                        ; implicit-def: $vgpr4
                                        ; implicit-def: $vgpr2_vgpr3
                                        ; implicit-def: $vgpr55
.LBB94_6443:
	s_andn2_saveexec_b64 s[4:5], s[52:53]
	s_cbranch_execz .LBB94_6453
; %bb.6444:
	v_cndmask_b32_e64 v55, |v0|, |v55|, vcc
	s_mov_b32 vcc_lo, 0x47800000
	v_cmp_gt_u32_e32 vcc, vcc_lo, v55
                                        ; implicit-def: $vgpr5
	s_and_saveexec_b64 s[52:53], vcc
	s_xor_b64 s[52:53], exec, s[52:53]
	s_cbranch_execz .LBB94_6450
; %bb.6445:
	s_mov_b32 vcc_lo, 0x387fffff
	v_cmp_lt_u32_e32 vcc, vcc_lo, v55
                                        ; implicit-def: $vgpr5
	s_and_saveexec_b64 s[54:55], vcc
	s_xor_b64 vcc, exec, s[54:55]
; %bb.6446:
	v_bfe_u32 v5, v4, 21, 1
	s_mov_b32 s54, 0x80fffff
	v_add3_u32 v5, v4, v5, s54
	v_lshrrev_b32_e32 v5, 21, v5
                                        ; implicit-def: $vgpr55
; %bb.6447:
	s_andn2_saveexec_b64 vcc, vcc
; %bb.6448:
	v_add_f32_e32 v5, 0x43000000, v55
; %bb.6449:
	s_or_b64 exec, exec, vcc
                                        ; implicit-def: $vgpr55
.LBB94_6450:
	s_andn2_saveexec_b64 s[52:53], s[52:53]
; %bb.6451:
	s_mov_b32 vcc_lo, 0x7f800000
	v_mov_b32_e32 v5, 0x7c
	v_mov_b32_e32 v64, 0x7f
	v_cmp_lt_u32_e32 vcc, vcc_lo, v55
	v_cndmask_b32_e32 v5, v5, v64, vcc
; %bb.6452:
	s_or_b64 exec, exec, s[52:53]
	v_lshrrev_b32_e32 v4, 24, v4
	s_movk_i32 vcc_lo, 0x80
	v_and_or_b32 v4, v4, vcc_lo, v5
	flat_store_byte v[2:3], v4
.LBB94_6453:
	s_or_b64 exec, exec, s[4:5]
	s_or_b64 s[4:5], s[6:7], exec
                                        ; implicit-def: $vgpr4
                                        ; implicit-def: $vgpr2_vgpr3
.LBB94_6454:
	s_or_saveexec_b64 s[50:51], s[50:51]
	s_mov_b64 vcc, s[46:47]
	s_xor_b64 exec, exec, s[50:51]
	s_cbranch_execz .LBB94_6464
; %bb.6455:
	v_mov_b32_e32 v5, 14
	v_cmp_gt_i16_sdwa vcc, v11, v5 src0_sel:BYTE_0 src1_sel:DWORD
	s_mov_b64 s[52:53], s[4:5]
	s_mov_b64 s[54:55], s[46:47]
	s_and_saveexec_b64 s[56:57], vcc
	s_xor_b64 s[56:57], exec, s[56:57]
	s_cbranch_execz .LBB94_6459
; %bb.6456:
	v_mov_b32_e32 v5, 15
	v_cmp_eq_u16_sdwa s[58:59], v11, v5 src0_sel:BYTE_0 src1_sel:DWORD
	s_mov_b64 s[54:55], -1
	s_mov_b64 vcc, s[4:5]
	s_and_saveexec_b64 s[52:53], s[58:59]
	s_cbranch_execz .LBB94_6458
; %bb.6457:
	v_bfe_u32 v5, v4, 16, 1
	s_movk_i32 vcc_lo, 0x7fff
	v_add3_u32 v5, v4, v5, vcc_lo
	v_lshrrev_b32_e32 v5, 16, v5
	v_mov_b32_e32 v55, 0x7fc0
	v_cmp_o_f32_e32 vcc, v4, v4
	v_cndmask_b32_e32 v4, v55, v5, vcc
	flat_store_short v[2:3], v4
	s_xor_b64 s[54:55], exec, -1
	s_or_b64 vcc, s[4:5], exec
.LBB94_6458:
	s_or_b64 exec, exec, s[52:53]
	s_andn2_b64 s[52:53], s[46:47], exec
	s_and_b64 s[54:55], s[54:55], exec
	s_or_b64 s[54:55], s[52:53], s[54:55]
	s_andn2_b64 s[52:53], s[4:5], exec
	s_and_b64 vcc, vcc, exec
	s_or_b64 s[52:53], s[52:53], vcc
                                        ; implicit-def: $vgpr4
                                        ; implicit-def: $vgpr2_vgpr3
.LBB94_6459:
	s_andn2_saveexec_b64 s[56:57], s[56:57]
	s_cbranch_execz .LBB94_6463
; %bb.6460:
	v_mov_b32_e32 v5, 11
	v_cmp_eq_u16_sdwa s[62:63], v11, v5 src0_sel:BYTE_0 src1_sel:DWORD
	s_mov_b64 s[58:59], -1
	s_mov_b64 vcc, s[52:53]
	s_and_saveexec_b64 s[60:61], s[62:63]
	s_cbranch_execz .LBB94_6462
; %bb.6461:
	v_cmp_neq_f32_e32 vcc, 0, v4
	v_cndmask_b32_e64 v4, 0, 1, vcc
	flat_store_byte v[2:3], v4
	s_xor_b64 s[58:59], exec, -1
	s_or_b64 vcc, s[52:53], exec
.LBB94_6462:
	s_or_b64 exec, exec, s[60:61]
	s_andn2_b64 s[54:55], s[54:55], exec
	s_and_b64 s[58:59], s[58:59], exec
	s_andn2_b64 s[52:53], s[52:53], exec
	s_and_b64 vcc, vcc, exec
	s_or_b64 s[54:55], s[54:55], s[58:59]
	s_or_b64 s[52:53], s[52:53], vcc
.LBB94_6463:
	s_or_b64 exec, exec, s[56:57]
	s_andn2_b64 vcc, s[46:47], exec
	s_and_b64 s[54:55], s[54:55], exec
	s_andn2_b64 s[4:5], s[4:5], exec
	s_and_b64 s[52:53], s[52:53], exec
	s_or_b64 vcc, vcc, s[54:55]
	s_or_b64 s[4:5], s[4:5], s[52:53]
.LBB94_6464:
	s_or_b64 exec, exec, s[50:51]
	s_andn2_b64 s[46:47], s[46:47], exec
	s_and_b64 vcc, vcc, exec
	s_andn2_b64 s[6:7], s[6:7], exec
	s_and_b64 s[4:5], s[4:5], exec
	s_or_b64 s[46:47], s[46:47], vcc
	s_or_b64 s[6:7], s[6:7], s[4:5]
.LBB94_6465:
	s_or_b64 exec, exec, s[48:49]
	v_readlane_b32 s4, v43, 14
	v_readlane_b32 s5, v43, 15
	s_andn2_b64 s[4:5], s[4:5], exec
	s_and_b64 vcc, s[46:47], exec
	s_or_b64 s[4:5], s[4:5], vcc
	s_and_b64 s[6:7], s[6:7], exec
                                        ; implicit-def: $vgpr4
                                        ; implicit-def: $vgpr2_vgpr3
	s_andn2_saveexec_b64 s[42:43], s[42:43]
	s_cbranch_execz .LBB94_3992
.LBB94_6466:
	v_mov_b32_e32 v5, 4
	v_cmp_gt_i16_sdwa vcc, v11, v5 src0_sel:BYTE_0 src1_sel:DWORD
	s_and_saveexec_b64 s[46:47], vcc
	s_xor_b64 vcc, exec, s[46:47]
	s_cbranch_execz .LBB94_6488
; %bb.6467:
	v_mov_b32_e32 v5, 7
	v_cmp_gt_i16_sdwa s[46:47], v11, v5 src0_sel:BYTE_0 src1_sel:DWORD
	s_and_saveexec_b64 s[48:49], s[46:47]
	s_xor_b64 s[46:47], exec, s[48:49]
	s_cbranch_execz .LBB94_6477
; %bb.6468:
	v_mov_b32_e32 v5, 8
	v_cmp_gt_i16_sdwa s[48:49], v11, v5 src0_sel:BYTE_0 src1_sel:DWORD
	s_and_saveexec_b64 s[50:51], s[48:49]
	s_xor_b64 s[48:49], exec, s[50:51]
	;; [unrolled: 6-line block ×3, first 2 shown]
	s_cbranch_execz .LBB94_6471
; %bb.6470:
	v_mov_b32_e32 v66, 0
	v_cvt_f64_f32_e32 v[64:65], v4
	v_mov_b32_e32 v67, v66
	flat_store_dwordx4 v[2:3], v[64:67]
                                        ; implicit-def: $vgpr4
                                        ; implicit-def: $vgpr2_vgpr3
.LBB94_6471:
	s_andn2_saveexec_b64 s[50:51], s[50:51]
	s_cbranch_execz .LBB94_6473
; %bb.6472:
	v_mov_b32_e32 v5, 0
	flat_store_dwordx2 v[2:3], v[4:5]
.LBB94_6473:
	s_or_b64 exec, exec, s[50:51]
                                        ; implicit-def: $vgpr4
                                        ; implicit-def: $vgpr2_vgpr3
.LBB94_6474:
	s_andn2_saveexec_b64 s[48:49], s[48:49]
	s_cbranch_execz .LBB94_6476
; %bb.6475:
	v_cvt_f16_f32_e32 v4, v4
	flat_store_dword v[2:3], v4
.LBB94_6476:
	s_or_b64 exec, exec, s[48:49]
                                        ; implicit-def: $vgpr4
                                        ; implicit-def: $vgpr2_vgpr3
.LBB94_6477:
	s_andn2_saveexec_b64 s[46:47], s[46:47]
	s_cbranch_execz .LBB94_6487
; %bb.6478:
	v_mov_b32_e32 v5, 5
	v_cmp_gt_i16_sdwa s[48:49], v11, v5 src0_sel:BYTE_0 src1_sel:DWORD
	s_and_saveexec_b64 s[50:51], s[48:49]
	s_xor_b64 s[48:49], exec, s[50:51]
	s_cbranch_execz .LBB94_6484
; %bb.6479:
	v_mov_b32_e32 v5, 6
	v_cmp_gt_i16_sdwa s[50:51], v11, v5 src0_sel:BYTE_0 src1_sel:DWORD
	s_and_saveexec_b64 s[52:53], s[50:51]
	s_xor_b64 s[50:51], exec, s[52:53]
	s_cbranch_execz .LBB94_6481
; %bb.6480:
	v_cvt_f64_f32_e32 v[4:5], v4
	flat_store_dwordx2 v[2:3], v[4:5]
                                        ; implicit-def: $vgpr2_vgpr3
                                        ; implicit-def: $vgpr4
.LBB94_6481:
	s_andn2_saveexec_b64 s[50:51], s[50:51]
	s_cbranch_execz .LBB94_6483
; %bb.6482:
	flat_store_dword v[2:3], v4
.LBB94_6483:
	s_or_b64 exec, exec, s[50:51]
                                        ; implicit-def: $vgpr4
                                        ; implicit-def: $vgpr2_vgpr3
.LBB94_6484:
	s_andn2_saveexec_b64 s[48:49], s[48:49]
	s_cbranch_execz .LBB94_6486
; %bb.6485:
	v_cvt_f16_f32_e32 v4, v4
	flat_store_short v[2:3], v4
.LBB94_6486:
	s_or_b64 exec, exec, s[48:49]
.LBB94_6487:
	s_or_b64 exec, exec, s[46:47]
                                        ; implicit-def: $vgpr4
                                        ; implicit-def: $vgpr2_vgpr3
.LBB94_6488:
	s_andn2_saveexec_b64 s[46:47], vcc
	s_cbranch_execz .LBB94_6506
; %bb.6489:
	v_mov_b32_e32 v5, 1
	v_cmp_gt_i16_sdwa vcc, v11, v5 src0_sel:BYTE_0 src1_sel:DWORD
	s_and_saveexec_b64 s[48:49], vcc
	s_xor_b64 s[48:49], exec, s[48:49]
	s_cbranch_execz .LBB94_6499
; %bb.6490:
	v_mov_b32_e32 v5, 2
	v_cmp_gt_i16_sdwa vcc, v11, v5 src0_sel:BYTE_0 src1_sel:DWORD
	s_and_saveexec_b64 s[50:51], vcc
	s_xor_b64 s[50:51], exec, s[50:51]
	;; [unrolled: 6-line block ×3, first 2 shown]
	s_cbranch_execz .LBB94_6493
; %bb.6492:
	v_trunc_f32_e32 v4, v4
	s_mov_b32 s54, 0x2f800000
	v_mul_f32_e64 v5, |v4|, s54
	v_floor_f32_e32 v5, v5
	s_mov_b32 s54, 0xcf800000
	v_cvt_u32_f32_e32 v55, v5
	v_fma_f32 v5, v5, s54, |v4|
	v_cvt_u32_f32_e32 v5, v5
	v_ashrrev_i32_e32 v64, 31, v4
	v_xor_b32_e32 v55, v55, v64
	v_xor_b32_e32 v4, v5, v64
	v_sub_co_u32_e32 v4, vcc, v4, v64
	v_subb_co_u32_e32 v5, vcc, v55, v64, vcc
	flat_store_dwordx2 v[2:3], v[4:5]
                                        ; implicit-def: $vgpr4
                                        ; implicit-def: $vgpr2_vgpr3
.LBB94_6493:
	s_andn2_saveexec_b64 vcc, s[52:53]
	s_cbranch_execz .LBB94_6495
; %bb.6494:
	v_cvt_i32_f32_e32 v4, v4
	flat_store_dword v[2:3], v4
.LBB94_6495:
	s_or_b64 exec, exec, vcc
                                        ; implicit-def: $vgpr4
                                        ; implicit-def: $vgpr2_vgpr3
.LBB94_6496:
	s_andn2_saveexec_b64 vcc, s[50:51]
	s_cbranch_execz .LBB94_6498
; %bb.6497:
	v_cvt_i32_f32_e32 v4, v4
	flat_store_short v[2:3], v4
.LBB94_6498:
	s_or_b64 exec, exec, vcc
                                        ; implicit-def: $vgpr4
                                        ; implicit-def: $vgpr2_vgpr3
.LBB94_6499:
	s_andn2_saveexec_b64 vcc, s[48:49]
	s_cbranch_execz .LBB94_6505
; %bb.6500:
	v_mov_b32_e32 v5, 0
	v_cmp_gt_i16_sdwa s[48:49], v11, v5 src0_sel:BYTE_0 src1_sel:DWORD
	s_and_saveexec_b64 s[50:51], s[48:49]
	s_xor_b64 s[48:49], exec, s[50:51]
	s_cbranch_execz .LBB94_6502
; %bb.6501:
	v_cvt_i32_f32_e32 v4, v4
	flat_store_byte v[2:3], v4
                                        ; implicit-def: $vgpr4
                                        ; implicit-def: $vgpr2_vgpr3
.LBB94_6502:
	s_andn2_saveexec_b64 s[48:49], s[48:49]
	s_cbranch_execz .LBB94_6504
; %bb.6503:
	v_trunc_f32_e32 v4, v4
	s_mov_b32 s50, 0x2f800000
	v_mul_f32_e64 v5, |v4|, s50
	v_floor_f32_e32 v5, v5
	s_mov_b32 s50, 0xcf800000
	v_fma_f32 v5, v5, s50, |v4|
	v_cvt_u32_f32_e32 v5, v5
	v_ashrrev_i32_e32 v4, 31, v4
	v_xor_b32_e32 v5, v5, v4
	v_sub_u32_e32 v4, v5, v4
	flat_store_byte v[2:3], v4
.LBB94_6504:
	s_or_b64 exec, exec, s[48:49]
.LBB94_6505:
	s_or_b64 exec, exec, vcc
.LBB94_6506:
	s_or_b64 exec, exec, s[46:47]
	s_or_b64 s[6:7], s[6:7], exec
	s_or_b64 exec, exec, s[42:43]
	s_mov_b64 vcc, 0
	s_and_saveexec_b64 s[42:43], s[6:7]
	s_cbranch_execnz .LBB94_3993
	s_branch .LBB94_3994
.LBB94_6507:
	v_bfe_u32 v5, v4, 21, 1
	s_mov_b32 s60, 0x88fffff
	v_add3_u32 v5, v4, v5, s60
	s_mov_b64 s[58:59], exec
	v_lshrrev_b32_e32 v5, 21, v5
                                        ; implicit-def: $vgpr83
	s_or_saveexec_b64 s[60:61], s[4:5]
                                        ; implicit-def: $sgpr62
	s_xor_b64 exec, exec, s[60:61]
	s_cbranch_execz .LBB94_5794
.LBB94_6508:
	v_add_f32_e32 v5, 0x42800000, v83
	v_and_b32_e32 v5, 0xff, v5
	v_cmp_ne_u32_e64 s[4:5], 0, v5
	s_andn2_b64 s[58:59], s[58:59], exec
	s_and_b64 s[4:5], s[4:5], exec
	s_mov_b32 s62, 0
	s_or_b64 s[58:59], s[58:59], s[4:5]
	s_or_b64 exec, exec, s[60:61]
	v_mov_b32_e32 v84, s62
	s_and_saveexec_b64 s[4:5], s[58:59]
	s_cbranch_execnz .LBB94_5795
	s_branch .LBB94_5796
.LBB94_6509:
	v_bfe_u32 v5, v4, 20, 1
	s_mov_b32 s60, 0x487ffff
	v_add3_u32 v5, v4, v5, s60
	s_mov_b64 s[58:59], exec
	v_lshrrev_b32_e32 v5, 20, v5
                                        ; implicit-def: $vgpr81
	s_or_saveexec_b64 s[60:61], s[4:5]
                                        ; implicit-def: $sgpr62
	s_xor_b64 exec, exec, s[60:61]
	s_cbranch_execz .LBB94_5907
.LBB94_6510:
	v_add_f32_e32 v5, 0x46000000, v81
	v_and_b32_e32 v5, 0xff, v5
	v_cmp_ne_u32_e64 s[4:5], 0, v5
	s_andn2_b64 s[58:59], s[58:59], exec
	s_and_b64 s[4:5], s[4:5], exec
	s_mov_b32 s62, 0
	s_or_b64 s[58:59], s[58:59], s[4:5]
	s_or_b64 exec, exec, s[60:61]
	v_mov_b32_e32 v82, s62
	s_and_saveexec_b64 s[4:5], s[58:59]
	s_cbranch_execnz .LBB94_5908
	s_branch .LBB94_5909
.LBB94_6511:
	v_mov_b32_e32 v5, 25
	v_cmp_gt_i16_sdwa s[4:5], v11, v5 src0_sel:BYTE_0 src1_sel:DWORD
	s_mov_b64 s[50:51], s[42:43]
	s_and_saveexec_b64 s[52:53], s[4:5]
	s_xor_b64 s[52:53], exec, s[52:53]
	s_cbranch_execz .LBB94_6547
; %bb.6512:
	v_mov_b32_e32 v5, 28
	v_cmp_gt_i16_sdwa s[4:5], v11, v5 src0_sel:BYTE_0 src1_sel:DWORD
	s_mov_b64 s[54:55], s[42:43]
	s_and_saveexec_b64 s[50:51], s[4:5]
	s_xor_b64 s[50:51], exec, s[50:51]
	s_cbranch_execz .LBB94_6530
; %bb.6513:
	v_mov_b32_e32 v5, 43
	v_cmp_gt_i16_sdwa s[54:55], v11, v5 src0_sel:BYTE_0 src1_sel:DWORD
	s_mov_b64 s[4:5], 0
	s_mov_b64 s[6:7], s[42:43]
	s_and_saveexec_b64 s[56:57], s[54:55]
	s_xor_b64 s[54:55], exec, s[56:57]
	s_cbranch_execz .LBB94_6525
; %bb.6514:
	v_mov_b32_e32 v5, 45
	v_cmp_gt_i16_sdwa s[4:5], v11, v5 src0_sel:BYTE_0 src1_sel:DWORD
	s_mov_b64 s[56:57], 0
	s_mov_b64 s[58:59], s[42:43]
	s_and_saveexec_b64 s[6:7], s[4:5]
	s_xor_b64 s[6:7], exec, s[6:7]
	s_cbranch_execz .LBB94_6518
; %bb.6515:
	v_mov_b32_e32 v5, 46
	v_cmp_eq_u16_sdwa s[60:61], v11, v5 src0_sel:BYTE_0 src1_sel:DWORD
	s_mov_b64 s[4:5], -1
	s_and_saveexec_b64 s[58:59], s[60:61]
	s_cbranch_execz .LBB94_6517
; %bb.6516:
	v_bfe_u32 v5, v4, 16, 1
	s_movk_i32 s4, 0x7fff
	v_add3_u32 v5, v4, v5, s4
	v_lshrrev_b32_e32 v5, 16, v5
	v_mov_b32_e32 v53, 0x7fc0
	v_cmp_o_f32_e64 s[4:5], v4, v4
	v_cndmask_b32_e64 v4, v53, v5, s[4:5]
	s_mov_b64 s[56:57], exec
	flat_store_dword v[2:3], v4
	s_xor_b64 s[4:5], exec, -1
.LBB94_6517:
	s_or_b64 exec, exec, s[58:59]
	s_andn2_b64 s[58:59], s[42:43], exec
	s_and_b64 s[4:5], s[4:5], exec
	s_or_b64 s[58:59], s[58:59], s[4:5]
	s_and_b64 s[56:57], s[56:57], exec
                                        ; implicit-def: $vgpr2_vgpr3
                                        ; implicit-def: $vgpr4
.LBB94_6518:
	s_andn2_saveexec_b64 s[60:61], s[6:7]
	s_cbranch_execz .LBB94_6524
; %bb.6519:
	v_mov_b32_e32 v5, 44
	v_cmp_eq_u16_sdwa s[64:65], v11, v5 src0_sel:BYTE_0 src1_sel:DWORD
	s_mov_b64 s[6:7], -1
	s_mov_b64 s[4:5], s[56:57]
	s_and_saveexec_b64 s[62:63], s[64:65]
	s_cbranch_execz .LBB94_6523
; %bb.6520:
	v_bfe_u32 v5, v4, 23, 8
	s_movk_i32 s4, 0xff
	v_cmp_ne_u32_e64 s[4:5], s4, v5
	v_mov_b32_e32 v53, 0xff
	s_and_saveexec_b64 s[64:65], s[4:5]
; %bb.6521:
	s_mov_b32 s6, 0x3fffff
	v_lshrrev_b32_e32 v53, 23, v4
	v_and_b32_e32 v54, 0x400000, v4
	v_and_or_b32 v4, v4, s6, v5
	v_cmp_ne_u32_e64 s[4:5], 0, v54
	v_cmp_ne_u32_e64 s[6:7], 0, v4
	s_and_b64 s[4:5], s[4:5], s[6:7]
	v_cndmask_b32_e64 v4, 0, 1, s[4:5]
	v_add_u32_e32 v53, v53, v4
; %bb.6522:
	s_or_b64 exec, exec, s[64:65]
	s_xor_b64 s[6:7], exec, -1
	s_or_b64 s[4:5], s[56:57], exec
	flat_store_byte v[2:3], v53
.LBB94_6523:
	s_or_b64 exec, exec, s[62:63]
	s_andn2_b64 s[58:59], s[58:59], exec
	s_and_b64 s[6:7], s[6:7], exec
	s_or_b64 s[58:59], s[58:59], s[6:7]
	s_andn2_b64 s[6:7], s[56:57], exec
	s_and_b64 s[4:5], s[4:5], exec
	s_or_b64 s[56:57], s[6:7], s[4:5]
.LBB94_6524:
	s_or_b64 exec, exec, s[60:61]
	s_andn2_b64 s[4:5], s[42:43], exec
	s_and_b64 s[6:7], s[58:59], exec
	s_or_b64 s[6:7], s[4:5], s[6:7]
	s_and_b64 s[4:5], s[56:57], exec
                                        ; implicit-def: $vgpr4
                                        ; implicit-def: $vgpr2_vgpr3
.LBB94_6525:
	s_andn2_saveexec_b64 s[54:55], s[54:55]
	s_cbranch_execz .LBB94_6529
; %bb.6526:
	v_mov_b32_e32 v5, 29
	v_cmp_eq_u16_sdwa s[62:63], v11, v5 src0_sel:BYTE_0 src1_sel:DWORD
	s_mov_b64 s[60:61], -1
	s_mov_b64 s[58:59], s[4:5]
	s_and_saveexec_b64 s[56:57], s[62:63]
	s_cbranch_execz .LBB94_6528
; %bb.6527:
	v_trunc_f32_e32 v4, v4
	v_mul_f32_e32 v5, 0x2f800000, v4
	v_floor_f32_e32 v53, v5
	v_fmac_f32_e32 v4, 0xcf800000, v53
	v_cvt_u32_f32_e32 v5, v53
	v_cvt_u32_f32_e32 v4, v4
	s_xor_b64 s[60:61], exec, -1
	s_or_b64 s[58:59], s[4:5], exec
	flat_store_dwordx2 v[2:3], v[4:5]
.LBB94_6528:
	s_or_b64 exec, exec, s[56:57]
	s_andn2_b64 s[6:7], s[6:7], exec
	s_and_b64 s[56:57], s[60:61], exec
	s_or_b64 s[6:7], s[6:7], s[56:57]
	s_andn2_b64 s[4:5], s[4:5], exec
	s_and_b64 s[56:57], s[58:59], exec
	s_or_b64 s[4:5], s[4:5], s[56:57]
.LBB94_6529:
	s_or_b64 exec, exec, s[54:55]
	s_andn2_b64 s[54:55], s[42:43], exec
	s_and_b64 s[6:7], s[6:7], exec
	s_or_b64 s[54:55], s[54:55], s[6:7]
	s_and_b64 s[6:7], s[4:5], exec
                                        ; implicit-def: $vgpr2_vgpr3
                                        ; implicit-def: $vgpr53
                                        ; implicit-def: $vgpr4
.LBB94_6530:
	s_andn2_saveexec_b64 s[50:51], s[50:51]
	s_cbranch_execz .LBB94_6546
; %bb.6531:
	v_mov_b32_e32 v5, 26
	v_cmp_gt_i16_sdwa s[4:5], v11, v5 src0_sel:BYTE_0 src1_sel:DWORD
	s_and_saveexec_b64 s[56:57], s[4:5]
	s_xor_b64 s[4:5], exec, s[56:57]
	s_cbranch_execz .LBB94_6537
; %bb.6532:
	v_cvt_u32_f32_e32 v4, v4
	v_mov_b32_e32 v5, 27
	v_cmp_gt_i16_sdwa s[56:57], v11, v5 src0_sel:BYTE_0 src1_sel:DWORD
	s_and_saveexec_b64 s[58:59], s[56:57]
	s_xor_b64 s[56:57], exec, s[58:59]
	s_cbranch_execz .LBB94_6534
; %bb.6533:
	flat_store_dword v[2:3], v4
                                        ; implicit-def: $vgpr2_vgpr3
                                        ; implicit-def: $vgpr4
.LBB94_6534:
	s_andn2_saveexec_b64 s[56:57], s[56:57]
	s_cbranch_execz .LBB94_6536
; %bb.6535:
	flat_store_short v[2:3], v4
.LBB94_6536:
	s_or_b64 exec, exec, s[56:57]
                                        ; implicit-def: $vgpr2_vgpr3
                                        ; implicit-def: $vgpr53
                                        ; implicit-def: $vgpr4
.LBB94_6537:
	s_andn2_saveexec_b64 s[56:57], s[4:5]
	s_cbranch_execz .LBB94_6545
; %bb.6538:
	v_cndmask_b32_e64 v53, |v0|, |v53|, vcc
	s_mov_b32 s4, 0x43800000
	v_cmp_gt_u32_e64 s[4:5], s4, v53
	v_mov_b32_e32 v54, 0x80
	s_and_saveexec_b64 s[58:59], s[4:5]
	s_cbranch_execz .LBB94_6544
; %bb.6539:
	s_mov_b32 s4, 0x3bffffff
	v_cmp_lt_u32_e64 s[4:5], s4, v53
	s_mov_b64 s[60:61], 0
                                        ; implicit-def: $vgpr5
	s_and_saveexec_b64 s[62:63], s[4:5]
	s_xor_b64 s[4:5], exec, s[62:63]
	s_cbranch_execnz .LBB94_7265
; %bb.6540:
	s_or_saveexec_b64 s[62:63], s[4:5]
                                        ; implicit-def: $sgpr64
	s_xor_b64 exec, exec, s[62:63]
	s_cbranch_execnz .LBB94_7266
.LBB94_6541:
	s_or_b64 exec, exec, s[62:63]
	v_mov_b32_e32 v54, s64
	s_and_saveexec_b64 s[4:5], s[60:61]
.LBB94_6542:
	v_lshrrev_b32_e32 v4, 24, v4
	s_movk_i32 s60, 0x80
	v_and_or_b32 v54, v4, s60, v5
.LBB94_6543:
	s_or_b64 exec, exec, s[4:5]
.LBB94_6544:
	s_or_b64 exec, exec, s[58:59]
	flat_store_byte v[2:3], v54
.LBB94_6545:
	s_or_b64 exec, exec, s[56:57]
	s_or_b64 s[6:7], s[6:7], exec
.LBB94_6546:
	s_or_b64 exec, exec, s[50:51]
	s_andn2_b64 s[4:5], s[42:43], exec
	s_and_b64 s[50:51], s[54:55], exec
	s_or_b64 s[50:51], s[4:5], s[50:51]
	s_and_b64 s[6:7], s[6:7], exec
                                        ; implicit-def: $vgpr4
                                        ; implicit-def: $vgpr2_vgpr3
                                        ; implicit-def: $vgpr53
.LBB94_6547:
	s_andn2_saveexec_b64 s[52:53], s[52:53]
	s_cbranch_execz .LBB94_6591
; %bb.6548:
	v_mov_b32_e32 v5, 22
	v_cmp_gt_i16_sdwa s[54:55], v11, v5 src0_sel:BYTE_0 src1_sel:DWORD
	s_mov_b64 s[4:5], s[6:7]
	s_and_saveexec_b64 s[56:57], s[54:55]
	s_xor_b64 s[54:55], exec, s[56:57]
	s_cbranch_execz .LBB94_6580
; %bb.6549:
	v_mov_b32_e32 v5, 23
	v_cmp_gt_i16_sdwa s[4:5], v11, v5 src0_sel:BYTE_0 src1_sel:DWORD
	s_and_saveexec_b64 s[56:57], s[4:5]
	s_xor_b64 s[56:57], exec, s[56:57]
	s_cbranch_execz .LBB94_6569
; %bb.6550:
	v_mov_b32_e32 v5, 24
	v_cmp_gt_i16_sdwa s[4:5], v11, v5 src0_sel:BYTE_0 src1_sel:DWORD
	s_and_saveexec_b64 s[58:59], s[4:5]
	s_xor_b64 s[58:59], exec, s[58:59]
	s_cbranch_execz .LBB94_6558
; %bb.6551:
	v_cndmask_b32_e64 v53, |v0|, |v53|, vcc
	s_mov_b32 s4, 0x47800000
	v_cmp_gt_u32_e64 s[4:5], s4, v53
	v_mov_b32_e32 v54, 0x80
	s_and_saveexec_b64 s[60:61], s[4:5]
	s_cbranch_execz .LBB94_6557
; %bb.6552:
	s_mov_b32 s4, 0x37ffffff
	v_cmp_lt_u32_e64 s[4:5], s4, v53
	s_mov_b64 s[62:63], 0
                                        ; implicit-def: $vgpr5
	s_and_saveexec_b64 s[64:65], s[4:5]
	s_xor_b64 s[4:5], exec, s[64:65]
	s_cbranch_execnz .LBB94_7389
; %bb.6553:
	s_or_saveexec_b64 s[64:65], s[4:5]
                                        ; implicit-def: $sgpr66
	s_xor_b64 exec, exec, s[64:65]
	s_cbranch_execnz .LBB94_7390
.LBB94_6554:
	s_or_b64 exec, exec, s[64:65]
	v_mov_b32_e32 v54, s66
	s_and_saveexec_b64 s[4:5], s[62:63]
.LBB94_6555:
	v_lshrrev_b32_e32 v4, 24, v4
	s_movk_i32 s62, 0x80
	v_and_or_b32 v54, v4, s62, v5
.LBB94_6556:
	s_or_b64 exec, exec, s[4:5]
.LBB94_6557:
	s_or_b64 exec, exec, s[60:61]
	flat_store_byte v[2:3], v54
                                        ; implicit-def: $vgpr4
                                        ; implicit-def: $vgpr2_vgpr3
                                        ; implicit-def: $vgpr53
.LBB94_6558:
	s_andn2_saveexec_b64 s[58:59], s[58:59]
	s_cbranch_execz .LBB94_6568
; %bb.6559:
	v_cndmask_b32_e64 v53, |v0|, |v53|, vcc
	s_mov_b32 s4, 0x43f00000
	v_cmp_gt_u32_e64 s[4:5], s4, v53
                                        ; implicit-def: $vgpr5
	s_and_saveexec_b64 s[60:61], s[4:5]
	s_xor_b64 s[60:61], exec, s[60:61]
	s_cbranch_execz .LBB94_6565
; %bb.6560:
	s_mov_b32 s4, 0x3c7fffff
	v_cmp_lt_u32_e64 s[4:5], s4, v53
                                        ; implicit-def: $vgpr5
	s_and_saveexec_b64 s[62:63], s[4:5]
	s_xor_b64 s[62:63], exec, s[62:63]
; %bb.6561:
	v_bfe_u32 v5, v4, 20, 1
	s_mov_b32 s4, 0x407ffff
	v_add3_u32 v5, v4, v5, s4
	v_lshrrev_b32_e32 v53, 20, v5
	v_and_b32_e32 v5, 0xff00000, v5
	s_mov_b32 s4, 0x7f00000
	v_mov_b32_e32 v54, 0x7e
	v_cmp_ne_u32_e64 s[4:5], s4, v5
	v_cndmask_b32_e64 v5, v54, v53, s[4:5]
                                        ; implicit-def: $vgpr53
; %bb.6562:
	s_andn2_saveexec_b64 s[4:5], s[62:63]
; %bb.6563:
	v_add_f32_e32 v5, 0x46800000, v53
; %bb.6564:
	s_or_b64 exec, exec, s[4:5]
                                        ; implicit-def: $vgpr53
.LBB94_6565:
	s_andn2_saveexec_b64 s[60:61], s[60:61]
; %bb.6566:
	s_mov_b32 s4, 0x7f800000
	v_mov_b32_e32 v5, 0x7e
	v_mov_b32_e32 v54, 0x7f
	v_cmp_lt_u32_e64 s[4:5], s4, v53
	v_cndmask_b32_e64 v5, v5, v54, s[4:5]
; %bb.6567:
	s_or_b64 exec, exec, s[60:61]
	v_lshrrev_b32_e32 v4, 24, v4
	s_movk_i32 s4, 0x80
	v_and_or_b32 v4, v4, s4, v5
	flat_store_byte v[2:3], v4
.LBB94_6568:
	s_or_b64 exec, exec, s[58:59]
                                        ; implicit-def: $vgpr4
                                        ; implicit-def: $vgpr2_vgpr3
                                        ; implicit-def: $vgpr53
.LBB94_6569:
	s_andn2_saveexec_b64 s[4:5], s[56:57]
	s_cbranch_execz .LBB94_6579
; %bb.6570:
	v_cndmask_b32_e64 v53, |v0|, |v53|, vcc
	s_mov_b32 vcc_lo, 0x47800000
	v_cmp_gt_u32_e32 vcc, vcc_lo, v53
                                        ; implicit-def: $vgpr5
	s_and_saveexec_b64 s[56:57], vcc
	s_xor_b64 s[56:57], exec, s[56:57]
	s_cbranch_execz .LBB94_6576
; %bb.6571:
	s_mov_b32 vcc_lo, 0x387fffff
	v_cmp_lt_u32_e32 vcc, vcc_lo, v53
                                        ; implicit-def: $vgpr5
	s_and_saveexec_b64 s[58:59], vcc
	s_xor_b64 vcc, exec, s[58:59]
; %bb.6572:
	v_bfe_u32 v5, v4, 21, 1
	s_mov_b32 s58, 0x80fffff
	v_add3_u32 v5, v4, v5, s58
	v_lshrrev_b32_e32 v5, 21, v5
                                        ; implicit-def: $vgpr53
; %bb.6573:
	s_andn2_saveexec_b64 vcc, vcc
; %bb.6574:
	v_add_f32_e32 v5, 0x43000000, v53
; %bb.6575:
	s_or_b64 exec, exec, vcc
                                        ; implicit-def: $vgpr53
.LBB94_6576:
	s_andn2_saveexec_b64 s[56:57], s[56:57]
; %bb.6577:
	s_mov_b32 vcc_lo, 0x7f800000
	v_mov_b32_e32 v5, 0x7c
	v_mov_b32_e32 v54, 0x7f
	v_cmp_lt_u32_e32 vcc, vcc_lo, v53
	v_cndmask_b32_e32 v5, v5, v54, vcc
; %bb.6578:
	s_or_b64 exec, exec, s[56:57]
	v_lshrrev_b32_e32 v4, 24, v4
	s_movk_i32 vcc_lo, 0x80
	v_and_or_b32 v4, v4, vcc_lo, v5
	flat_store_byte v[2:3], v4
.LBB94_6579:
	s_or_b64 exec, exec, s[4:5]
	s_or_b64 s[4:5], s[6:7], exec
                                        ; implicit-def: $vgpr4
                                        ; implicit-def: $vgpr2_vgpr3
.LBB94_6580:
	s_or_saveexec_b64 s[54:55], s[54:55]
	s_mov_b64 vcc, s[50:51]
	s_xor_b64 exec, exec, s[54:55]
	s_cbranch_execz .LBB94_6590
; %bb.6581:
	v_mov_b32_e32 v5, 14
	v_cmp_gt_i16_sdwa vcc, v11, v5 src0_sel:BYTE_0 src1_sel:DWORD
	s_mov_b64 s[56:57], s[4:5]
	s_mov_b64 s[58:59], s[50:51]
	s_and_saveexec_b64 s[60:61], vcc
	s_xor_b64 s[60:61], exec, s[60:61]
	s_cbranch_execz .LBB94_6585
; %bb.6582:
	v_mov_b32_e32 v5, 15
	v_cmp_eq_u16_sdwa s[62:63], v11, v5 src0_sel:BYTE_0 src1_sel:DWORD
	s_mov_b64 s[58:59], -1
	s_mov_b64 vcc, s[4:5]
	s_and_saveexec_b64 s[56:57], s[62:63]
	s_cbranch_execz .LBB94_6584
; %bb.6583:
	v_bfe_u32 v5, v4, 16, 1
	s_movk_i32 vcc_lo, 0x7fff
	v_add3_u32 v5, v4, v5, vcc_lo
	v_lshrrev_b32_e32 v5, 16, v5
	v_mov_b32_e32 v53, 0x7fc0
	v_cmp_o_f32_e32 vcc, v4, v4
	v_cndmask_b32_e32 v4, v53, v5, vcc
	flat_store_short v[2:3], v4
	s_xor_b64 s[58:59], exec, -1
	s_or_b64 vcc, s[4:5], exec
.LBB94_6584:
	s_or_b64 exec, exec, s[56:57]
	s_andn2_b64 s[56:57], s[50:51], exec
	s_and_b64 s[58:59], s[58:59], exec
	s_or_b64 s[58:59], s[56:57], s[58:59]
	s_andn2_b64 s[56:57], s[4:5], exec
	s_and_b64 vcc, vcc, exec
	s_or_b64 s[56:57], s[56:57], vcc
                                        ; implicit-def: $vgpr4
                                        ; implicit-def: $vgpr2_vgpr3
.LBB94_6585:
	s_andn2_saveexec_b64 s[60:61], s[60:61]
	s_cbranch_execz .LBB94_6589
; %bb.6586:
	v_mov_b32_e32 v5, 11
	v_cmp_eq_u16_sdwa s[66:67], v11, v5 src0_sel:BYTE_0 src1_sel:DWORD
	s_mov_b64 s[62:63], -1
	s_mov_b64 vcc, s[56:57]
	s_and_saveexec_b64 s[64:65], s[66:67]
	s_cbranch_execz .LBB94_6588
; %bb.6587:
	v_cmp_neq_f32_e32 vcc, 0, v4
	v_cndmask_b32_e64 v4, 0, 1, vcc
	flat_store_byte v[2:3], v4
	s_xor_b64 s[62:63], exec, -1
	s_or_b64 vcc, s[56:57], exec
.LBB94_6588:
	s_or_b64 exec, exec, s[64:65]
	s_andn2_b64 s[58:59], s[58:59], exec
	s_and_b64 s[62:63], s[62:63], exec
	s_andn2_b64 s[56:57], s[56:57], exec
	s_and_b64 vcc, vcc, exec
	s_or_b64 s[58:59], s[58:59], s[62:63]
	s_or_b64 s[56:57], s[56:57], vcc
.LBB94_6589:
	s_or_b64 exec, exec, s[60:61]
	s_andn2_b64 vcc, s[50:51], exec
	s_and_b64 s[58:59], s[58:59], exec
	s_andn2_b64 s[4:5], s[4:5], exec
	s_and_b64 s[56:57], s[56:57], exec
	s_or_b64 vcc, vcc, s[58:59]
	s_or_b64 s[4:5], s[4:5], s[56:57]
.LBB94_6590:
	s_or_b64 exec, exec, s[54:55]
	s_andn2_b64 s[50:51], s[50:51], exec
	s_and_b64 vcc, vcc, exec
	s_andn2_b64 s[6:7], s[6:7], exec
	s_and_b64 s[4:5], s[4:5], exec
	s_or_b64 s[50:51], s[50:51], vcc
	s_or_b64 s[6:7], s[6:7], s[4:5]
.LBB94_6591:
	s_or_b64 exec, exec, s[52:53]
	s_andn2_b64 s[4:5], s[42:43], exec
	s_and_b64 vcc, s[50:51], exec
	s_or_b64 s[4:5], s[4:5], vcc
	s_and_b64 s[6:7], s[6:7], exec
                                        ; implicit-def: $vgpr4
                                        ; implicit-def: $vgpr2_vgpr3
	s_andn2_saveexec_b64 s[46:47], s[46:47]
	s_cbranch_execz .LBB94_3999
.LBB94_6592:
	v_mov_b32_e32 v5, 4
	v_cmp_gt_i16_sdwa vcc, v11, v5 src0_sel:BYTE_0 src1_sel:DWORD
	s_and_saveexec_b64 s[50:51], vcc
	s_xor_b64 vcc, exec, s[50:51]
	s_cbranch_execz .LBB94_6614
; %bb.6593:
	v_mov_b32_e32 v5, 7
	v_cmp_gt_i16_sdwa s[50:51], v11, v5 src0_sel:BYTE_0 src1_sel:DWORD
	s_and_saveexec_b64 s[52:53], s[50:51]
	s_xor_b64 s[50:51], exec, s[52:53]
	s_cbranch_execz .LBB94_6603
; %bb.6594:
	v_mov_b32_e32 v5, 8
	v_cmp_gt_i16_sdwa s[52:53], v11, v5 src0_sel:BYTE_0 src1_sel:DWORD
	s_and_saveexec_b64 s[54:55], s[52:53]
	s_xor_b64 s[52:53], exec, s[54:55]
	;; [unrolled: 6-line block ×3, first 2 shown]
	s_cbranch_execz .LBB94_6597
; %bb.6596:
	v_mov_b32_e32 v66, 0
	v_cvt_f64_f32_e32 v[64:65], v4
	v_mov_b32_e32 v67, v66
	flat_store_dwordx4 v[2:3], v[64:67]
                                        ; implicit-def: $vgpr4
                                        ; implicit-def: $vgpr2_vgpr3
.LBB94_6597:
	s_andn2_saveexec_b64 s[54:55], s[54:55]
	s_cbranch_execz .LBB94_6599
; %bb.6598:
	v_mov_b32_e32 v5, 0
	flat_store_dwordx2 v[2:3], v[4:5]
.LBB94_6599:
	s_or_b64 exec, exec, s[54:55]
                                        ; implicit-def: $vgpr4
                                        ; implicit-def: $vgpr2_vgpr3
.LBB94_6600:
	s_andn2_saveexec_b64 s[52:53], s[52:53]
	s_cbranch_execz .LBB94_6602
; %bb.6601:
	v_cvt_f16_f32_e32 v4, v4
	flat_store_dword v[2:3], v4
.LBB94_6602:
	s_or_b64 exec, exec, s[52:53]
                                        ; implicit-def: $vgpr4
                                        ; implicit-def: $vgpr2_vgpr3
.LBB94_6603:
	s_andn2_saveexec_b64 s[50:51], s[50:51]
	s_cbranch_execz .LBB94_6613
; %bb.6604:
	v_mov_b32_e32 v5, 5
	v_cmp_gt_i16_sdwa s[52:53], v11, v5 src0_sel:BYTE_0 src1_sel:DWORD
	s_and_saveexec_b64 s[54:55], s[52:53]
	s_xor_b64 s[52:53], exec, s[54:55]
	s_cbranch_execz .LBB94_6610
; %bb.6605:
	v_mov_b32_e32 v5, 6
	v_cmp_gt_i16_sdwa s[54:55], v11, v5 src0_sel:BYTE_0 src1_sel:DWORD
	s_and_saveexec_b64 s[56:57], s[54:55]
	s_xor_b64 s[54:55], exec, s[56:57]
	s_cbranch_execz .LBB94_6607
; %bb.6606:
	v_cvt_f64_f32_e32 v[4:5], v4
	flat_store_dwordx2 v[2:3], v[4:5]
                                        ; implicit-def: $vgpr2_vgpr3
                                        ; implicit-def: $vgpr4
.LBB94_6607:
	s_andn2_saveexec_b64 s[54:55], s[54:55]
	s_cbranch_execz .LBB94_6609
; %bb.6608:
	flat_store_dword v[2:3], v4
.LBB94_6609:
	s_or_b64 exec, exec, s[54:55]
                                        ; implicit-def: $vgpr4
                                        ; implicit-def: $vgpr2_vgpr3
.LBB94_6610:
	s_andn2_saveexec_b64 s[52:53], s[52:53]
	s_cbranch_execz .LBB94_6612
; %bb.6611:
	v_cvt_f16_f32_e32 v4, v4
	flat_store_short v[2:3], v4
.LBB94_6612:
	s_or_b64 exec, exec, s[52:53]
.LBB94_6613:
	s_or_b64 exec, exec, s[50:51]
                                        ; implicit-def: $vgpr4
                                        ; implicit-def: $vgpr2_vgpr3
.LBB94_6614:
	s_andn2_saveexec_b64 s[50:51], vcc
	s_cbranch_execz .LBB94_6632
; %bb.6615:
	v_mov_b32_e32 v5, 1
	v_cmp_gt_i16_sdwa vcc, v11, v5 src0_sel:BYTE_0 src1_sel:DWORD
	s_and_saveexec_b64 s[52:53], vcc
	s_xor_b64 s[52:53], exec, s[52:53]
	s_cbranch_execz .LBB94_6625
; %bb.6616:
	v_mov_b32_e32 v5, 2
	v_cmp_gt_i16_sdwa vcc, v11, v5 src0_sel:BYTE_0 src1_sel:DWORD
	s_and_saveexec_b64 s[54:55], vcc
	s_xor_b64 s[54:55], exec, s[54:55]
	;; [unrolled: 6-line block ×3, first 2 shown]
	s_cbranch_execz .LBB94_6619
; %bb.6618:
	v_trunc_f32_e32 v4, v4
	s_mov_b32 s58, 0x2f800000
	v_mul_f32_e64 v5, |v4|, s58
	v_floor_f32_e32 v5, v5
	s_mov_b32 s58, 0xcf800000
	v_cvt_u32_f32_e32 v53, v5
	v_fma_f32 v5, v5, s58, |v4|
	v_cvt_u32_f32_e32 v5, v5
	v_ashrrev_i32_e32 v54, 31, v4
	v_xor_b32_e32 v53, v53, v54
	v_xor_b32_e32 v4, v5, v54
	v_sub_co_u32_e32 v4, vcc, v4, v54
	v_subb_co_u32_e32 v5, vcc, v53, v54, vcc
	flat_store_dwordx2 v[2:3], v[4:5]
                                        ; implicit-def: $vgpr4
                                        ; implicit-def: $vgpr2_vgpr3
.LBB94_6619:
	s_andn2_saveexec_b64 vcc, s[56:57]
	s_cbranch_execz .LBB94_6621
; %bb.6620:
	v_cvt_i32_f32_e32 v4, v4
	flat_store_dword v[2:3], v4
.LBB94_6621:
	s_or_b64 exec, exec, vcc
                                        ; implicit-def: $vgpr4
                                        ; implicit-def: $vgpr2_vgpr3
.LBB94_6622:
	s_andn2_saveexec_b64 vcc, s[54:55]
	s_cbranch_execz .LBB94_6624
; %bb.6623:
	v_cvt_i32_f32_e32 v4, v4
	flat_store_short v[2:3], v4
.LBB94_6624:
	s_or_b64 exec, exec, vcc
                                        ; implicit-def: $vgpr4
                                        ; implicit-def: $vgpr2_vgpr3
.LBB94_6625:
	s_andn2_saveexec_b64 vcc, s[52:53]
	s_cbranch_execz .LBB94_6631
; %bb.6626:
	v_mov_b32_e32 v5, 0
	v_cmp_gt_i16_sdwa s[52:53], v11, v5 src0_sel:BYTE_0 src1_sel:DWORD
	s_and_saveexec_b64 s[54:55], s[52:53]
	s_xor_b64 s[52:53], exec, s[54:55]
	s_cbranch_execz .LBB94_6628
; %bb.6627:
	v_cvt_i32_f32_e32 v4, v4
	flat_store_byte v[2:3], v4
                                        ; implicit-def: $vgpr4
                                        ; implicit-def: $vgpr2_vgpr3
.LBB94_6628:
	s_andn2_saveexec_b64 s[52:53], s[52:53]
	s_cbranch_execz .LBB94_6630
; %bb.6629:
	v_trunc_f32_e32 v4, v4
	s_mov_b32 s54, 0x2f800000
	v_mul_f32_e64 v5, |v4|, s54
	v_floor_f32_e32 v5, v5
	s_mov_b32 s54, 0xcf800000
	v_fma_f32 v5, v5, s54, |v4|
	v_cvt_u32_f32_e32 v5, v5
	v_ashrrev_i32_e32 v4, 31, v4
	v_xor_b32_e32 v5, v5, v4
	v_sub_u32_e32 v4, v5, v4
	flat_store_byte v[2:3], v4
.LBB94_6630:
	s_or_b64 exec, exec, s[52:53]
.LBB94_6631:
	s_or_b64 exec, exec, vcc
.LBB94_6632:
	s_or_b64 exec, exec, s[50:51]
	s_or_b64 s[6:7], s[6:7], exec
	s_or_b64 exec, exec, s[46:47]
	s_mov_b64 vcc, 0
	s_and_saveexec_b64 s[46:47], s[6:7]
	s_cbranch_execnz .LBB94_4000
	s_branch .LBB94_4001
.LBB94_6633:
	v_bfe_u32 v5, v4, 21, 1
	s_mov_b32 s62, 0x88fffff
	v_add3_u32 v5, v4, v5, s62
	s_mov_b64 s[60:61], exec
	v_lshrrev_b32_e32 v5, 21, v5
                                        ; implicit-def: $vgpr81
	s_or_saveexec_b64 s[62:63], s[4:5]
                                        ; implicit-def: $sgpr64
	s_xor_b64 exec, exec, s[62:63]
	s_cbranch_execz .LBB94_5920
.LBB94_6634:
	v_add_f32_e32 v5, 0x42800000, v81
	v_and_b32_e32 v5, 0xff, v5
	v_cmp_ne_u32_e64 s[4:5], 0, v5
	s_andn2_b64 s[60:61], s[60:61], exec
	s_and_b64 s[4:5], s[4:5], exec
	s_mov_b32 s64, 0
	s_or_b64 s[60:61], s[60:61], s[4:5]
	s_or_b64 exec, exec, s[62:63]
	v_mov_b32_e32 v82, s64
	s_and_saveexec_b64 s[4:5], s[60:61]
	s_cbranch_execnz .LBB94_5921
	s_branch .LBB94_5922
.LBB94_6635:
	v_bfe_u32 v5, v4, 20, 1
	s_mov_b32 s62, 0x487ffff
	v_add3_u32 v5, v4, v5, s62
	s_mov_b64 s[60:61], exec
	v_lshrrev_b32_e32 v5, 20, v5
                                        ; implicit-def: $vgpr71
	s_or_saveexec_b64 s[62:63], s[4:5]
                                        ; implicit-def: $sgpr64
	s_xor_b64 exec, exec, s[62:63]
	s_cbranch_execz .LBB94_6033
.LBB94_6636:
	v_add_f32_e32 v5, 0x46000000, v71
	v_and_b32_e32 v5, 0xff, v5
	v_cmp_ne_u32_e64 s[4:5], 0, v5
	s_andn2_b64 s[60:61], s[60:61], exec
	s_and_b64 s[4:5], s[4:5], exec
	s_mov_b32 s64, 0
	s_or_b64 s[60:61], s[60:61], s[4:5]
	s_or_b64 exec, exec, s[62:63]
	v_mov_b32_e32 v80, s64
	s_and_saveexec_b64 s[4:5], s[60:61]
	s_cbranch_execnz .LBB94_6034
	s_branch .LBB94_6035
.LBB94_6637:
	v_mov_b32_e32 v5, 25
	v_cmp_gt_i16_sdwa s[4:5], v11, v5 src0_sel:BYTE_0 src1_sel:DWORD
	s_mov_b64 s[54:55], s[46:47]
	s_and_saveexec_b64 s[56:57], s[4:5]
	s_xor_b64 s[56:57], exec, s[56:57]
	s_cbranch_execz .LBB94_6673
; %bb.6638:
	v_mov_b32_e32 v5, 28
	v_cmp_gt_i16_sdwa s[4:5], v11, v5 src0_sel:BYTE_0 src1_sel:DWORD
	s_mov_b64 s[58:59], s[46:47]
	s_and_saveexec_b64 s[54:55], s[4:5]
	s_xor_b64 s[54:55], exec, s[54:55]
	s_cbranch_execz .LBB94_6656
; %bb.6639:
	v_mov_b32_e32 v5, 43
	v_cmp_gt_i16_sdwa s[58:59], v11, v5 src0_sel:BYTE_0 src1_sel:DWORD
	s_mov_b64 s[4:5], 0
	s_mov_b64 s[6:7], s[46:47]
	s_and_saveexec_b64 s[60:61], s[58:59]
	s_xor_b64 s[58:59], exec, s[60:61]
	s_cbranch_execz .LBB94_6651
; %bb.6640:
	v_mov_b32_e32 v5, 45
	v_cmp_gt_i16_sdwa s[4:5], v11, v5 src0_sel:BYTE_0 src1_sel:DWORD
	s_mov_b64 s[60:61], 0
	s_mov_b64 s[62:63], s[46:47]
	s_and_saveexec_b64 s[6:7], s[4:5]
	s_xor_b64 s[6:7], exec, s[6:7]
	s_cbranch_execz .LBB94_6644
; %bb.6641:
	v_mov_b32_e32 v5, 46
	v_cmp_eq_u16_sdwa s[64:65], v11, v5 src0_sel:BYTE_0 src1_sel:DWORD
	s_mov_b64 s[4:5], -1
	s_and_saveexec_b64 s[62:63], s[64:65]
	s_cbranch_execz .LBB94_6643
; %bb.6642:
	v_bfe_u32 v5, v4, 16, 1
	s_movk_i32 s4, 0x7fff
	v_add3_u32 v5, v4, v5, s4
	v_lshrrev_b32_e32 v5, 16, v5
	v_mov_b32_e32 v51, 0x7fc0
	v_cmp_o_f32_e64 s[4:5], v4, v4
	v_cndmask_b32_e64 v4, v51, v5, s[4:5]
	s_mov_b64 s[60:61], exec
	flat_store_dword v[2:3], v4
	s_xor_b64 s[4:5], exec, -1
.LBB94_6643:
	s_or_b64 exec, exec, s[62:63]
	s_andn2_b64 s[62:63], s[46:47], exec
	s_and_b64 s[4:5], s[4:5], exec
	s_or_b64 s[62:63], s[62:63], s[4:5]
	s_and_b64 s[60:61], s[60:61], exec
                                        ; implicit-def: $vgpr2_vgpr3
                                        ; implicit-def: $vgpr4
.LBB94_6644:
	s_andn2_saveexec_b64 s[64:65], s[6:7]
	s_cbranch_execz .LBB94_6650
; %bb.6645:
	v_mov_b32_e32 v5, 44
	v_cmp_eq_u16_sdwa s[68:69], v11, v5 src0_sel:BYTE_0 src1_sel:DWORD
	s_mov_b64 s[6:7], -1
	s_mov_b64 s[4:5], s[60:61]
	s_and_saveexec_b64 s[66:67], s[68:69]
	s_cbranch_execz .LBB94_6649
; %bb.6646:
	v_bfe_u32 v5, v4, 23, 8
	s_movk_i32 s4, 0xff
	v_cmp_ne_u32_e64 s[4:5], s4, v5
	v_mov_b32_e32 v51, 0xff
	s_and_saveexec_b64 s[68:69], s[4:5]
; %bb.6647:
	s_mov_b32 s6, 0x3fffff
	v_lshrrev_b32_e32 v51, 23, v4
	v_and_b32_e32 v52, 0x400000, v4
	v_and_or_b32 v4, v4, s6, v5
	v_cmp_ne_u32_e64 s[4:5], 0, v52
	v_cmp_ne_u32_e64 s[6:7], 0, v4
	s_and_b64 s[4:5], s[4:5], s[6:7]
	v_cndmask_b32_e64 v4, 0, 1, s[4:5]
	v_add_u32_e32 v51, v51, v4
; %bb.6648:
	s_or_b64 exec, exec, s[68:69]
	s_xor_b64 s[6:7], exec, -1
	s_or_b64 s[4:5], s[60:61], exec
	flat_store_byte v[2:3], v51
.LBB94_6649:
	s_or_b64 exec, exec, s[66:67]
	s_andn2_b64 s[62:63], s[62:63], exec
	s_and_b64 s[6:7], s[6:7], exec
	s_or_b64 s[62:63], s[62:63], s[6:7]
	s_andn2_b64 s[6:7], s[60:61], exec
	s_and_b64 s[4:5], s[4:5], exec
	s_or_b64 s[60:61], s[6:7], s[4:5]
.LBB94_6650:
	s_or_b64 exec, exec, s[64:65]
	s_andn2_b64 s[4:5], s[46:47], exec
	s_and_b64 s[6:7], s[62:63], exec
	s_or_b64 s[6:7], s[4:5], s[6:7]
	s_and_b64 s[4:5], s[60:61], exec
                                        ; implicit-def: $vgpr4
                                        ; implicit-def: $vgpr2_vgpr3
.LBB94_6651:
	s_andn2_saveexec_b64 s[58:59], s[58:59]
	s_cbranch_execz .LBB94_6655
; %bb.6652:
	v_mov_b32_e32 v5, 29
	v_cmp_eq_u16_sdwa s[66:67], v11, v5 src0_sel:BYTE_0 src1_sel:DWORD
	s_mov_b64 s[64:65], -1
	s_mov_b64 s[62:63], s[4:5]
	s_and_saveexec_b64 s[60:61], s[66:67]
	s_cbranch_execz .LBB94_6654
; %bb.6653:
	v_trunc_f32_e32 v4, v4
	v_mul_f32_e32 v5, 0x2f800000, v4
	v_floor_f32_e32 v51, v5
	v_fmac_f32_e32 v4, 0xcf800000, v51
	v_cvt_u32_f32_e32 v5, v51
	v_cvt_u32_f32_e32 v4, v4
	s_xor_b64 s[64:65], exec, -1
	s_or_b64 s[62:63], s[4:5], exec
	flat_store_dwordx2 v[2:3], v[4:5]
.LBB94_6654:
	s_or_b64 exec, exec, s[60:61]
	s_andn2_b64 s[6:7], s[6:7], exec
	s_and_b64 s[60:61], s[64:65], exec
	s_or_b64 s[6:7], s[6:7], s[60:61]
	s_andn2_b64 s[4:5], s[4:5], exec
	s_and_b64 s[60:61], s[62:63], exec
	s_or_b64 s[4:5], s[4:5], s[60:61]
.LBB94_6655:
	s_or_b64 exec, exec, s[58:59]
	s_andn2_b64 s[58:59], s[46:47], exec
	s_and_b64 s[6:7], s[6:7], exec
	s_or_b64 s[58:59], s[58:59], s[6:7]
	s_and_b64 s[6:7], s[4:5], exec
                                        ; implicit-def: $vgpr2_vgpr3
                                        ; implicit-def: $vgpr51
                                        ; implicit-def: $vgpr4
.LBB94_6656:
	s_andn2_saveexec_b64 s[54:55], s[54:55]
	s_cbranch_execz .LBB94_6672
; %bb.6657:
	v_mov_b32_e32 v5, 26
	v_cmp_gt_i16_sdwa s[4:5], v11, v5 src0_sel:BYTE_0 src1_sel:DWORD
	s_and_saveexec_b64 s[60:61], s[4:5]
	s_xor_b64 s[4:5], exec, s[60:61]
	s_cbranch_execz .LBB94_6663
; %bb.6658:
	v_cvt_u32_f32_e32 v4, v4
	v_mov_b32_e32 v5, 27
	v_cmp_gt_i16_sdwa s[60:61], v11, v5 src0_sel:BYTE_0 src1_sel:DWORD
	s_and_saveexec_b64 s[62:63], s[60:61]
	s_xor_b64 s[60:61], exec, s[62:63]
	s_cbranch_execz .LBB94_6660
; %bb.6659:
	flat_store_dword v[2:3], v4
                                        ; implicit-def: $vgpr2_vgpr3
                                        ; implicit-def: $vgpr4
.LBB94_6660:
	s_andn2_saveexec_b64 s[60:61], s[60:61]
	s_cbranch_execz .LBB94_6662
; %bb.6661:
	flat_store_short v[2:3], v4
.LBB94_6662:
	s_or_b64 exec, exec, s[60:61]
                                        ; implicit-def: $vgpr2_vgpr3
                                        ; implicit-def: $vgpr51
                                        ; implicit-def: $vgpr4
.LBB94_6663:
	s_andn2_saveexec_b64 s[60:61], s[4:5]
	s_cbranch_execz .LBB94_6671
; %bb.6664:
	v_cndmask_b32_e64 v51, |v0|, |v51|, vcc
	s_mov_b32 s4, 0x43800000
	v_cmp_gt_u32_e64 s[4:5], s4, v51
	v_mov_b32_e32 v52, 0x80
	s_and_saveexec_b64 s[62:63], s[4:5]
	s_cbranch_execz .LBB94_6670
; %bb.6665:
	s_mov_b32 s4, 0x3bffffff
	v_cmp_lt_u32_e64 s[4:5], s4, v51
	s_mov_b64 s[64:65], 0
                                        ; implicit-def: $vgpr5
	s_and_saveexec_b64 s[66:67], s[4:5]
	s_xor_b64 s[4:5], exec, s[66:67]
	s_cbranch_execnz .LBB94_7391
; %bb.6666:
	s_or_saveexec_b64 s[66:67], s[4:5]
                                        ; implicit-def: $sgpr68
	s_xor_b64 exec, exec, s[66:67]
	s_cbranch_execnz .LBB94_7392
.LBB94_6667:
	s_or_b64 exec, exec, s[66:67]
	v_mov_b32_e32 v52, s68
	s_and_saveexec_b64 s[4:5], s[64:65]
.LBB94_6668:
	v_lshrrev_b32_e32 v4, 24, v4
	s_movk_i32 s64, 0x80
	v_and_or_b32 v52, v4, s64, v5
.LBB94_6669:
	s_or_b64 exec, exec, s[4:5]
.LBB94_6670:
	s_or_b64 exec, exec, s[62:63]
	flat_store_byte v[2:3], v52
.LBB94_6671:
	s_or_b64 exec, exec, s[60:61]
	s_or_b64 s[6:7], s[6:7], exec
.LBB94_6672:
	s_or_b64 exec, exec, s[54:55]
	s_andn2_b64 s[4:5], s[46:47], exec
	s_and_b64 s[54:55], s[58:59], exec
	s_or_b64 s[54:55], s[4:5], s[54:55]
	s_and_b64 s[6:7], s[6:7], exec
                                        ; implicit-def: $vgpr4
                                        ; implicit-def: $vgpr2_vgpr3
                                        ; implicit-def: $vgpr51
.LBB94_6673:
	s_andn2_saveexec_b64 s[56:57], s[56:57]
	s_cbranch_execz .LBB94_6717
; %bb.6674:
	v_mov_b32_e32 v5, 22
	v_cmp_gt_i16_sdwa s[58:59], v11, v5 src0_sel:BYTE_0 src1_sel:DWORD
	s_mov_b64 s[4:5], s[6:7]
	s_and_saveexec_b64 s[60:61], s[58:59]
	s_xor_b64 s[58:59], exec, s[60:61]
	s_cbranch_execz .LBB94_6706
; %bb.6675:
	v_mov_b32_e32 v5, 23
	v_cmp_gt_i16_sdwa s[4:5], v11, v5 src0_sel:BYTE_0 src1_sel:DWORD
	s_and_saveexec_b64 s[60:61], s[4:5]
	s_xor_b64 s[60:61], exec, s[60:61]
	s_cbranch_execz .LBB94_6695
; %bb.6676:
	v_mov_b32_e32 v5, 24
	v_cmp_gt_i16_sdwa s[4:5], v11, v5 src0_sel:BYTE_0 src1_sel:DWORD
	s_and_saveexec_b64 s[62:63], s[4:5]
	s_xor_b64 s[62:63], exec, s[62:63]
	s_cbranch_execz .LBB94_6684
; %bb.6677:
	v_cndmask_b32_e64 v51, |v0|, |v51|, vcc
	s_mov_b32 s4, 0x47800000
	v_cmp_gt_u32_e64 s[4:5], s4, v51
	v_mov_b32_e32 v52, 0x80
	s_and_saveexec_b64 s[64:65], s[4:5]
	s_cbranch_execz .LBB94_6683
; %bb.6678:
	s_mov_b32 s4, 0x37ffffff
	v_cmp_lt_u32_e64 s[4:5], s4, v51
	s_mov_b64 s[66:67], 0
                                        ; implicit-def: $vgpr5
	s_and_saveexec_b64 s[68:69], s[4:5]
	s_xor_b64 s[4:5], exec, s[68:69]
	s_cbranch_execnz .LBB94_7515
; %bb.6679:
	s_or_saveexec_b64 s[68:69], s[4:5]
                                        ; implicit-def: $sgpr70
	s_xor_b64 exec, exec, s[68:69]
	s_cbranch_execnz .LBB94_7516
.LBB94_6680:
	s_or_b64 exec, exec, s[68:69]
	v_mov_b32_e32 v52, s70
	s_and_saveexec_b64 s[4:5], s[66:67]
.LBB94_6681:
	v_lshrrev_b32_e32 v4, 24, v4
	s_movk_i32 s66, 0x80
	v_and_or_b32 v52, v4, s66, v5
.LBB94_6682:
	s_or_b64 exec, exec, s[4:5]
.LBB94_6683:
	s_or_b64 exec, exec, s[64:65]
	flat_store_byte v[2:3], v52
                                        ; implicit-def: $vgpr4
                                        ; implicit-def: $vgpr2_vgpr3
                                        ; implicit-def: $vgpr51
.LBB94_6684:
	s_andn2_saveexec_b64 s[62:63], s[62:63]
	s_cbranch_execz .LBB94_6694
; %bb.6685:
	v_cndmask_b32_e64 v51, |v0|, |v51|, vcc
	s_mov_b32 s4, 0x43f00000
	v_cmp_gt_u32_e64 s[4:5], s4, v51
                                        ; implicit-def: $vgpr5
	s_and_saveexec_b64 s[64:65], s[4:5]
	s_xor_b64 s[64:65], exec, s[64:65]
	s_cbranch_execz .LBB94_6691
; %bb.6686:
	s_mov_b32 s4, 0x3c7fffff
	v_cmp_lt_u32_e64 s[4:5], s4, v51
                                        ; implicit-def: $vgpr5
	s_and_saveexec_b64 s[66:67], s[4:5]
	s_xor_b64 s[66:67], exec, s[66:67]
; %bb.6687:
	v_bfe_u32 v5, v4, 20, 1
	s_mov_b32 s4, 0x407ffff
	v_add3_u32 v5, v4, v5, s4
	v_lshrrev_b32_e32 v51, 20, v5
	v_and_b32_e32 v5, 0xff00000, v5
	s_mov_b32 s4, 0x7f00000
	v_mov_b32_e32 v52, 0x7e
	v_cmp_ne_u32_e64 s[4:5], s4, v5
	v_cndmask_b32_e64 v5, v52, v51, s[4:5]
                                        ; implicit-def: $vgpr51
; %bb.6688:
	s_andn2_saveexec_b64 s[4:5], s[66:67]
; %bb.6689:
	v_add_f32_e32 v5, 0x46800000, v51
; %bb.6690:
	s_or_b64 exec, exec, s[4:5]
                                        ; implicit-def: $vgpr51
.LBB94_6691:
	s_andn2_saveexec_b64 s[64:65], s[64:65]
; %bb.6692:
	s_mov_b32 s4, 0x7f800000
	v_mov_b32_e32 v5, 0x7e
	v_mov_b32_e32 v52, 0x7f
	v_cmp_lt_u32_e64 s[4:5], s4, v51
	v_cndmask_b32_e64 v5, v5, v52, s[4:5]
; %bb.6693:
	s_or_b64 exec, exec, s[64:65]
	v_lshrrev_b32_e32 v4, 24, v4
	s_movk_i32 s4, 0x80
	v_and_or_b32 v4, v4, s4, v5
	flat_store_byte v[2:3], v4
.LBB94_6694:
	s_or_b64 exec, exec, s[62:63]
                                        ; implicit-def: $vgpr4
                                        ; implicit-def: $vgpr2_vgpr3
                                        ; implicit-def: $vgpr51
.LBB94_6695:
	s_andn2_saveexec_b64 s[4:5], s[60:61]
	s_cbranch_execz .LBB94_6705
; %bb.6696:
	v_cndmask_b32_e64 v51, |v0|, |v51|, vcc
	s_mov_b32 vcc_lo, 0x47800000
	v_cmp_gt_u32_e32 vcc, vcc_lo, v51
                                        ; implicit-def: $vgpr5
	s_and_saveexec_b64 s[60:61], vcc
	s_xor_b64 s[60:61], exec, s[60:61]
	s_cbranch_execz .LBB94_6702
; %bb.6697:
	s_mov_b32 vcc_lo, 0x387fffff
	v_cmp_lt_u32_e32 vcc, vcc_lo, v51
                                        ; implicit-def: $vgpr5
	s_and_saveexec_b64 s[62:63], vcc
	s_xor_b64 vcc, exec, s[62:63]
; %bb.6698:
	v_bfe_u32 v5, v4, 21, 1
	s_mov_b32 s62, 0x80fffff
	v_add3_u32 v5, v4, v5, s62
	v_lshrrev_b32_e32 v5, 21, v5
                                        ; implicit-def: $vgpr51
; %bb.6699:
	s_andn2_saveexec_b64 vcc, vcc
; %bb.6700:
	v_add_f32_e32 v5, 0x43000000, v51
; %bb.6701:
	s_or_b64 exec, exec, vcc
                                        ; implicit-def: $vgpr51
.LBB94_6702:
	s_andn2_saveexec_b64 s[60:61], s[60:61]
; %bb.6703:
	s_mov_b32 vcc_lo, 0x7f800000
	v_mov_b32_e32 v5, 0x7c
	v_mov_b32_e32 v52, 0x7f
	v_cmp_lt_u32_e32 vcc, vcc_lo, v51
	v_cndmask_b32_e32 v5, v5, v52, vcc
; %bb.6704:
	s_or_b64 exec, exec, s[60:61]
	v_lshrrev_b32_e32 v4, 24, v4
	s_movk_i32 vcc_lo, 0x80
	v_and_or_b32 v4, v4, vcc_lo, v5
	flat_store_byte v[2:3], v4
.LBB94_6705:
	s_or_b64 exec, exec, s[4:5]
	s_or_b64 s[4:5], s[6:7], exec
                                        ; implicit-def: $vgpr4
                                        ; implicit-def: $vgpr2_vgpr3
.LBB94_6706:
	s_or_saveexec_b64 s[58:59], s[58:59]
	s_mov_b64 vcc, s[54:55]
	s_xor_b64 exec, exec, s[58:59]
	s_cbranch_execz .LBB94_6716
; %bb.6707:
	v_mov_b32_e32 v5, 14
	v_cmp_gt_i16_sdwa vcc, v11, v5 src0_sel:BYTE_0 src1_sel:DWORD
	s_mov_b64 s[60:61], s[4:5]
	s_mov_b64 s[62:63], s[54:55]
	s_and_saveexec_b64 s[64:65], vcc
	s_xor_b64 s[64:65], exec, s[64:65]
	s_cbranch_execz .LBB94_6711
; %bb.6708:
	v_mov_b32_e32 v5, 15
	v_cmp_eq_u16_sdwa s[66:67], v11, v5 src0_sel:BYTE_0 src1_sel:DWORD
	s_mov_b64 s[62:63], -1
	s_mov_b64 vcc, s[4:5]
	s_and_saveexec_b64 s[60:61], s[66:67]
	s_cbranch_execz .LBB94_6710
; %bb.6709:
	v_bfe_u32 v5, v4, 16, 1
	s_movk_i32 vcc_lo, 0x7fff
	v_add3_u32 v5, v4, v5, vcc_lo
	v_lshrrev_b32_e32 v5, 16, v5
	v_mov_b32_e32 v51, 0x7fc0
	v_cmp_o_f32_e32 vcc, v4, v4
	v_cndmask_b32_e32 v4, v51, v5, vcc
	flat_store_short v[2:3], v4
	s_xor_b64 s[62:63], exec, -1
	s_or_b64 vcc, s[4:5], exec
.LBB94_6710:
	s_or_b64 exec, exec, s[60:61]
	s_andn2_b64 s[60:61], s[54:55], exec
	s_and_b64 s[62:63], s[62:63], exec
	s_or_b64 s[62:63], s[60:61], s[62:63]
	s_andn2_b64 s[60:61], s[4:5], exec
	s_and_b64 vcc, vcc, exec
	s_or_b64 s[60:61], s[60:61], vcc
                                        ; implicit-def: $vgpr4
                                        ; implicit-def: $vgpr2_vgpr3
.LBB94_6711:
	s_andn2_saveexec_b64 s[64:65], s[64:65]
	s_cbranch_execz .LBB94_6715
; %bb.6712:
	v_mov_b32_e32 v5, 11
	v_cmp_eq_u16_sdwa s[70:71], v11, v5 src0_sel:BYTE_0 src1_sel:DWORD
	s_mov_b64 s[66:67], -1
	s_mov_b64 vcc, s[60:61]
	s_and_saveexec_b64 s[68:69], s[70:71]
	s_cbranch_execz .LBB94_6714
; %bb.6713:
	v_cmp_neq_f32_e32 vcc, 0, v4
	v_cndmask_b32_e64 v4, 0, 1, vcc
	flat_store_byte v[2:3], v4
	s_xor_b64 s[66:67], exec, -1
	s_or_b64 vcc, s[60:61], exec
.LBB94_6714:
	s_or_b64 exec, exec, s[68:69]
	s_andn2_b64 s[62:63], s[62:63], exec
	s_and_b64 s[66:67], s[66:67], exec
	s_andn2_b64 s[60:61], s[60:61], exec
	s_and_b64 vcc, vcc, exec
	s_or_b64 s[62:63], s[62:63], s[66:67]
	s_or_b64 s[60:61], s[60:61], vcc
.LBB94_6715:
	s_or_b64 exec, exec, s[64:65]
	s_andn2_b64 vcc, s[54:55], exec
	s_and_b64 s[62:63], s[62:63], exec
	s_andn2_b64 s[4:5], s[4:5], exec
	s_and_b64 s[60:61], s[60:61], exec
	s_or_b64 vcc, vcc, s[62:63]
	s_or_b64 s[4:5], s[4:5], s[60:61]
.LBB94_6716:
	s_or_b64 exec, exec, s[58:59]
	s_andn2_b64 s[54:55], s[54:55], exec
	s_and_b64 vcc, vcc, exec
	s_andn2_b64 s[6:7], s[6:7], exec
	s_and_b64 s[4:5], s[4:5], exec
	s_or_b64 s[54:55], s[54:55], vcc
	s_or_b64 s[6:7], s[6:7], s[4:5]
.LBB94_6717:
	s_or_b64 exec, exec, s[56:57]
	s_andn2_b64 s[4:5], s[46:47], exec
	s_and_b64 vcc, s[54:55], exec
	s_or_b64 s[4:5], s[4:5], vcc
	s_and_b64 s[6:7], s[6:7], exec
                                        ; implicit-def: $vgpr4
                                        ; implicit-def: $vgpr2_vgpr3
	s_andn2_saveexec_b64 s[50:51], s[50:51]
	s_cbranch_execz .LBB94_4006
.LBB94_6718:
	v_mov_b32_e32 v5, 4
	v_cmp_gt_i16_sdwa vcc, v11, v5 src0_sel:BYTE_0 src1_sel:DWORD
	s_and_saveexec_b64 s[54:55], vcc
	s_xor_b64 vcc, exec, s[54:55]
	s_cbranch_execz .LBB94_6740
; %bb.6719:
	v_mov_b32_e32 v5, 7
	v_cmp_gt_i16_sdwa s[54:55], v11, v5 src0_sel:BYTE_0 src1_sel:DWORD
	s_and_saveexec_b64 s[56:57], s[54:55]
	s_xor_b64 s[54:55], exec, s[56:57]
	s_cbranch_execz .LBB94_6729
; %bb.6720:
	v_mov_b32_e32 v5, 8
	v_cmp_gt_i16_sdwa s[56:57], v11, v5 src0_sel:BYTE_0 src1_sel:DWORD
	s_and_saveexec_b64 s[58:59], s[56:57]
	s_xor_b64 s[56:57], exec, s[58:59]
	;; [unrolled: 6-line block ×3, first 2 shown]
	s_cbranch_execz .LBB94_6723
; %bb.6722:
	v_mov_b32_e32 v54, 0
	v_cvt_f64_f32_e32 v[52:53], v4
	v_mov_b32_e32 v55, v54
	flat_store_dwordx4 v[2:3], v[52:55]
                                        ; implicit-def: $vgpr4
                                        ; implicit-def: $vgpr2_vgpr3
.LBB94_6723:
	s_andn2_saveexec_b64 s[58:59], s[58:59]
	s_cbranch_execz .LBB94_6725
; %bb.6724:
	v_mov_b32_e32 v5, 0
	flat_store_dwordx2 v[2:3], v[4:5]
.LBB94_6725:
	s_or_b64 exec, exec, s[58:59]
                                        ; implicit-def: $vgpr4
                                        ; implicit-def: $vgpr2_vgpr3
.LBB94_6726:
	s_andn2_saveexec_b64 s[56:57], s[56:57]
	s_cbranch_execz .LBB94_6728
; %bb.6727:
	v_cvt_f16_f32_e32 v4, v4
	flat_store_dword v[2:3], v4
.LBB94_6728:
	s_or_b64 exec, exec, s[56:57]
                                        ; implicit-def: $vgpr4
                                        ; implicit-def: $vgpr2_vgpr3
.LBB94_6729:
	s_andn2_saveexec_b64 s[54:55], s[54:55]
	s_cbranch_execz .LBB94_6739
; %bb.6730:
	v_mov_b32_e32 v5, 5
	v_cmp_gt_i16_sdwa s[56:57], v11, v5 src0_sel:BYTE_0 src1_sel:DWORD
	s_and_saveexec_b64 s[58:59], s[56:57]
	s_xor_b64 s[56:57], exec, s[58:59]
	s_cbranch_execz .LBB94_6736
; %bb.6731:
	v_mov_b32_e32 v5, 6
	v_cmp_gt_i16_sdwa s[58:59], v11, v5 src0_sel:BYTE_0 src1_sel:DWORD
	s_and_saveexec_b64 s[60:61], s[58:59]
	s_xor_b64 s[58:59], exec, s[60:61]
	s_cbranch_execz .LBB94_6733
; %bb.6732:
	v_cvt_f64_f32_e32 v[4:5], v4
	flat_store_dwordx2 v[2:3], v[4:5]
                                        ; implicit-def: $vgpr2_vgpr3
                                        ; implicit-def: $vgpr4
.LBB94_6733:
	s_andn2_saveexec_b64 s[58:59], s[58:59]
	s_cbranch_execz .LBB94_6735
; %bb.6734:
	flat_store_dword v[2:3], v4
.LBB94_6735:
	s_or_b64 exec, exec, s[58:59]
                                        ; implicit-def: $vgpr4
                                        ; implicit-def: $vgpr2_vgpr3
.LBB94_6736:
	s_andn2_saveexec_b64 s[56:57], s[56:57]
	s_cbranch_execz .LBB94_6738
; %bb.6737:
	v_cvt_f16_f32_e32 v4, v4
	flat_store_short v[2:3], v4
.LBB94_6738:
	s_or_b64 exec, exec, s[56:57]
.LBB94_6739:
	s_or_b64 exec, exec, s[54:55]
                                        ; implicit-def: $vgpr4
                                        ; implicit-def: $vgpr2_vgpr3
.LBB94_6740:
	s_andn2_saveexec_b64 s[54:55], vcc
	s_cbranch_execz .LBB94_6758
; %bb.6741:
	v_mov_b32_e32 v5, 1
	v_cmp_gt_i16_sdwa vcc, v11, v5 src0_sel:BYTE_0 src1_sel:DWORD
	s_and_saveexec_b64 s[56:57], vcc
	s_xor_b64 s[56:57], exec, s[56:57]
	s_cbranch_execz .LBB94_6751
; %bb.6742:
	v_mov_b32_e32 v5, 2
	v_cmp_gt_i16_sdwa vcc, v11, v5 src0_sel:BYTE_0 src1_sel:DWORD
	s_and_saveexec_b64 s[58:59], vcc
	s_xor_b64 s[58:59], exec, s[58:59]
	;; [unrolled: 6-line block ×3, first 2 shown]
	s_cbranch_execz .LBB94_6745
; %bb.6744:
	v_trunc_f32_e32 v4, v4
	s_mov_b32 s62, 0x2f800000
	v_mul_f32_e64 v5, |v4|, s62
	v_floor_f32_e32 v5, v5
	s_mov_b32 s62, 0xcf800000
	v_cvt_u32_f32_e32 v51, v5
	v_fma_f32 v5, v5, s62, |v4|
	v_cvt_u32_f32_e32 v5, v5
	v_ashrrev_i32_e32 v52, 31, v4
	v_xor_b32_e32 v51, v51, v52
	v_xor_b32_e32 v4, v5, v52
	v_sub_co_u32_e32 v4, vcc, v4, v52
	v_subb_co_u32_e32 v5, vcc, v51, v52, vcc
	flat_store_dwordx2 v[2:3], v[4:5]
                                        ; implicit-def: $vgpr4
                                        ; implicit-def: $vgpr2_vgpr3
.LBB94_6745:
	s_andn2_saveexec_b64 vcc, s[60:61]
	s_cbranch_execz .LBB94_6747
; %bb.6746:
	v_cvt_i32_f32_e32 v4, v4
	flat_store_dword v[2:3], v4
.LBB94_6747:
	s_or_b64 exec, exec, vcc
                                        ; implicit-def: $vgpr4
                                        ; implicit-def: $vgpr2_vgpr3
.LBB94_6748:
	s_andn2_saveexec_b64 vcc, s[58:59]
	s_cbranch_execz .LBB94_6750
; %bb.6749:
	v_cvt_i32_f32_e32 v4, v4
	flat_store_short v[2:3], v4
.LBB94_6750:
	s_or_b64 exec, exec, vcc
                                        ; implicit-def: $vgpr4
                                        ; implicit-def: $vgpr2_vgpr3
.LBB94_6751:
	s_andn2_saveexec_b64 vcc, s[56:57]
	s_cbranch_execz .LBB94_6757
; %bb.6752:
	v_mov_b32_e32 v5, 0
	v_cmp_gt_i16_sdwa s[56:57], v11, v5 src0_sel:BYTE_0 src1_sel:DWORD
	s_and_saveexec_b64 s[58:59], s[56:57]
	s_xor_b64 s[56:57], exec, s[58:59]
	s_cbranch_execz .LBB94_6754
; %bb.6753:
	v_cvt_i32_f32_e32 v4, v4
	flat_store_byte v[2:3], v4
                                        ; implicit-def: $vgpr4
                                        ; implicit-def: $vgpr2_vgpr3
.LBB94_6754:
	s_andn2_saveexec_b64 s[56:57], s[56:57]
	s_cbranch_execz .LBB94_6756
; %bb.6755:
	v_trunc_f32_e32 v4, v4
	s_mov_b32 s58, 0x2f800000
	v_mul_f32_e64 v5, |v4|, s58
	v_floor_f32_e32 v5, v5
	s_mov_b32 s58, 0xcf800000
	v_fma_f32 v5, v5, s58, |v4|
	v_cvt_u32_f32_e32 v5, v5
	v_ashrrev_i32_e32 v4, 31, v4
	v_xor_b32_e32 v5, v5, v4
	v_sub_u32_e32 v4, v5, v4
	flat_store_byte v[2:3], v4
.LBB94_6756:
	s_or_b64 exec, exec, s[56:57]
.LBB94_6757:
	s_or_b64 exec, exec, vcc
.LBB94_6758:
	s_or_b64 exec, exec, s[54:55]
	s_or_b64 s[6:7], s[6:7], exec
	s_or_b64 exec, exec, s[50:51]
	s_mov_b64 vcc, 0
	s_and_saveexec_b64 s[50:51], s[6:7]
	s_cbranch_execnz .LBB94_4007
	s_branch .LBB94_4008
.LBB94_6759:
	v_bfe_u32 v5, v4, 21, 1
	s_mov_b32 s64, 0x88fffff
	v_add3_u32 v5, v4, v5, s64
	s_mov_b64 s[62:63], exec
	v_lshrrev_b32_e32 v5, 21, v5
                                        ; implicit-def: $vgpr71
	s_or_saveexec_b64 s[64:65], s[4:5]
                                        ; implicit-def: $sgpr66
	s_xor_b64 exec, exec, s[64:65]
	s_cbranch_execz .LBB94_6046
.LBB94_6760:
	v_add_f32_e32 v5, 0x42800000, v71
	v_and_b32_e32 v5, 0xff, v5
	v_cmp_ne_u32_e64 s[4:5], 0, v5
	s_andn2_b64 s[62:63], s[62:63], exec
	s_and_b64 s[4:5], s[4:5], exec
	s_mov_b32 s66, 0
	s_or_b64 s[62:63], s[62:63], s[4:5]
	s_or_b64 exec, exec, s[64:65]
	v_mov_b32_e32 v80, s66
	s_and_saveexec_b64 s[4:5], s[62:63]
	s_cbranch_execnz .LBB94_6047
	s_branch .LBB94_6048
.LBB94_6761:
	v_bfe_u32 v5, v4, 20, 1
	s_mov_b32 s62, 0x487ffff
	v_add3_u32 v5, v4, v5, s62
	s_mov_b64 s[60:61], exec
	v_lshrrev_b32_e32 v5, 20, v5
                                        ; implicit-def: $vgpr69
	s_or_saveexec_b64 s[62:63], s[4:5]
                                        ; implicit-def: $sgpr64
	s_xor_b64 exec, exec, s[62:63]
	s_cbranch_execz .LBB94_6159
.LBB94_6762:
	v_add_f32_e32 v5, 0x46000000, v69
	v_and_b32_e32 v5, 0xff, v5
	v_cmp_ne_u32_e64 s[4:5], 0, v5
	s_andn2_b64 s[60:61], s[60:61], exec
	s_and_b64 s[4:5], s[4:5], exec
	s_mov_b32 s64, 0
	s_or_b64 s[60:61], s[60:61], s[4:5]
	s_or_b64 exec, exec, s[62:63]
	v_mov_b32_e32 v70, s64
	s_and_saveexec_b64 s[4:5], s[60:61]
	s_cbranch_execnz .LBB94_6160
	s_branch .LBB94_6161
.LBB94_6763:
	v_bfe_u32 v5, v4, 20, 1
	s_mov_b32 s62, 0x487ffff
	v_add3_u32 v5, v4, v5, s62
	s_mov_b64 s[60:61], exec
	v_lshrrev_b32_e32 v5, 20, v5
                                        ; implicit-def: $vgpr67
	s_or_saveexec_b64 s[62:63], s[4:5]
                                        ; implicit-def: $sgpr64
	s_xor_b64 exec, exec, s[62:63]
	s_cbranch_execz .LBB94_3885
.LBB94_6764:
	v_add_f32_e32 v5, 0x46000000, v67
	v_and_b32_e32 v5, 0xff, v5
	v_cmp_ne_u32_e64 s[4:5], 0, v5
	s_andn2_b64 s[60:61], s[60:61], exec
	s_and_b64 s[4:5], s[4:5], exec
	s_mov_b32 s64, 0
	s_or_b64 s[60:61], s[60:61], s[4:5]
	s_or_b64 exec, exec, s[62:63]
	v_mov_b32_e32 v68, s64
	s_and_saveexec_b64 s[4:5], s[60:61]
	s_cbranch_execnz .LBB94_3886
	s_branch .LBB94_3887
.LBB94_6765:
	v_mov_b32_e32 v5, 25
	v_cmp_gt_i16_sdwa s[4:5], v11, v5 src0_sel:BYTE_0 src1_sel:DWORD
	s_mov_b64 s[58:59], s[50:51]
	s_and_saveexec_b64 s[60:61], s[4:5]
	s_xor_b64 s[60:61], exec, s[60:61]
	s_cbranch_execz .LBB94_6801
; %bb.6766:
	v_mov_b32_e32 v5, 28
	v_cmp_gt_i16_sdwa s[4:5], v11, v5 src0_sel:BYTE_0 src1_sel:DWORD
	s_mov_b64 s[62:63], s[50:51]
	s_and_saveexec_b64 s[58:59], s[4:5]
	s_xor_b64 s[58:59], exec, s[58:59]
	s_cbranch_execz .LBB94_6784
; %bb.6767:
	v_mov_b32_e32 v5, 43
	v_cmp_gt_i16_sdwa s[62:63], v11, v5 src0_sel:BYTE_0 src1_sel:DWORD
	s_mov_b64 s[4:5], 0
	s_mov_b64 s[6:7], s[50:51]
	s_and_saveexec_b64 s[64:65], s[62:63]
	s_xor_b64 s[62:63], exec, s[64:65]
	s_cbranch_execz .LBB94_6779
; %bb.6768:
	v_mov_b32_e32 v5, 45
	v_cmp_gt_i16_sdwa s[4:5], v11, v5 src0_sel:BYTE_0 src1_sel:DWORD
	s_mov_b64 s[64:65], 0
	s_mov_b64 s[66:67], s[50:51]
	s_and_saveexec_b64 s[6:7], s[4:5]
	s_xor_b64 s[6:7], exec, s[6:7]
	s_cbranch_execz .LBB94_6772
; %bb.6769:
	v_mov_b32_e32 v5, 46
	v_cmp_eq_u16_sdwa s[68:69], v11, v5 src0_sel:BYTE_0 src1_sel:DWORD
	s_mov_b64 s[4:5], -1
	s_and_saveexec_b64 s[66:67], s[68:69]
	s_cbranch_execz .LBB94_6771
; %bb.6770:
	v_bfe_u32 v5, v4, 16, 1
	s_movk_i32 s4, 0x7fff
	v_add3_u32 v5, v4, v5, s4
	v_lshrrev_b32_e32 v5, 16, v5
	v_mov_b32_e32 v49, 0x7fc0
	v_cmp_o_f32_e64 s[4:5], v4, v4
	v_cndmask_b32_e64 v4, v49, v5, s[4:5]
	s_mov_b64 s[64:65], exec
	flat_store_dword v[2:3], v4
	s_xor_b64 s[4:5], exec, -1
.LBB94_6771:
	s_or_b64 exec, exec, s[66:67]
	s_andn2_b64 s[66:67], s[50:51], exec
	s_and_b64 s[4:5], s[4:5], exec
	s_or_b64 s[66:67], s[66:67], s[4:5]
	s_and_b64 s[64:65], s[64:65], exec
                                        ; implicit-def: $vgpr2_vgpr3
                                        ; implicit-def: $vgpr4
.LBB94_6772:
	s_andn2_saveexec_b64 s[68:69], s[6:7]
	s_cbranch_execz .LBB94_6778
; %bb.6773:
	v_mov_b32_e32 v5, 44
	v_cmp_eq_u16_sdwa s[72:73], v11, v5 src0_sel:BYTE_0 src1_sel:DWORD
	s_mov_b64 s[6:7], -1
	s_mov_b64 s[4:5], s[64:65]
	s_and_saveexec_b64 s[70:71], s[72:73]
	s_cbranch_execz .LBB94_6777
; %bb.6774:
	v_bfe_u32 v5, v4, 23, 8
	s_movk_i32 s4, 0xff
	v_cmp_ne_u32_e64 s[4:5], s4, v5
	v_mov_b32_e32 v49, 0xff
	s_and_saveexec_b64 s[72:73], s[4:5]
; %bb.6775:
	s_mov_b32 s6, 0x3fffff
	v_lshrrev_b32_e32 v49, 23, v4
	v_and_b32_e32 v50, 0x400000, v4
	v_and_or_b32 v4, v4, s6, v5
	v_cmp_ne_u32_e64 s[4:5], 0, v50
	v_cmp_ne_u32_e64 s[6:7], 0, v4
	s_and_b64 s[4:5], s[4:5], s[6:7]
	v_cndmask_b32_e64 v4, 0, 1, s[4:5]
	v_add_u32_e32 v49, v49, v4
; %bb.6776:
	s_or_b64 exec, exec, s[72:73]
	s_xor_b64 s[6:7], exec, -1
	s_or_b64 s[4:5], s[64:65], exec
	flat_store_byte v[2:3], v49
.LBB94_6777:
	s_or_b64 exec, exec, s[70:71]
	s_andn2_b64 s[66:67], s[66:67], exec
	s_and_b64 s[6:7], s[6:7], exec
	s_or_b64 s[66:67], s[66:67], s[6:7]
	s_andn2_b64 s[6:7], s[64:65], exec
	s_and_b64 s[4:5], s[4:5], exec
	s_or_b64 s[64:65], s[6:7], s[4:5]
.LBB94_6778:
	s_or_b64 exec, exec, s[68:69]
	s_andn2_b64 s[4:5], s[50:51], exec
	s_and_b64 s[6:7], s[66:67], exec
	s_or_b64 s[6:7], s[4:5], s[6:7]
	s_and_b64 s[4:5], s[64:65], exec
                                        ; implicit-def: $vgpr4
                                        ; implicit-def: $vgpr2_vgpr3
.LBB94_6779:
	s_andn2_saveexec_b64 s[62:63], s[62:63]
	s_cbranch_execz .LBB94_6783
; %bb.6780:
	v_mov_b32_e32 v5, 29
	v_cmp_eq_u16_sdwa s[70:71], v11, v5 src0_sel:BYTE_0 src1_sel:DWORD
	s_mov_b64 s[68:69], -1
	s_mov_b64 s[66:67], s[4:5]
	s_and_saveexec_b64 s[64:65], s[70:71]
	s_cbranch_execz .LBB94_6782
; %bb.6781:
	v_trunc_f32_e32 v4, v4
	v_mul_f32_e32 v5, 0x2f800000, v4
	v_floor_f32_e32 v49, v5
	v_fmac_f32_e32 v4, 0xcf800000, v49
	v_cvt_u32_f32_e32 v5, v49
	v_cvt_u32_f32_e32 v4, v4
	s_xor_b64 s[68:69], exec, -1
	s_or_b64 s[66:67], s[4:5], exec
	flat_store_dwordx2 v[2:3], v[4:5]
.LBB94_6782:
	s_or_b64 exec, exec, s[64:65]
	s_andn2_b64 s[6:7], s[6:7], exec
	s_and_b64 s[64:65], s[68:69], exec
	s_or_b64 s[6:7], s[6:7], s[64:65]
	s_andn2_b64 s[4:5], s[4:5], exec
	s_and_b64 s[64:65], s[66:67], exec
	s_or_b64 s[4:5], s[4:5], s[64:65]
.LBB94_6783:
	s_or_b64 exec, exec, s[62:63]
	s_andn2_b64 s[62:63], s[50:51], exec
	s_and_b64 s[6:7], s[6:7], exec
	s_or_b64 s[62:63], s[62:63], s[6:7]
	s_and_b64 s[6:7], s[4:5], exec
                                        ; implicit-def: $vgpr2_vgpr3
                                        ; implicit-def: $vgpr49
                                        ; implicit-def: $vgpr4
.LBB94_6784:
	s_andn2_saveexec_b64 s[58:59], s[58:59]
	s_cbranch_execz .LBB94_6800
; %bb.6785:
	v_mov_b32_e32 v5, 26
	v_cmp_gt_i16_sdwa s[4:5], v11, v5 src0_sel:BYTE_0 src1_sel:DWORD
	s_and_saveexec_b64 s[64:65], s[4:5]
	s_xor_b64 s[4:5], exec, s[64:65]
	s_cbranch_execz .LBB94_6791
; %bb.6786:
	v_cvt_u32_f32_e32 v4, v4
	v_mov_b32_e32 v5, 27
	v_cmp_gt_i16_sdwa s[64:65], v11, v5 src0_sel:BYTE_0 src1_sel:DWORD
	s_and_saveexec_b64 s[66:67], s[64:65]
	s_xor_b64 s[64:65], exec, s[66:67]
	s_cbranch_execz .LBB94_6788
; %bb.6787:
	flat_store_dword v[2:3], v4
                                        ; implicit-def: $vgpr2_vgpr3
                                        ; implicit-def: $vgpr4
.LBB94_6788:
	s_andn2_saveexec_b64 s[64:65], s[64:65]
	s_cbranch_execz .LBB94_6790
; %bb.6789:
	flat_store_short v[2:3], v4
.LBB94_6790:
	s_or_b64 exec, exec, s[64:65]
                                        ; implicit-def: $vgpr2_vgpr3
                                        ; implicit-def: $vgpr49
                                        ; implicit-def: $vgpr4
.LBB94_6791:
	s_andn2_saveexec_b64 s[64:65], s[4:5]
	s_cbranch_execz .LBB94_6799
; %bb.6792:
	v_cndmask_b32_e64 v49, |v0|, |v49|, vcc
	s_mov_b32 s4, 0x43800000
	v_cmp_gt_u32_e64 s[4:5], s4, v49
	v_mov_b32_e32 v50, 0x80
	s_and_saveexec_b64 s[66:67], s[4:5]
	s_cbranch_execz .LBB94_6798
; %bb.6793:
	s_mov_b32 s4, 0x3bffffff
	v_cmp_lt_u32_e64 s[4:5], s4, v49
	s_mov_b64 s[68:69], 0
                                        ; implicit-def: $vgpr5
	s_and_saveexec_b64 s[70:71], s[4:5]
	s_xor_b64 s[4:5], exec, s[70:71]
	s_cbranch_execnz .LBB94_7517
; %bb.6794:
	s_or_saveexec_b64 s[70:71], s[4:5]
                                        ; implicit-def: $sgpr72
	s_xor_b64 exec, exec, s[70:71]
	s_cbranch_execnz .LBB94_7518
.LBB94_6795:
	s_or_b64 exec, exec, s[70:71]
	v_mov_b32_e32 v50, s72
	s_and_saveexec_b64 s[4:5], s[68:69]
.LBB94_6796:
	v_lshrrev_b32_e32 v4, 24, v4
	s_movk_i32 s68, 0x80
	v_and_or_b32 v50, v4, s68, v5
.LBB94_6797:
	s_or_b64 exec, exec, s[4:5]
.LBB94_6798:
	s_or_b64 exec, exec, s[66:67]
	flat_store_byte v[2:3], v50
.LBB94_6799:
	s_or_b64 exec, exec, s[64:65]
	s_or_b64 s[6:7], s[6:7], exec
.LBB94_6800:
	s_or_b64 exec, exec, s[58:59]
	s_andn2_b64 s[4:5], s[50:51], exec
	s_and_b64 s[58:59], s[62:63], exec
	s_or_b64 s[58:59], s[4:5], s[58:59]
	s_and_b64 s[6:7], s[6:7], exec
                                        ; implicit-def: $vgpr4
                                        ; implicit-def: $vgpr2_vgpr3
                                        ; implicit-def: $vgpr49
.LBB94_6801:
	s_andn2_saveexec_b64 s[60:61], s[60:61]
	s_cbranch_execz .LBB94_6845
; %bb.6802:
	v_mov_b32_e32 v5, 22
	v_cmp_gt_i16_sdwa s[62:63], v11, v5 src0_sel:BYTE_0 src1_sel:DWORD
	s_mov_b64 s[4:5], s[6:7]
	s_and_saveexec_b64 s[64:65], s[62:63]
	s_xor_b64 s[62:63], exec, s[64:65]
	s_cbranch_execz .LBB94_6834
; %bb.6803:
	v_mov_b32_e32 v5, 23
	v_cmp_gt_i16_sdwa s[4:5], v11, v5 src0_sel:BYTE_0 src1_sel:DWORD
	s_and_saveexec_b64 s[64:65], s[4:5]
	s_xor_b64 s[64:65], exec, s[64:65]
	s_cbranch_execz .LBB94_6823
; %bb.6804:
	v_mov_b32_e32 v5, 24
	v_cmp_gt_i16_sdwa s[4:5], v11, v5 src0_sel:BYTE_0 src1_sel:DWORD
	s_and_saveexec_b64 s[66:67], s[4:5]
	s_xor_b64 s[66:67], exec, s[66:67]
	s_cbranch_execz .LBB94_6812
; %bb.6805:
	v_cndmask_b32_e64 v49, |v0|, |v49|, vcc
	s_mov_b32 s4, 0x47800000
	v_cmp_gt_u32_e64 s[4:5], s4, v49
	v_mov_b32_e32 v50, 0x80
	s_and_saveexec_b64 s[68:69], s[4:5]
	s_cbranch_execz .LBB94_6811
; %bb.6806:
	s_mov_b32 s4, 0x37ffffff
	v_cmp_lt_u32_e64 s[4:5], s4, v49
	s_mov_b64 s[70:71], 0
                                        ; implicit-def: $vgpr5
	s_and_saveexec_b64 s[72:73], s[4:5]
	s_xor_b64 s[4:5], exec, s[72:73]
	s_cbranch_execnz .LBB94_7643
; %bb.6807:
	s_or_saveexec_b64 s[72:73], s[4:5]
                                        ; implicit-def: $sgpr74
	s_xor_b64 exec, exec, s[72:73]
	s_cbranch_execnz .LBB94_7644
.LBB94_6808:
	s_or_b64 exec, exec, s[72:73]
	v_mov_b32_e32 v50, s74
	s_and_saveexec_b64 s[4:5], s[70:71]
.LBB94_6809:
	v_lshrrev_b32_e32 v4, 24, v4
	s_movk_i32 s70, 0x80
	v_and_or_b32 v50, v4, s70, v5
.LBB94_6810:
	s_or_b64 exec, exec, s[4:5]
.LBB94_6811:
	s_or_b64 exec, exec, s[68:69]
	flat_store_byte v[2:3], v50
                                        ; implicit-def: $vgpr4
                                        ; implicit-def: $vgpr2_vgpr3
                                        ; implicit-def: $vgpr49
.LBB94_6812:
	s_andn2_saveexec_b64 s[66:67], s[66:67]
	s_cbranch_execz .LBB94_6822
; %bb.6813:
	v_cndmask_b32_e64 v49, |v0|, |v49|, vcc
	s_mov_b32 s4, 0x43f00000
	v_cmp_gt_u32_e64 s[4:5], s4, v49
                                        ; implicit-def: $vgpr5
	s_and_saveexec_b64 s[68:69], s[4:5]
	s_xor_b64 s[68:69], exec, s[68:69]
	s_cbranch_execz .LBB94_6819
; %bb.6814:
	s_mov_b32 s4, 0x3c7fffff
	v_cmp_lt_u32_e64 s[4:5], s4, v49
                                        ; implicit-def: $vgpr5
	s_and_saveexec_b64 s[70:71], s[4:5]
	s_xor_b64 s[70:71], exec, s[70:71]
; %bb.6815:
	v_bfe_u32 v5, v4, 20, 1
	s_mov_b32 s4, 0x407ffff
	v_add3_u32 v5, v4, v5, s4
	v_lshrrev_b32_e32 v49, 20, v5
	v_and_b32_e32 v5, 0xff00000, v5
	s_mov_b32 s4, 0x7f00000
	v_mov_b32_e32 v50, 0x7e
	v_cmp_ne_u32_e64 s[4:5], s4, v5
	v_cndmask_b32_e64 v5, v50, v49, s[4:5]
                                        ; implicit-def: $vgpr49
; %bb.6816:
	s_andn2_saveexec_b64 s[4:5], s[70:71]
; %bb.6817:
	v_add_f32_e32 v5, 0x46800000, v49
; %bb.6818:
	s_or_b64 exec, exec, s[4:5]
                                        ; implicit-def: $vgpr49
.LBB94_6819:
	s_andn2_saveexec_b64 s[68:69], s[68:69]
; %bb.6820:
	s_mov_b32 s4, 0x7f800000
	v_mov_b32_e32 v5, 0x7e
	v_mov_b32_e32 v50, 0x7f
	v_cmp_lt_u32_e64 s[4:5], s4, v49
	v_cndmask_b32_e64 v5, v5, v50, s[4:5]
; %bb.6821:
	s_or_b64 exec, exec, s[68:69]
	v_lshrrev_b32_e32 v4, 24, v4
	s_movk_i32 s4, 0x80
	v_and_or_b32 v4, v4, s4, v5
	flat_store_byte v[2:3], v4
.LBB94_6822:
	s_or_b64 exec, exec, s[66:67]
                                        ; implicit-def: $vgpr4
                                        ; implicit-def: $vgpr2_vgpr3
                                        ; implicit-def: $vgpr49
.LBB94_6823:
	s_andn2_saveexec_b64 s[4:5], s[64:65]
	s_cbranch_execz .LBB94_6833
; %bb.6824:
	v_cndmask_b32_e64 v49, |v0|, |v49|, vcc
	s_mov_b32 vcc_lo, 0x47800000
	v_cmp_gt_u32_e32 vcc, vcc_lo, v49
                                        ; implicit-def: $vgpr5
	s_and_saveexec_b64 s[64:65], vcc
	s_xor_b64 s[64:65], exec, s[64:65]
	s_cbranch_execz .LBB94_6830
; %bb.6825:
	s_mov_b32 vcc_lo, 0x387fffff
	v_cmp_lt_u32_e32 vcc, vcc_lo, v49
                                        ; implicit-def: $vgpr5
	s_and_saveexec_b64 s[66:67], vcc
	s_xor_b64 vcc, exec, s[66:67]
; %bb.6826:
	v_bfe_u32 v5, v4, 21, 1
	s_mov_b32 s66, 0x80fffff
	v_add3_u32 v5, v4, v5, s66
	v_lshrrev_b32_e32 v5, 21, v5
                                        ; implicit-def: $vgpr49
; %bb.6827:
	s_andn2_saveexec_b64 vcc, vcc
; %bb.6828:
	v_add_f32_e32 v5, 0x43000000, v49
; %bb.6829:
	s_or_b64 exec, exec, vcc
                                        ; implicit-def: $vgpr49
.LBB94_6830:
	s_andn2_saveexec_b64 s[64:65], s[64:65]
; %bb.6831:
	s_mov_b32 vcc_lo, 0x7f800000
	v_mov_b32_e32 v5, 0x7c
	v_mov_b32_e32 v50, 0x7f
	v_cmp_lt_u32_e32 vcc, vcc_lo, v49
	v_cndmask_b32_e32 v5, v5, v50, vcc
; %bb.6832:
	s_or_b64 exec, exec, s[64:65]
	v_lshrrev_b32_e32 v4, 24, v4
	s_movk_i32 vcc_lo, 0x80
	v_and_or_b32 v4, v4, vcc_lo, v5
	flat_store_byte v[2:3], v4
.LBB94_6833:
	s_or_b64 exec, exec, s[4:5]
	s_or_b64 s[4:5], s[6:7], exec
                                        ; implicit-def: $vgpr4
                                        ; implicit-def: $vgpr2_vgpr3
.LBB94_6834:
	s_or_saveexec_b64 s[62:63], s[62:63]
	s_mov_b64 vcc, s[58:59]
	s_xor_b64 exec, exec, s[62:63]
	s_cbranch_execz .LBB94_6844
; %bb.6835:
	v_mov_b32_e32 v5, 14
	v_cmp_gt_i16_sdwa vcc, v11, v5 src0_sel:BYTE_0 src1_sel:DWORD
	s_mov_b64 s[64:65], s[4:5]
	s_mov_b64 s[66:67], s[58:59]
	s_and_saveexec_b64 s[68:69], vcc
	s_xor_b64 s[68:69], exec, s[68:69]
	s_cbranch_execz .LBB94_6839
; %bb.6836:
	v_mov_b32_e32 v5, 15
	v_cmp_eq_u16_sdwa s[70:71], v11, v5 src0_sel:BYTE_0 src1_sel:DWORD
	s_mov_b64 s[66:67], -1
	s_mov_b64 vcc, s[4:5]
	s_and_saveexec_b64 s[64:65], s[70:71]
	s_cbranch_execz .LBB94_6838
; %bb.6837:
	v_bfe_u32 v5, v4, 16, 1
	s_movk_i32 vcc_lo, 0x7fff
	v_add3_u32 v5, v4, v5, vcc_lo
	v_lshrrev_b32_e32 v5, 16, v5
	v_mov_b32_e32 v49, 0x7fc0
	v_cmp_o_f32_e32 vcc, v4, v4
	v_cndmask_b32_e32 v4, v49, v5, vcc
	flat_store_short v[2:3], v4
	s_xor_b64 s[66:67], exec, -1
	s_or_b64 vcc, s[4:5], exec
.LBB94_6838:
	s_or_b64 exec, exec, s[64:65]
	s_andn2_b64 s[64:65], s[58:59], exec
	s_and_b64 s[66:67], s[66:67], exec
	s_or_b64 s[66:67], s[64:65], s[66:67]
	s_andn2_b64 s[64:65], s[4:5], exec
	s_and_b64 vcc, vcc, exec
	s_or_b64 s[64:65], s[64:65], vcc
                                        ; implicit-def: $vgpr4
                                        ; implicit-def: $vgpr2_vgpr3
.LBB94_6839:
	s_andn2_saveexec_b64 s[68:69], s[68:69]
	s_cbranch_execz .LBB94_6843
; %bb.6840:
	v_mov_b32_e32 v5, 11
	v_cmp_eq_u16_sdwa s[74:75], v11, v5 src0_sel:BYTE_0 src1_sel:DWORD
	s_mov_b64 s[70:71], -1
	s_mov_b64 vcc, s[64:65]
	s_and_saveexec_b64 s[72:73], s[74:75]
	s_cbranch_execz .LBB94_6842
; %bb.6841:
	v_cmp_neq_f32_e32 vcc, 0, v4
	v_cndmask_b32_e64 v4, 0, 1, vcc
	flat_store_byte v[2:3], v4
	s_xor_b64 s[70:71], exec, -1
	s_or_b64 vcc, s[64:65], exec
.LBB94_6842:
	s_or_b64 exec, exec, s[72:73]
	s_andn2_b64 s[66:67], s[66:67], exec
	s_and_b64 s[70:71], s[70:71], exec
	s_andn2_b64 s[64:65], s[64:65], exec
	s_and_b64 vcc, vcc, exec
	s_or_b64 s[66:67], s[66:67], s[70:71]
	s_or_b64 s[64:65], s[64:65], vcc
.LBB94_6843:
	s_or_b64 exec, exec, s[68:69]
	s_andn2_b64 vcc, s[58:59], exec
	s_and_b64 s[66:67], s[66:67], exec
	s_andn2_b64 s[4:5], s[4:5], exec
	s_and_b64 s[64:65], s[64:65], exec
	s_or_b64 vcc, vcc, s[66:67]
	s_or_b64 s[4:5], s[4:5], s[64:65]
.LBB94_6844:
	s_or_b64 exec, exec, s[62:63]
	s_andn2_b64 s[58:59], s[58:59], exec
	s_and_b64 vcc, vcc, exec
	s_andn2_b64 s[6:7], s[6:7], exec
	s_and_b64 s[4:5], s[4:5], exec
	s_or_b64 s[58:59], s[58:59], vcc
	s_or_b64 s[6:7], s[6:7], s[4:5]
.LBB94_6845:
	s_or_b64 exec, exec, s[60:61]
	s_andn2_b64 s[4:5], s[50:51], exec
	s_and_b64 vcc, s[58:59], exec
	s_or_b64 s[4:5], s[4:5], vcc
	s_and_b64 s[6:7], s[6:7], exec
                                        ; implicit-def: $vgpr4
                                        ; implicit-def: $vgpr2_vgpr3
	s_andn2_saveexec_b64 s[54:55], s[54:55]
	s_cbranch_execz .LBB94_4013
.LBB94_6846:
	v_mov_b32_e32 v5, 4
	v_cmp_gt_i16_sdwa vcc, v11, v5 src0_sel:BYTE_0 src1_sel:DWORD
	s_and_saveexec_b64 s[58:59], vcc
	s_xor_b64 vcc, exec, s[58:59]
	s_cbranch_execz .LBB94_6868
; %bb.6847:
	v_mov_b32_e32 v5, 7
	v_cmp_gt_i16_sdwa s[58:59], v11, v5 src0_sel:BYTE_0 src1_sel:DWORD
	s_and_saveexec_b64 s[60:61], s[58:59]
	s_xor_b64 s[58:59], exec, s[60:61]
	s_cbranch_execz .LBB94_6857
; %bb.6848:
	v_mov_b32_e32 v5, 8
	v_cmp_gt_i16_sdwa s[60:61], v11, v5 src0_sel:BYTE_0 src1_sel:DWORD
	s_and_saveexec_b64 s[62:63], s[60:61]
	s_xor_b64 s[60:61], exec, s[62:63]
	;; [unrolled: 6-line block ×3, first 2 shown]
	s_cbranch_execz .LBB94_6851
; %bb.6850:
	v_mov_b32_e32 v52, 0
	v_cvt_f64_f32_e32 v[50:51], v4
	v_mov_b32_e32 v53, v52
	flat_store_dwordx4 v[2:3], v[50:53]
                                        ; implicit-def: $vgpr4
                                        ; implicit-def: $vgpr2_vgpr3
.LBB94_6851:
	s_andn2_saveexec_b64 s[62:63], s[62:63]
	s_cbranch_execz .LBB94_6853
; %bb.6852:
	v_mov_b32_e32 v5, 0
	flat_store_dwordx2 v[2:3], v[4:5]
.LBB94_6853:
	s_or_b64 exec, exec, s[62:63]
                                        ; implicit-def: $vgpr4
                                        ; implicit-def: $vgpr2_vgpr3
.LBB94_6854:
	s_andn2_saveexec_b64 s[60:61], s[60:61]
	s_cbranch_execz .LBB94_6856
; %bb.6855:
	v_cvt_f16_f32_e32 v4, v4
	flat_store_dword v[2:3], v4
.LBB94_6856:
	s_or_b64 exec, exec, s[60:61]
                                        ; implicit-def: $vgpr4
                                        ; implicit-def: $vgpr2_vgpr3
.LBB94_6857:
	s_andn2_saveexec_b64 s[58:59], s[58:59]
	s_cbranch_execz .LBB94_6867
; %bb.6858:
	v_mov_b32_e32 v5, 5
	v_cmp_gt_i16_sdwa s[60:61], v11, v5 src0_sel:BYTE_0 src1_sel:DWORD
	s_and_saveexec_b64 s[62:63], s[60:61]
	s_xor_b64 s[60:61], exec, s[62:63]
	s_cbranch_execz .LBB94_6864
; %bb.6859:
	v_mov_b32_e32 v5, 6
	v_cmp_gt_i16_sdwa s[62:63], v11, v5 src0_sel:BYTE_0 src1_sel:DWORD
	s_and_saveexec_b64 s[64:65], s[62:63]
	s_xor_b64 s[62:63], exec, s[64:65]
	s_cbranch_execz .LBB94_6861
; %bb.6860:
	v_cvt_f64_f32_e32 v[4:5], v4
	flat_store_dwordx2 v[2:3], v[4:5]
                                        ; implicit-def: $vgpr2_vgpr3
                                        ; implicit-def: $vgpr4
.LBB94_6861:
	s_andn2_saveexec_b64 s[62:63], s[62:63]
	s_cbranch_execz .LBB94_6863
; %bb.6862:
	flat_store_dword v[2:3], v4
.LBB94_6863:
	s_or_b64 exec, exec, s[62:63]
                                        ; implicit-def: $vgpr4
                                        ; implicit-def: $vgpr2_vgpr3
.LBB94_6864:
	s_andn2_saveexec_b64 s[60:61], s[60:61]
	s_cbranch_execz .LBB94_6866
; %bb.6865:
	v_cvt_f16_f32_e32 v4, v4
	flat_store_short v[2:3], v4
.LBB94_6866:
	s_or_b64 exec, exec, s[60:61]
.LBB94_6867:
	s_or_b64 exec, exec, s[58:59]
                                        ; implicit-def: $vgpr4
                                        ; implicit-def: $vgpr2_vgpr3
.LBB94_6868:
	s_andn2_saveexec_b64 s[58:59], vcc
	s_cbranch_execz .LBB94_6886
; %bb.6869:
	v_mov_b32_e32 v5, 1
	v_cmp_gt_i16_sdwa vcc, v11, v5 src0_sel:BYTE_0 src1_sel:DWORD
	s_and_saveexec_b64 s[60:61], vcc
	s_xor_b64 s[60:61], exec, s[60:61]
	s_cbranch_execz .LBB94_6879
; %bb.6870:
	v_mov_b32_e32 v5, 2
	v_cmp_gt_i16_sdwa vcc, v11, v5 src0_sel:BYTE_0 src1_sel:DWORD
	s_and_saveexec_b64 s[62:63], vcc
	s_xor_b64 s[62:63], exec, s[62:63]
	s_cbranch_execz .LBB94_6876
; %bb.6871:
	v_mov_b32_e32 v5, 3
	v_cmp_gt_i16_sdwa vcc, v11, v5 src0_sel:BYTE_0 src1_sel:DWORD
	s_and_saveexec_b64 s[64:65], vcc
	s_xor_b64 s[64:65], exec, s[64:65]
	s_cbranch_execz .LBB94_6873
; %bb.6872:
	v_trunc_f32_e32 v4, v4
	s_mov_b32 s66, 0x2f800000
	v_mul_f32_e64 v5, |v4|, s66
	v_floor_f32_e32 v5, v5
	s_mov_b32 s66, 0xcf800000
	v_cvt_u32_f32_e32 v49, v5
	v_fma_f32 v5, v5, s66, |v4|
	v_cvt_u32_f32_e32 v5, v5
	v_ashrrev_i32_e32 v50, 31, v4
	v_xor_b32_e32 v49, v49, v50
	v_xor_b32_e32 v4, v5, v50
	v_sub_co_u32_e32 v4, vcc, v4, v50
	v_subb_co_u32_e32 v5, vcc, v49, v50, vcc
	flat_store_dwordx2 v[2:3], v[4:5]
                                        ; implicit-def: $vgpr4
                                        ; implicit-def: $vgpr2_vgpr3
.LBB94_6873:
	s_andn2_saveexec_b64 vcc, s[64:65]
	s_cbranch_execz .LBB94_6875
; %bb.6874:
	v_cvt_i32_f32_e32 v4, v4
	flat_store_dword v[2:3], v4
.LBB94_6875:
	s_or_b64 exec, exec, vcc
                                        ; implicit-def: $vgpr4
                                        ; implicit-def: $vgpr2_vgpr3
.LBB94_6876:
	s_andn2_saveexec_b64 vcc, s[62:63]
	s_cbranch_execz .LBB94_6878
; %bb.6877:
	v_cvt_i32_f32_e32 v4, v4
	flat_store_short v[2:3], v4
.LBB94_6878:
	s_or_b64 exec, exec, vcc
                                        ; implicit-def: $vgpr4
                                        ; implicit-def: $vgpr2_vgpr3
.LBB94_6879:
	s_andn2_saveexec_b64 vcc, s[60:61]
	s_cbranch_execz .LBB94_6885
; %bb.6880:
	v_mov_b32_e32 v5, 0
	v_cmp_gt_i16_sdwa s[60:61], v11, v5 src0_sel:BYTE_0 src1_sel:DWORD
	s_and_saveexec_b64 s[62:63], s[60:61]
	s_xor_b64 s[60:61], exec, s[62:63]
	s_cbranch_execz .LBB94_6882
; %bb.6881:
	v_cvt_i32_f32_e32 v4, v4
	flat_store_byte v[2:3], v4
                                        ; implicit-def: $vgpr4
                                        ; implicit-def: $vgpr2_vgpr3
.LBB94_6882:
	s_andn2_saveexec_b64 s[60:61], s[60:61]
	s_cbranch_execz .LBB94_6884
; %bb.6883:
	v_trunc_f32_e32 v4, v4
	s_mov_b32 s62, 0x2f800000
	v_mul_f32_e64 v5, |v4|, s62
	v_floor_f32_e32 v5, v5
	s_mov_b32 s62, 0xcf800000
	v_fma_f32 v5, v5, s62, |v4|
	v_cvt_u32_f32_e32 v5, v5
	v_ashrrev_i32_e32 v4, 31, v4
	v_xor_b32_e32 v5, v5, v4
	v_sub_u32_e32 v4, v5, v4
	flat_store_byte v[2:3], v4
.LBB94_6884:
	s_or_b64 exec, exec, s[60:61]
.LBB94_6885:
	s_or_b64 exec, exec, vcc
.LBB94_6886:
	s_or_b64 exec, exec, s[58:59]
	s_or_b64 s[6:7], s[6:7], exec
	s_or_b64 exec, exec, s[54:55]
	s_mov_b64 vcc, 0
	s_and_saveexec_b64 s[54:55], s[6:7]
	s_cbranch_execnz .LBB94_4014
	s_branch .LBB94_4015
.LBB94_6887:
	v_bfe_u32 v5, v4, 21, 1
	s_mov_b32 s64, 0x88fffff
	v_add3_u32 v5, v4, v5, s64
	s_mov_b64 s[62:63], exec
	v_lshrrev_b32_e32 v5, 21, v5
                                        ; implicit-def: $vgpr69
	s_or_saveexec_b64 s[64:65], s[4:5]
                                        ; implicit-def: $sgpr66
	s_xor_b64 exec, exec, s[64:65]
	s_cbranch_execz .LBB94_6172
.LBB94_6888:
	v_add_f32_e32 v5, 0x42800000, v69
	v_and_b32_e32 v5, 0xff, v5
	v_cmp_ne_u32_e64 s[4:5], 0, v5
	s_andn2_b64 s[62:63], s[62:63], exec
	s_and_b64 s[4:5], s[4:5], exec
	s_mov_b32 s66, 0
	s_or_b64 s[62:63], s[62:63], s[4:5]
	s_or_b64 exec, exec, s[64:65]
	v_mov_b32_e32 v70, s66
	s_and_saveexec_b64 s[4:5], s[62:63]
	s_cbranch_execnz .LBB94_6173
	s_branch .LBB94_6174
.LBB94_6889:
	v_bfe_u32 v5, v4, 21, 1
	s_mov_b32 s64, 0x88fffff
	v_add3_u32 v5, v4, v5, s64
	s_mov_b64 s[62:63], exec
	v_lshrrev_b32_e32 v5, 21, v5
                                        ; implicit-def: $vgpr67
	s_or_saveexec_b64 s[64:65], s[4:5]
                                        ; implicit-def: $sgpr66
	s_xor_b64 exec, exec, s[64:65]
	s_cbranch_execz .LBB94_3898
.LBB94_6890:
	v_add_f32_e32 v5, 0x42800000, v67
	v_and_b32_e32 v5, 0xff, v5
	v_cmp_ne_u32_e64 s[4:5], 0, v5
	s_andn2_b64 s[62:63], s[62:63], exec
	s_and_b64 s[4:5], s[4:5], exec
	s_mov_b32 s66, 0
	s_or_b64 s[62:63], s[62:63], s[4:5]
	s_or_b64 exec, exec, s[64:65]
	v_mov_b32_e32 v68, s66
	s_and_saveexec_b64 s[4:5], s[62:63]
	s_cbranch_execnz .LBB94_3899
	s_branch .LBB94_3900
.LBB94_6891:
	v_mov_b32_e32 v5, 25
	v_cmp_gt_i16_sdwa s[4:5], v11, v5 src0_sel:BYTE_0 src1_sel:DWORD
	s_mov_b64 s[62:63], s[54:55]
	s_and_saveexec_b64 s[64:65], s[4:5]
	s_xor_b64 s[64:65], exec, s[64:65]
	s_cbranch_execz .LBB94_6927
; %bb.6892:
	v_mov_b32_e32 v5, 28
	v_cmp_gt_i16_sdwa s[4:5], v11, v5 src0_sel:BYTE_0 src1_sel:DWORD
	s_mov_b64 s[66:67], s[54:55]
	s_and_saveexec_b64 s[62:63], s[4:5]
	s_xor_b64 s[62:63], exec, s[62:63]
	s_cbranch_execz .LBB94_6910
; %bb.6893:
	v_mov_b32_e32 v5, 43
	v_cmp_gt_i16_sdwa s[66:67], v11, v5 src0_sel:BYTE_0 src1_sel:DWORD
	s_mov_b64 s[4:5], 0
	s_mov_b64 s[6:7], s[54:55]
	s_and_saveexec_b64 s[68:69], s[66:67]
	s_xor_b64 s[66:67], exec, s[68:69]
	s_cbranch_execz .LBB94_6905
; %bb.6894:
	v_mov_b32_e32 v5, 45
	v_cmp_gt_i16_sdwa s[4:5], v11, v5 src0_sel:BYTE_0 src1_sel:DWORD
	s_mov_b64 s[68:69], 0
	s_mov_b64 s[70:71], s[54:55]
	s_and_saveexec_b64 s[6:7], s[4:5]
	s_xor_b64 s[6:7], exec, s[6:7]
	s_cbranch_execz .LBB94_6898
; %bb.6895:
	v_mov_b32_e32 v5, 46
	v_cmp_eq_u16_sdwa s[72:73], v11, v5 src0_sel:BYTE_0 src1_sel:DWORD
	s_mov_b64 s[4:5], -1
	s_and_saveexec_b64 s[70:71], s[72:73]
	s_cbranch_execz .LBB94_6897
; %bb.6896:
	v_bfe_u32 v5, v4, 16, 1
	s_movk_i32 s4, 0x7fff
	v_add3_u32 v5, v4, v5, s4
	v_lshrrev_b32_e32 v5, 16, v5
	v_mov_b32_e32 v39, 0x7fc0
	v_cmp_o_f32_e64 s[4:5], v4, v4
	v_cndmask_b32_e64 v4, v39, v5, s[4:5]
	s_mov_b64 s[68:69], exec
	flat_store_dword v[2:3], v4
	s_xor_b64 s[4:5], exec, -1
.LBB94_6897:
	s_or_b64 exec, exec, s[70:71]
	s_andn2_b64 s[70:71], s[54:55], exec
	s_and_b64 s[4:5], s[4:5], exec
	s_or_b64 s[70:71], s[70:71], s[4:5]
	s_and_b64 s[68:69], s[68:69], exec
                                        ; implicit-def: $vgpr2_vgpr3
                                        ; implicit-def: $vgpr4
.LBB94_6898:
	s_andn2_saveexec_b64 s[72:73], s[6:7]
	s_cbranch_execz .LBB94_6904
; %bb.6899:
	v_mov_b32_e32 v5, 44
	v_cmp_eq_u16_sdwa s[76:77], v11, v5 src0_sel:BYTE_0 src1_sel:DWORD
	s_mov_b64 s[6:7], -1
	s_mov_b64 s[4:5], s[68:69]
	s_and_saveexec_b64 s[74:75], s[76:77]
	s_cbranch_execz .LBB94_6903
; %bb.6900:
	v_bfe_u32 v5, v4, 23, 8
	s_movk_i32 s4, 0xff
	v_cmp_ne_u32_e64 s[4:5], s4, v5
	v_mov_b32_e32 v39, 0xff
	s_and_saveexec_b64 s[76:77], s[4:5]
; %bb.6901:
	s_mov_b32 s6, 0x3fffff
	v_lshrrev_b32_e32 v39, 23, v4
	v_and_b32_e32 v48, 0x400000, v4
	v_and_or_b32 v4, v4, s6, v5
	v_cmp_ne_u32_e64 s[4:5], 0, v48
	v_cmp_ne_u32_e64 s[6:7], 0, v4
	s_and_b64 s[4:5], s[4:5], s[6:7]
	v_cndmask_b32_e64 v4, 0, 1, s[4:5]
	v_add_u32_e32 v39, v39, v4
; %bb.6902:
	s_or_b64 exec, exec, s[76:77]
	s_xor_b64 s[6:7], exec, -1
	s_or_b64 s[4:5], s[68:69], exec
	flat_store_byte v[2:3], v39
.LBB94_6903:
	s_or_b64 exec, exec, s[74:75]
	s_andn2_b64 s[70:71], s[70:71], exec
	s_and_b64 s[6:7], s[6:7], exec
	s_or_b64 s[70:71], s[70:71], s[6:7]
	s_andn2_b64 s[6:7], s[68:69], exec
	s_and_b64 s[4:5], s[4:5], exec
	s_or_b64 s[68:69], s[6:7], s[4:5]
.LBB94_6904:
	s_or_b64 exec, exec, s[72:73]
	s_andn2_b64 s[4:5], s[54:55], exec
	s_and_b64 s[6:7], s[70:71], exec
	s_or_b64 s[6:7], s[4:5], s[6:7]
	s_and_b64 s[4:5], s[68:69], exec
                                        ; implicit-def: $vgpr4
                                        ; implicit-def: $vgpr2_vgpr3
.LBB94_6905:
	s_andn2_saveexec_b64 s[66:67], s[66:67]
	s_cbranch_execz .LBB94_6909
; %bb.6906:
	v_mov_b32_e32 v5, 29
	v_cmp_eq_u16_sdwa s[74:75], v11, v5 src0_sel:BYTE_0 src1_sel:DWORD
	s_mov_b64 s[72:73], -1
	s_mov_b64 s[70:71], s[4:5]
	s_and_saveexec_b64 s[68:69], s[74:75]
	s_cbranch_execz .LBB94_6908
; %bb.6907:
	v_trunc_f32_e32 v4, v4
	v_mul_f32_e32 v5, 0x2f800000, v4
	v_floor_f32_e32 v39, v5
	v_fmac_f32_e32 v4, 0xcf800000, v39
	v_cvt_u32_f32_e32 v5, v39
	v_cvt_u32_f32_e32 v4, v4
	s_xor_b64 s[72:73], exec, -1
	s_or_b64 s[70:71], s[4:5], exec
	flat_store_dwordx2 v[2:3], v[4:5]
.LBB94_6908:
	s_or_b64 exec, exec, s[68:69]
	s_andn2_b64 s[6:7], s[6:7], exec
	s_and_b64 s[68:69], s[72:73], exec
	s_or_b64 s[6:7], s[6:7], s[68:69]
	s_andn2_b64 s[4:5], s[4:5], exec
	s_and_b64 s[68:69], s[70:71], exec
	s_or_b64 s[4:5], s[4:5], s[68:69]
.LBB94_6909:
	s_or_b64 exec, exec, s[66:67]
	s_andn2_b64 s[66:67], s[54:55], exec
	s_and_b64 s[6:7], s[6:7], exec
	s_or_b64 s[66:67], s[66:67], s[6:7]
	s_and_b64 s[6:7], s[4:5], exec
                                        ; implicit-def: $vgpr2_vgpr3
                                        ; implicit-def: $vgpr39
                                        ; implicit-def: $vgpr4
.LBB94_6910:
	s_andn2_saveexec_b64 s[62:63], s[62:63]
	s_cbranch_execz .LBB94_6926
; %bb.6911:
	v_mov_b32_e32 v5, 26
	v_cmp_gt_i16_sdwa s[4:5], v11, v5 src0_sel:BYTE_0 src1_sel:DWORD
	s_and_saveexec_b64 s[68:69], s[4:5]
	s_xor_b64 s[4:5], exec, s[68:69]
	s_cbranch_execz .LBB94_6917
; %bb.6912:
	v_cvt_u32_f32_e32 v4, v4
	v_mov_b32_e32 v5, 27
	v_cmp_gt_i16_sdwa s[68:69], v11, v5 src0_sel:BYTE_0 src1_sel:DWORD
	s_and_saveexec_b64 s[70:71], s[68:69]
	s_xor_b64 s[68:69], exec, s[70:71]
	s_cbranch_execz .LBB94_6914
; %bb.6913:
	flat_store_dword v[2:3], v4
                                        ; implicit-def: $vgpr2_vgpr3
                                        ; implicit-def: $vgpr4
.LBB94_6914:
	s_andn2_saveexec_b64 s[68:69], s[68:69]
	s_cbranch_execz .LBB94_6916
; %bb.6915:
	flat_store_short v[2:3], v4
.LBB94_6916:
	s_or_b64 exec, exec, s[68:69]
                                        ; implicit-def: $vgpr2_vgpr3
                                        ; implicit-def: $vgpr39
                                        ; implicit-def: $vgpr4
.LBB94_6917:
	s_andn2_saveexec_b64 s[68:69], s[4:5]
	s_cbranch_execz .LBB94_6925
; %bb.6918:
	v_cndmask_b32_e64 v39, |v0|, |v39|, vcc
	s_mov_b32 s4, 0x43800000
	v_cmp_gt_u32_e64 s[4:5], s4, v39
	v_mov_b32_e32 v48, 0x80
	s_and_saveexec_b64 s[70:71], s[4:5]
	s_cbranch_execz .LBB94_6924
; %bb.6919:
	s_mov_b32 s4, 0x3bffffff
	v_cmp_lt_u32_e64 s[4:5], s4, v39
	s_mov_b64 s[72:73], 0
                                        ; implicit-def: $vgpr5
	s_and_saveexec_b64 s[74:75], s[4:5]
	s_xor_b64 s[4:5], exec, s[74:75]
	s_cbranch_execnz .LBB94_7645
; %bb.6920:
	s_or_saveexec_b64 s[74:75], s[4:5]
                                        ; implicit-def: $sgpr76
	s_xor_b64 exec, exec, s[74:75]
	s_cbranch_execnz .LBB94_7646
.LBB94_6921:
	s_or_b64 exec, exec, s[74:75]
	v_mov_b32_e32 v48, s76
	s_and_saveexec_b64 s[4:5], s[72:73]
.LBB94_6922:
	v_lshrrev_b32_e32 v4, 24, v4
	s_movk_i32 s72, 0x80
	v_and_or_b32 v48, v4, s72, v5
.LBB94_6923:
	s_or_b64 exec, exec, s[4:5]
.LBB94_6924:
	s_or_b64 exec, exec, s[70:71]
	flat_store_byte v[2:3], v48
.LBB94_6925:
	s_or_b64 exec, exec, s[68:69]
	s_or_b64 s[6:7], s[6:7], exec
.LBB94_6926:
	s_or_b64 exec, exec, s[62:63]
	s_andn2_b64 s[4:5], s[54:55], exec
	s_and_b64 s[62:63], s[66:67], exec
	s_or_b64 s[62:63], s[4:5], s[62:63]
	s_and_b64 s[6:7], s[6:7], exec
                                        ; implicit-def: $vgpr4
                                        ; implicit-def: $vgpr2_vgpr3
                                        ; implicit-def: $vgpr39
.LBB94_6927:
	s_andn2_saveexec_b64 s[64:65], s[64:65]
	s_cbranch_execz .LBB94_6971
; %bb.6928:
	v_mov_b32_e32 v5, 22
	v_cmp_gt_i16_sdwa s[66:67], v11, v5 src0_sel:BYTE_0 src1_sel:DWORD
	s_mov_b64 s[4:5], s[6:7]
	s_and_saveexec_b64 s[68:69], s[66:67]
	s_xor_b64 s[66:67], exec, s[68:69]
	s_cbranch_execz .LBB94_6960
; %bb.6929:
	v_mov_b32_e32 v5, 23
	v_cmp_gt_i16_sdwa s[4:5], v11, v5 src0_sel:BYTE_0 src1_sel:DWORD
	s_and_saveexec_b64 s[68:69], s[4:5]
	s_xor_b64 s[68:69], exec, s[68:69]
	s_cbranch_execz .LBB94_6949
; %bb.6930:
	v_mov_b32_e32 v5, 24
	v_cmp_gt_i16_sdwa s[4:5], v11, v5 src0_sel:BYTE_0 src1_sel:DWORD
	s_and_saveexec_b64 s[70:71], s[4:5]
	s_xor_b64 s[70:71], exec, s[70:71]
	s_cbranch_execz .LBB94_6938
; %bb.6931:
	v_cndmask_b32_e64 v39, |v0|, |v39|, vcc
	s_mov_b32 s4, 0x47800000
	v_cmp_gt_u32_e64 s[4:5], s4, v39
	v_mov_b32_e32 v48, 0x80
	s_and_saveexec_b64 s[72:73], s[4:5]
	s_cbranch_execz .LBB94_6937
; %bb.6932:
	s_mov_b32 s4, 0x37ffffff
	v_cmp_lt_u32_e64 s[4:5], s4, v39
	s_mov_b64 s[74:75], 0
                                        ; implicit-def: $vgpr5
	s_and_saveexec_b64 s[76:77], s[4:5]
	s_xor_b64 s[4:5], exec, s[76:77]
	s_cbranch_execnz .LBB94_7771
; %bb.6933:
	s_or_saveexec_b64 s[76:77], s[4:5]
                                        ; implicit-def: $sgpr78
	s_xor_b64 exec, exec, s[76:77]
	s_cbranch_execnz .LBB94_7772
.LBB94_6934:
	s_or_b64 exec, exec, s[76:77]
	v_mov_b32_e32 v48, s78
	s_and_saveexec_b64 s[4:5], s[74:75]
.LBB94_6935:
	v_lshrrev_b32_e32 v4, 24, v4
	s_movk_i32 s74, 0x80
	v_and_or_b32 v48, v4, s74, v5
.LBB94_6936:
	s_or_b64 exec, exec, s[4:5]
.LBB94_6937:
	s_or_b64 exec, exec, s[72:73]
	flat_store_byte v[2:3], v48
                                        ; implicit-def: $vgpr4
                                        ; implicit-def: $vgpr2_vgpr3
                                        ; implicit-def: $vgpr39
.LBB94_6938:
	s_andn2_saveexec_b64 s[70:71], s[70:71]
	s_cbranch_execz .LBB94_6948
; %bb.6939:
	v_cndmask_b32_e64 v39, |v0|, |v39|, vcc
	s_mov_b32 s4, 0x43f00000
	v_cmp_gt_u32_e64 s[4:5], s4, v39
                                        ; implicit-def: $vgpr5
	s_and_saveexec_b64 s[72:73], s[4:5]
	s_xor_b64 s[72:73], exec, s[72:73]
	s_cbranch_execz .LBB94_6945
; %bb.6940:
	s_mov_b32 s4, 0x3c7fffff
	v_cmp_lt_u32_e64 s[4:5], s4, v39
                                        ; implicit-def: $vgpr5
	s_and_saveexec_b64 s[74:75], s[4:5]
	s_xor_b64 s[74:75], exec, s[74:75]
; %bb.6941:
	v_bfe_u32 v5, v4, 20, 1
	s_mov_b32 s4, 0x407ffff
	v_add3_u32 v5, v4, v5, s4
	v_lshrrev_b32_e32 v39, 20, v5
	v_and_b32_e32 v5, 0xff00000, v5
	s_mov_b32 s4, 0x7f00000
	v_mov_b32_e32 v48, 0x7e
	v_cmp_ne_u32_e64 s[4:5], s4, v5
	v_cndmask_b32_e64 v5, v48, v39, s[4:5]
                                        ; implicit-def: $vgpr39
; %bb.6942:
	s_andn2_saveexec_b64 s[4:5], s[74:75]
; %bb.6943:
	v_add_f32_e32 v5, 0x46800000, v39
; %bb.6944:
	s_or_b64 exec, exec, s[4:5]
                                        ; implicit-def: $vgpr39
.LBB94_6945:
	s_andn2_saveexec_b64 s[72:73], s[72:73]
; %bb.6946:
	s_mov_b32 s4, 0x7f800000
	v_mov_b32_e32 v5, 0x7e
	v_mov_b32_e32 v48, 0x7f
	v_cmp_lt_u32_e64 s[4:5], s4, v39
	v_cndmask_b32_e64 v5, v5, v48, s[4:5]
; %bb.6947:
	s_or_b64 exec, exec, s[72:73]
	v_lshrrev_b32_e32 v4, 24, v4
	s_movk_i32 s4, 0x80
	v_and_or_b32 v4, v4, s4, v5
	flat_store_byte v[2:3], v4
.LBB94_6948:
	s_or_b64 exec, exec, s[70:71]
                                        ; implicit-def: $vgpr4
                                        ; implicit-def: $vgpr2_vgpr3
                                        ; implicit-def: $vgpr39
.LBB94_6949:
	s_andn2_saveexec_b64 s[4:5], s[68:69]
	s_cbranch_execz .LBB94_6959
; %bb.6950:
	v_cndmask_b32_e64 v39, |v0|, |v39|, vcc
	s_mov_b32 vcc_lo, 0x47800000
	v_cmp_gt_u32_e32 vcc, vcc_lo, v39
                                        ; implicit-def: $vgpr5
	s_and_saveexec_b64 s[68:69], vcc
	s_xor_b64 s[68:69], exec, s[68:69]
	s_cbranch_execz .LBB94_6956
; %bb.6951:
	s_mov_b32 vcc_lo, 0x387fffff
	v_cmp_lt_u32_e32 vcc, vcc_lo, v39
                                        ; implicit-def: $vgpr5
	s_and_saveexec_b64 s[70:71], vcc
	s_xor_b64 vcc, exec, s[70:71]
; %bb.6952:
	v_bfe_u32 v5, v4, 21, 1
	s_mov_b32 s70, 0x80fffff
	v_add3_u32 v5, v4, v5, s70
	v_lshrrev_b32_e32 v5, 21, v5
                                        ; implicit-def: $vgpr39
; %bb.6953:
	s_andn2_saveexec_b64 vcc, vcc
; %bb.6954:
	v_add_f32_e32 v5, 0x43000000, v39
; %bb.6955:
	s_or_b64 exec, exec, vcc
                                        ; implicit-def: $vgpr39
.LBB94_6956:
	s_andn2_saveexec_b64 s[68:69], s[68:69]
; %bb.6957:
	s_mov_b32 vcc_lo, 0x7f800000
	v_mov_b32_e32 v5, 0x7c
	v_mov_b32_e32 v48, 0x7f
	v_cmp_lt_u32_e32 vcc, vcc_lo, v39
	v_cndmask_b32_e32 v5, v5, v48, vcc
; %bb.6958:
	s_or_b64 exec, exec, s[68:69]
	v_lshrrev_b32_e32 v4, 24, v4
	s_movk_i32 vcc_lo, 0x80
	v_and_or_b32 v4, v4, vcc_lo, v5
	flat_store_byte v[2:3], v4
.LBB94_6959:
	s_or_b64 exec, exec, s[4:5]
	s_or_b64 s[4:5], s[6:7], exec
                                        ; implicit-def: $vgpr4
                                        ; implicit-def: $vgpr2_vgpr3
.LBB94_6960:
	s_or_saveexec_b64 s[66:67], s[66:67]
	s_mov_b64 vcc, s[62:63]
	s_xor_b64 exec, exec, s[66:67]
	s_cbranch_execz .LBB94_6970
; %bb.6961:
	v_mov_b32_e32 v5, 14
	v_cmp_gt_i16_sdwa vcc, v11, v5 src0_sel:BYTE_0 src1_sel:DWORD
	s_mov_b64 s[68:69], s[4:5]
	s_mov_b64 s[70:71], s[62:63]
	s_and_saveexec_b64 s[72:73], vcc
	s_xor_b64 s[72:73], exec, s[72:73]
	s_cbranch_execz .LBB94_6965
; %bb.6962:
	v_mov_b32_e32 v5, 15
	v_cmp_eq_u16_sdwa s[74:75], v11, v5 src0_sel:BYTE_0 src1_sel:DWORD
	s_mov_b64 s[70:71], -1
	s_mov_b64 vcc, s[4:5]
	s_and_saveexec_b64 s[68:69], s[74:75]
	s_cbranch_execz .LBB94_6964
; %bb.6963:
	v_bfe_u32 v5, v4, 16, 1
	s_movk_i32 vcc_lo, 0x7fff
	v_add3_u32 v5, v4, v5, vcc_lo
	v_lshrrev_b32_e32 v5, 16, v5
	v_mov_b32_e32 v39, 0x7fc0
	v_cmp_o_f32_e32 vcc, v4, v4
	v_cndmask_b32_e32 v4, v39, v5, vcc
	flat_store_short v[2:3], v4
	s_xor_b64 s[70:71], exec, -1
	s_or_b64 vcc, s[4:5], exec
.LBB94_6964:
	s_or_b64 exec, exec, s[68:69]
	s_andn2_b64 s[68:69], s[62:63], exec
	s_and_b64 s[70:71], s[70:71], exec
	s_or_b64 s[70:71], s[68:69], s[70:71]
	s_andn2_b64 s[68:69], s[4:5], exec
	s_and_b64 vcc, vcc, exec
	s_or_b64 s[68:69], s[68:69], vcc
                                        ; implicit-def: $vgpr4
                                        ; implicit-def: $vgpr2_vgpr3
.LBB94_6965:
	s_andn2_saveexec_b64 s[72:73], s[72:73]
	s_cbranch_execz .LBB94_6969
; %bb.6966:
	v_mov_b32_e32 v5, 11
	v_cmp_eq_u16_sdwa s[78:79], v11, v5 src0_sel:BYTE_0 src1_sel:DWORD
	s_mov_b64 s[74:75], -1
	s_mov_b64 vcc, s[68:69]
	s_and_saveexec_b64 s[76:77], s[78:79]
	s_cbranch_execz .LBB94_6968
; %bb.6967:
	v_cmp_neq_f32_e32 vcc, 0, v4
	v_cndmask_b32_e64 v4, 0, 1, vcc
	flat_store_byte v[2:3], v4
	s_xor_b64 s[74:75], exec, -1
	s_or_b64 vcc, s[68:69], exec
.LBB94_6968:
	s_or_b64 exec, exec, s[76:77]
	s_andn2_b64 s[70:71], s[70:71], exec
	s_and_b64 s[74:75], s[74:75], exec
	s_andn2_b64 s[68:69], s[68:69], exec
	s_and_b64 vcc, vcc, exec
	s_or_b64 s[70:71], s[70:71], s[74:75]
	s_or_b64 s[68:69], s[68:69], vcc
.LBB94_6969:
	s_or_b64 exec, exec, s[72:73]
	s_andn2_b64 vcc, s[62:63], exec
	s_and_b64 s[70:71], s[70:71], exec
	s_andn2_b64 s[4:5], s[4:5], exec
	s_and_b64 s[68:69], s[68:69], exec
	s_or_b64 vcc, vcc, s[70:71]
	s_or_b64 s[4:5], s[4:5], s[68:69]
.LBB94_6970:
	s_or_b64 exec, exec, s[66:67]
	s_andn2_b64 s[62:63], s[62:63], exec
	s_and_b64 vcc, vcc, exec
	s_andn2_b64 s[6:7], s[6:7], exec
	s_and_b64 s[4:5], s[4:5], exec
	s_or_b64 s[62:63], s[62:63], vcc
	s_or_b64 s[6:7], s[6:7], s[4:5]
.LBB94_6971:
	s_or_b64 exec, exec, s[64:65]
	s_andn2_b64 s[4:5], s[54:55], exec
	s_and_b64 vcc, s[62:63], exec
	s_or_b64 s[4:5], s[4:5], vcc
	s_and_b64 s[6:7], s[6:7], exec
                                        ; implicit-def: $vgpr4
                                        ; implicit-def: $vgpr2_vgpr3
	s_andn2_saveexec_b64 s[58:59], s[58:59]
	s_cbranch_execz .LBB94_4020
.LBB94_6972:
	v_mov_b32_e32 v5, 4
	v_cmp_gt_i16_sdwa vcc, v11, v5 src0_sel:BYTE_0 src1_sel:DWORD
	s_and_saveexec_b64 s[62:63], vcc
	s_xor_b64 vcc, exec, s[62:63]
	s_cbranch_execz .LBB94_6994
; %bb.6973:
	v_mov_b32_e32 v5, 7
	v_cmp_gt_i16_sdwa s[62:63], v11, v5 src0_sel:BYTE_0 src1_sel:DWORD
	s_and_saveexec_b64 s[64:65], s[62:63]
	s_xor_b64 s[62:63], exec, s[64:65]
	s_cbranch_execz .LBB94_6983
; %bb.6974:
	v_mov_b32_e32 v5, 8
	v_cmp_gt_i16_sdwa s[64:65], v11, v5 src0_sel:BYTE_0 src1_sel:DWORD
	s_and_saveexec_b64 s[66:67], s[64:65]
	s_xor_b64 s[64:65], exec, s[66:67]
	;; [unrolled: 6-line block ×3, first 2 shown]
	s_cbranch_execz .LBB94_6977
; %bb.6976:
	v_mov_b32_e32 v50, 0
	v_cvt_f64_f32_e32 v[48:49], v4
	v_mov_b32_e32 v51, v50
	flat_store_dwordx4 v[2:3], v[48:51]
                                        ; implicit-def: $vgpr4
                                        ; implicit-def: $vgpr2_vgpr3
.LBB94_6977:
	s_andn2_saveexec_b64 s[66:67], s[66:67]
	s_cbranch_execz .LBB94_6979
; %bb.6978:
	v_mov_b32_e32 v5, 0
	flat_store_dwordx2 v[2:3], v[4:5]
.LBB94_6979:
	s_or_b64 exec, exec, s[66:67]
                                        ; implicit-def: $vgpr4
                                        ; implicit-def: $vgpr2_vgpr3
.LBB94_6980:
	s_andn2_saveexec_b64 s[64:65], s[64:65]
	s_cbranch_execz .LBB94_6982
; %bb.6981:
	v_cvt_f16_f32_e32 v4, v4
	flat_store_dword v[2:3], v4
.LBB94_6982:
	s_or_b64 exec, exec, s[64:65]
                                        ; implicit-def: $vgpr4
                                        ; implicit-def: $vgpr2_vgpr3
.LBB94_6983:
	s_andn2_saveexec_b64 s[62:63], s[62:63]
	s_cbranch_execz .LBB94_6993
; %bb.6984:
	v_mov_b32_e32 v5, 5
	v_cmp_gt_i16_sdwa s[64:65], v11, v5 src0_sel:BYTE_0 src1_sel:DWORD
	s_and_saveexec_b64 s[66:67], s[64:65]
	s_xor_b64 s[64:65], exec, s[66:67]
	s_cbranch_execz .LBB94_6990
; %bb.6985:
	v_mov_b32_e32 v5, 6
	v_cmp_gt_i16_sdwa s[66:67], v11, v5 src0_sel:BYTE_0 src1_sel:DWORD
	s_and_saveexec_b64 s[68:69], s[66:67]
	s_xor_b64 s[66:67], exec, s[68:69]
	s_cbranch_execz .LBB94_6987
; %bb.6986:
	v_cvt_f64_f32_e32 v[4:5], v4
	flat_store_dwordx2 v[2:3], v[4:5]
                                        ; implicit-def: $vgpr2_vgpr3
                                        ; implicit-def: $vgpr4
.LBB94_6987:
	s_andn2_saveexec_b64 s[66:67], s[66:67]
	s_cbranch_execz .LBB94_6989
; %bb.6988:
	flat_store_dword v[2:3], v4
.LBB94_6989:
	s_or_b64 exec, exec, s[66:67]
                                        ; implicit-def: $vgpr4
                                        ; implicit-def: $vgpr2_vgpr3
.LBB94_6990:
	s_andn2_saveexec_b64 s[64:65], s[64:65]
	s_cbranch_execz .LBB94_6992
; %bb.6991:
	v_cvt_f16_f32_e32 v4, v4
	flat_store_short v[2:3], v4
.LBB94_6992:
	s_or_b64 exec, exec, s[64:65]
.LBB94_6993:
	s_or_b64 exec, exec, s[62:63]
                                        ; implicit-def: $vgpr4
                                        ; implicit-def: $vgpr2_vgpr3
.LBB94_6994:
	s_andn2_saveexec_b64 s[62:63], vcc
	s_cbranch_execz .LBB94_7012
; %bb.6995:
	v_mov_b32_e32 v5, 1
	v_cmp_gt_i16_sdwa vcc, v11, v5 src0_sel:BYTE_0 src1_sel:DWORD
	s_and_saveexec_b64 s[64:65], vcc
	s_xor_b64 s[64:65], exec, s[64:65]
	s_cbranch_execz .LBB94_7005
; %bb.6996:
	v_mov_b32_e32 v5, 2
	v_cmp_gt_i16_sdwa vcc, v11, v5 src0_sel:BYTE_0 src1_sel:DWORD
	s_and_saveexec_b64 s[66:67], vcc
	s_xor_b64 s[66:67], exec, s[66:67]
	;; [unrolled: 6-line block ×3, first 2 shown]
	s_cbranch_execz .LBB94_6999
; %bb.6998:
	v_trunc_f32_e32 v4, v4
	s_mov_b32 s70, 0x2f800000
	v_mul_f32_e64 v5, |v4|, s70
	v_floor_f32_e32 v5, v5
	s_mov_b32 s70, 0xcf800000
	v_cvt_u32_f32_e32 v39, v5
	v_fma_f32 v5, v5, s70, |v4|
	v_cvt_u32_f32_e32 v5, v5
	v_ashrrev_i32_e32 v48, 31, v4
	v_xor_b32_e32 v39, v39, v48
	v_xor_b32_e32 v4, v5, v48
	v_sub_co_u32_e32 v4, vcc, v4, v48
	v_subb_co_u32_e32 v5, vcc, v39, v48, vcc
	flat_store_dwordx2 v[2:3], v[4:5]
                                        ; implicit-def: $vgpr4
                                        ; implicit-def: $vgpr2_vgpr3
.LBB94_6999:
	s_andn2_saveexec_b64 vcc, s[68:69]
	s_cbranch_execz .LBB94_7001
; %bb.7000:
	v_cvt_i32_f32_e32 v4, v4
	flat_store_dword v[2:3], v4
.LBB94_7001:
	s_or_b64 exec, exec, vcc
                                        ; implicit-def: $vgpr4
                                        ; implicit-def: $vgpr2_vgpr3
.LBB94_7002:
	s_andn2_saveexec_b64 vcc, s[66:67]
	s_cbranch_execz .LBB94_7004
; %bb.7003:
	v_cvt_i32_f32_e32 v4, v4
	flat_store_short v[2:3], v4
.LBB94_7004:
	s_or_b64 exec, exec, vcc
                                        ; implicit-def: $vgpr4
                                        ; implicit-def: $vgpr2_vgpr3
.LBB94_7005:
	s_andn2_saveexec_b64 vcc, s[64:65]
	s_cbranch_execz .LBB94_7011
; %bb.7006:
	v_mov_b32_e32 v5, 0
	v_cmp_gt_i16_sdwa s[64:65], v11, v5 src0_sel:BYTE_0 src1_sel:DWORD
	s_and_saveexec_b64 s[66:67], s[64:65]
	s_xor_b64 s[64:65], exec, s[66:67]
	s_cbranch_execz .LBB94_7008
; %bb.7007:
	v_cvt_i32_f32_e32 v4, v4
	flat_store_byte v[2:3], v4
                                        ; implicit-def: $vgpr4
                                        ; implicit-def: $vgpr2_vgpr3
.LBB94_7008:
	s_andn2_saveexec_b64 s[64:65], s[64:65]
	s_cbranch_execz .LBB94_7010
; %bb.7009:
	v_trunc_f32_e32 v4, v4
	s_mov_b32 s66, 0x2f800000
	v_mul_f32_e64 v5, |v4|, s66
	v_floor_f32_e32 v5, v5
	s_mov_b32 s66, 0xcf800000
	v_fma_f32 v5, v5, s66, |v4|
	v_cvt_u32_f32_e32 v5, v5
	v_ashrrev_i32_e32 v4, 31, v4
	v_xor_b32_e32 v5, v5, v4
	v_sub_u32_e32 v4, v5, v4
	flat_store_byte v[2:3], v4
.LBB94_7010:
	s_or_b64 exec, exec, s[64:65]
.LBB94_7011:
	s_or_b64 exec, exec, vcc
.LBB94_7012:
	s_or_b64 exec, exec, s[62:63]
	s_or_b64 s[6:7], s[6:7], exec
	s_or_b64 exec, exec, s[58:59]
	s_mov_b64 vcc, 0
	s_and_saveexec_b64 s[58:59], s[6:7]
	s_cbranch_execnz .LBB94_4021
	s_branch .LBB94_4022
.LBB94_7013:
	v_bfe_u32 v5, v4, 20, 1
	s_mov_b32 s58, 0x487ffff
	v_add3_u32 v5, v4, v5, s58
	s_mov_b64 s[56:57], exec
	v_lshrrev_b32_e32 v5, 20, v5
                                        ; implicit-def: $vgpr65
	s_or_saveexec_b64 s[58:59], s[4:5]
                                        ; implicit-def: $sgpr60
	s_xor_b64 exec, exec, s[58:59]
	s_cbranch_execz .LBB94_6289
.LBB94_7014:
	v_add_f32_e32 v5, 0x46000000, v65
	v_and_b32_e32 v5, 0xff, v5
	v_cmp_ne_u32_e64 s[4:5], 0, v5
	s_andn2_b64 s[56:57], s[56:57], exec
	s_and_b64 s[4:5], s[4:5], exec
	s_mov_b32 s60, 0
	s_or_b64 s[56:57], s[56:57], s[4:5]
	s_or_b64 exec, exec, s[58:59]
	v_mov_b32_e32 v66, s60
	s_and_saveexec_b64 s[4:5], s[56:57]
	s_cbranch_execnz .LBB94_6290
	s_branch .LBB94_6291
.LBB94_7015:
	v_mov_b32_e32 v5, 25
	v_cmp_gt_i16_sdwa s[4:5], v11, v5 src0_sel:BYTE_0 src1_sel:DWORD
	s_mov_b64 s[66:67], s[58:59]
	s_and_saveexec_b64 s[68:69], s[4:5]
	s_xor_b64 s[68:69], exec, s[68:69]
	s_cbranch_execz .LBB94_7051
; %bb.7016:
	v_mov_b32_e32 v5, 28
	v_cmp_gt_i16_sdwa s[4:5], v11, v5 src0_sel:BYTE_0 src1_sel:DWORD
	s_mov_b64 s[70:71], s[58:59]
	s_and_saveexec_b64 s[66:67], s[4:5]
	s_xor_b64 s[66:67], exec, s[66:67]
	s_cbranch_execz .LBB94_7034
; %bb.7017:
	v_mov_b32_e32 v5, 43
	v_cmp_gt_i16_sdwa s[70:71], v11, v5 src0_sel:BYTE_0 src1_sel:DWORD
	s_mov_b64 s[4:5], 0
	s_mov_b64 s[6:7], s[58:59]
	s_and_saveexec_b64 s[72:73], s[70:71]
	s_xor_b64 s[70:71], exec, s[72:73]
	s_cbranch_execz .LBB94_7029
; %bb.7018:
	v_mov_b32_e32 v5, 45
	v_cmp_gt_i16_sdwa s[4:5], v11, v5 src0_sel:BYTE_0 src1_sel:DWORD
	s_mov_b64 s[72:73], 0
	s_mov_b64 s[74:75], s[58:59]
	s_and_saveexec_b64 s[6:7], s[4:5]
	s_xor_b64 s[6:7], exec, s[6:7]
	s_cbranch_execz .LBB94_7022
; %bb.7019:
	v_mov_b32_e32 v5, 46
	v_cmp_eq_u16_sdwa s[76:77], v11, v5 src0_sel:BYTE_0 src1_sel:DWORD
	s_mov_b64 s[4:5], -1
	s_and_saveexec_b64 s[74:75], s[76:77]
	s_cbranch_execz .LBB94_7021
; %bb.7020:
	v_bfe_u32 v5, v4, 16, 1
	s_movk_i32 s4, 0x7fff
	v_add3_u32 v5, v4, v5, s4
	v_lshrrev_b32_e32 v5, 16, v5
	v_mov_b32_e32 v37, 0x7fc0
	v_cmp_o_f32_e64 s[4:5], v4, v4
	v_cndmask_b32_e64 v4, v37, v5, s[4:5]
	s_mov_b64 s[72:73], exec
	flat_store_dword v[2:3], v4
	s_xor_b64 s[4:5], exec, -1
.LBB94_7021:
	s_or_b64 exec, exec, s[74:75]
	s_andn2_b64 s[74:75], s[58:59], exec
	s_and_b64 s[4:5], s[4:5], exec
	s_or_b64 s[74:75], s[74:75], s[4:5]
	s_and_b64 s[72:73], s[72:73], exec
                                        ; implicit-def: $vgpr2_vgpr3
                                        ; implicit-def: $vgpr4
.LBB94_7022:
	s_andn2_saveexec_b64 s[76:77], s[6:7]
	s_cbranch_execz .LBB94_7028
; %bb.7023:
	v_mov_b32_e32 v5, 44
	v_cmp_eq_u16_sdwa s[80:81], v11, v5 src0_sel:BYTE_0 src1_sel:DWORD
	s_mov_b64 s[6:7], -1
	s_mov_b64 s[4:5], s[72:73]
	s_and_saveexec_b64 s[78:79], s[80:81]
	s_cbranch_execz .LBB94_7027
; %bb.7024:
	v_bfe_u32 v5, v4, 23, 8
	s_movk_i32 s4, 0xff
	v_cmp_ne_u32_e64 s[4:5], s4, v5
	v_mov_b32_e32 v37, 0xff
	s_and_saveexec_b64 s[80:81], s[4:5]
; %bb.7025:
	s_mov_b32 s6, 0x3fffff
	v_lshrrev_b32_e32 v37, 23, v4
	v_and_b32_e32 v38, 0x400000, v4
	v_and_or_b32 v4, v4, s6, v5
	v_cmp_ne_u32_e64 s[4:5], 0, v38
	v_cmp_ne_u32_e64 s[6:7], 0, v4
	s_and_b64 s[4:5], s[4:5], s[6:7]
	v_cndmask_b32_e64 v4, 0, 1, s[4:5]
	v_add_u32_e32 v37, v37, v4
; %bb.7026:
	s_or_b64 exec, exec, s[80:81]
	s_xor_b64 s[6:7], exec, -1
	s_or_b64 s[4:5], s[72:73], exec
	flat_store_byte v[2:3], v37
.LBB94_7027:
	s_or_b64 exec, exec, s[78:79]
	s_andn2_b64 s[74:75], s[74:75], exec
	s_and_b64 s[6:7], s[6:7], exec
	s_or_b64 s[74:75], s[74:75], s[6:7]
	s_andn2_b64 s[6:7], s[72:73], exec
	s_and_b64 s[4:5], s[4:5], exec
	s_or_b64 s[72:73], s[6:7], s[4:5]
.LBB94_7028:
	s_or_b64 exec, exec, s[76:77]
	s_andn2_b64 s[4:5], s[58:59], exec
	s_and_b64 s[6:7], s[74:75], exec
	s_or_b64 s[6:7], s[4:5], s[6:7]
	s_and_b64 s[4:5], s[72:73], exec
                                        ; implicit-def: $vgpr4
                                        ; implicit-def: $vgpr2_vgpr3
.LBB94_7029:
	s_andn2_saveexec_b64 s[70:71], s[70:71]
	s_cbranch_execz .LBB94_7033
; %bb.7030:
	v_mov_b32_e32 v5, 29
	v_cmp_eq_u16_sdwa s[78:79], v11, v5 src0_sel:BYTE_0 src1_sel:DWORD
	s_mov_b64 s[76:77], -1
	s_mov_b64 s[74:75], s[4:5]
	s_and_saveexec_b64 s[72:73], s[78:79]
	s_cbranch_execz .LBB94_7032
; %bb.7031:
	v_trunc_f32_e32 v4, v4
	v_mul_f32_e32 v5, 0x2f800000, v4
	v_floor_f32_e32 v37, v5
	v_fmac_f32_e32 v4, 0xcf800000, v37
	v_cvt_u32_f32_e32 v5, v37
	v_cvt_u32_f32_e32 v4, v4
	s_xor_b64 s[76:77], exec, -1
	s_or_b64 s[74:75], s[4:5], exec
	flat_store_dwordx2 v[2:3], v[4:5]
.LBB94_7032:
	s_or_b64 exec, exec, s[72:73]
	s_andn2_b64 s[6:7], s[6:7], exec
	s_and_b64 s[72:73], s[76:77], exec
	s_or_b64 s[6:7], s[6:7], s[72:73]
	s_andn2_b64 s[4:5], s[4:5], exec
	s_and_b64 s[72:73], s[74:75], exec
	s_or_b64 s[4:5], s[4:5], s[72:73]
.LBB94_7033:
	s_or_b64 exec, exec, s[70:71]
	s_andn2_b64 s[70:71], s[58:59], exec
	s_and_b64 s[6:7], s[6:7], exec
	s_or_b64 s[70:71], s[70:71], s[6:7]
	s_and_b64 s[6:7], s[4:5], exec
                                        ; implicit-def: $vgpr2_vgpr3
                                        ; implicit-def: $vgpr37
                                        ; implicit-def: $vgpr4
.LBB94_7034:
	s_andn2_saveexec_b64 s[66:67], s[66:67]
	s_cbranch_execz .LBB94_7050
; %bb.7035:
	v_mov_b32_e32 v5, 26
	v_cmp_gt_i16_sdwa s[4:5], v11, v5 src0_sel:BYTE_0 src1_sel:DWORD
	s_and_saveexec_b64 s[72:73], s[4:5]
	s_xor_b64 s[4:5], exec, s[72:73]
	s_cbranch_execz .LBB94_7041
; %bb.7036:
	v_cvt_u32_f32_e32 v4, v4
	v_mov_b32_e32 v5, 27
	v_cmp_gt_i16_sdwa s[72:73], v11, v5 src0_sel:BYTE_0 src1_sel:DWORD
	s_and_saveexec_b64 s[74:75], s[72:73]
	s_xor_b64 s[72:73], exec, s[74:75]
	s_cbranch_execz .LBB94_7038
; %bb.7037:
	flat_store_dword v[2:3], v4
                                        ; implicit-def: $vgpr2_vgpr3
                                        ; implicit-def: $vgpr4
.LBB94_7038:
	s_andn2_saveexec_b64 s[72:73], s[72:73]
	s_cbranch_execz .LBB94_7040
; %bb.7039:
	flat_store_short v[2:3], v4
.LBB94_7040:
	s_or_b64 exec, exec, s[72:73]
                                        ; implicit-def: $vgpr2_vgpr3
                                        ; implicit-def: $vgpr37
                                        ; implicit-def: $vgpr4
.LBB94_7041:
	s_andn2_saveexec_b64 s[72:73], s[4:5]
	s_cbranch_execz .LBB94_7049
; %bb.7042:
	v_cndmask_b32_e64 v37, |v0|, |v37|, vcc
	s_mov_b32 s4, 0x43800000
	v_cmp_gt_u32_e64 s[4:5], s4, v37
	v_mov_b32_e32 v38, 0x80
	s_and_saveexec_b64 s[74:75], s[4:5]
	s_cbranch_execz .LBB94_7048
; %bb.7043:
	s_mov_b32 s4, 0x3bffffff
	v_cmp_lt_u32_e64 s[4:5], s4, v37
	s_mov_b64 s[76:77], 0
                                        ; implicit-def: $vgpr5
	s_and_saveexec_b64 s[78:79], s[4:5]
	s_xor_b64 s[4:5], exec, s[78:79]
	s_cbranch_execnz .LBB94_7773
; %bb.7044:
	s_or_saveexec_b64 s[78:79], s[4:5]
                                        ; implicit-def: $sgpr80
	s_xor_b64 exec, exec, s[78:79]
	s_cbranch_execnz .LBB94_7774
.LBB94_7045:
	s_or_b64 exec, exec, s[78:79]
	v_mov_b32_e32 v38, s80
	s_and_saveexec_b64 s[4:5], s[76:77]
.LBB94_7046:
	v_lshrrev_b32_e32 v4, 24, v4
	s_movk_i32 s76, 0x80
	v_and_or_b32 v38, v4, s76, v5
.LBB94_7047:
	s_or_b64 exec, exec, s[4:5]
.LBB94_7048:
	s_or_b64 exec, exec, s[74:75]
	flat_store_byte v[2:3], v38
.LBB94_7049:
	s_or_b64 exec, exec, s[72:73]
	s_or_b64 s[6:7], s[6:7], exec
.LBB94_7050:
	s_or_b64 exec, exec, s[66:67]
	s_andn2_b64 s[4:5], s[58:59], exec
	s_and_b64 s[66:67], s[70:71], exec
	s_or_b64 s[66:67], s[4:5], s[66:67]
	s_and_b64 s[6:7], s[6:7], exec
                                        ; implicit-def: $vgpr4
                                        ; implicit-def: $vgpr2_vgpr3
                                        ; implicit-def: $vgpr37
.LBB94_7051:
	s_andn2_saveexec_b64 s[68:69], s[68:69]
	s_cbranch_execz .LBB94_7095
; %bb.7052:
	v_mov_b32_e32 v5, 22
	v_cmp_gt_i16_sdwa s[70:71], v11, v5 src0_sel:BYTE_0 src1_sel:DWORD
	s_mov_b64 s[4:5], s[6:7]
	s_and_saveexec_b64 s[72:73], s[70:71]
	s_xor_b64 s[70:71], exec, s[72:73]
	s_cbranch_execz .LBB94_7084
; %bb.7053:
	v_mov_b32_e32 v5, 23
	v_cmp_gt_i16_sdwa s[4:5], v11, v5 src0_sel:BYTE_0 src1_sel:DWORD
	s_and_saveexec_b64 s[72:73], s[4:5]
	s_xor_b64 s[72:73], exec, s[72:73]
	s_cbranch_execz .LBB94_7073
; %bb.7054:
	v_mov_b32_e32 v5, 24
	v_cmp_gt_i16_sdwa s[4:5], v11, v5 src0_sel:BYTE_0 src1_sel:DWORD
	s_and_saveexec_b64 s[74:75], s[4:5]
	s_xor_b64 s[74:75], exec, s[74:75]
	s_cbranch_execz .LBB94_7062
; %bb.7055:
	v_cndmask_b32_e64 v37, |v0|, |v37|, vcc
	s_mov_b32 s4, 0x47800000
	v_cmp_gt_u32_e64 s[4:5], s4, v37
	v_mov_b32_e32 v38, 0x80
	s_and_saveexec_b64 s[76:77], s[4:5]
	s_cbranch_execz .LBB94_7061
; %bb.7056:
	s_mov_b32 s4, 0x37ffffff
	v_cmp_lt_u32_e64 s[4:5], s4, v37
	s_mov_b64 s[78:79], 0
                                        ; implicit-def: $vgpr5
	s_and_saveexec_b64 s[80:81], s[4:5]
	s_xor_b64 s[4:5], exec, s[80:81]
	s_cbranch_execnz .LBB94_7897
; %bb.7057:
	s_or_saveexec_b64 s[80:81], s[4:5]
                                        ; implicit-def: $sgpr82
	s_xor_b64 exec, exec, s[80:81]
	s_cbranch_execnz .LBB94_7898
.LBB94_7058:
	s_or_b64 exec, exec, s[80:81]
	v_mov_b32_e32 v38, s82
	s_and_saveexec_b64 s[4:5], s[78:79]
.LBB94_7059:
	v_lshrrev_b32_e32 v4, 24, v4
	s_movk_i32 s78, 0x80
	v_and_or_b32 v38, v4, s78, v5
.LBB94_7060:
	s_or_b64 exec, exec, s[4:5]
.LBB94_7061:
	s_or_b64 exec, exec, s[76:77]
	flat_store_byte v[2:3], v38
                                        ; implicit-def: $vgpr4
                                        ; implicit-def: $vgpr2_vgpr3
                                        ; implicit-def: $vgpr37
.LBB94_7062:
	s_andn2_saveexec_b64 s[74:75], s[74:75]
	s_cbranch_execz .LBB94_7072
; %bb.7063:
	v_cndmask_b32_e64 v37, |v0|, |v37|, vcc
	s_mov_b32 s4, 0x43f00000
	v_cmp_gt_u32_e64 s[4:5], s4, v37
                                        ; implicit-def: $vgpr5
	s_and_saveexec_b64 s[76:77], s[4:5]
	s_xor_b64 s[76:77], exec, s[76:77]
	s_cbranch_execz .LBB94_7069
; %bb.7064:
	s_mov_b32 s4, 0x3c7fffff
	v_cmp_lt_u32_e64 s[4:5], s4, v37
                                        ; implicit-def: $vgpr5
	s_and_saveexec_b64 s[78:79], s[4:5]
	s_xor_b64 s[78:79], exec, s[78:79]
; %bb.7065:
	v_bfe_u32 v5, v4, 20, 1
	s_mov_b32 s4, 0x407ffff
	v_add3_u32 v5, v4, v5, s4
	v_lshrrev_b32_e32 v37, 20, v5
	v_and_b32_e32 v5, 0xff00000, v5
	s_mov_b32 s4, 0x7f00000
	v_mov_b32_e32 v38, 0x7e
	v_cmp_ne_u32_e64 s[4:5], s4, v5
	v_cndmask_b32_e64 v5, v38, v37, s[4:5]
                                        ; implicit-def: $vgpr37
; %bb.7066:
	s_andn2_saveexec_b64 s[4:5], s[78:79]
; %bb.7067:
	v_add_f32_e32 v5, 0x46800000, v37
; %bb.7068:
	s_or_b64 exec, exec, s[4:5]
                                        ; implicit-def: $vgpr37
.LBB94_7069:
	s_andn2_saveexec_b64 s[76:77], s[76:77]
; %bb.7070:
	s_mov_b32 s4, 0x7f800000
	v_mov_b32_e32 v5, 0x7e
	v_mov_b32_e32 v38, 0x7f
	v_cmp_lt_u32_e64 s[4:5], s4, v37
	v_cndmask_b32_e64 v5, v5, v38, s[4:5]
; %bb.7071:
	s_or_b64 exec, exec, s[76:77]
	v_lshrrev_b32_e32 v4, 24, v4
	s_movk_i32 s4, 0x80
	v_and_or_b32 v4, v4, s4, v5
	flat_store_byte v[2:3], v4
.LBB94_7072:
	s_or_b64 exec, exec, s[74:75]
                                        ; implicit-def: $vgpr4
                                        ; implicit-def: $vgpr2_vgpr3
                                        ; implicit-def: $vgpr37
.LBB94_7073:
	s_andn2_saveexec_b64 s[4:5], s[72:73]
	s_cbranch_execz .LBB94_7083
; %bb.7074:
	v_cndmask_b32_e64 v37, |v0|, |v37|, vcc
	s_mov_b32 vcc_lo, 0x47800000
	v_cmp_gt_u32_e32 vcc, vcc_lo, v37
                                        ; implicit-def: $vgpr5
	s_and_saveexec_b64 s[72:73], vcc
	s_xor_b64 s[72:73], exec, s[72:73]
	s_cbranch_execz .LBB94_7080
; %bb.7075:
	s_mov_b32 vcc_lo, 0x387fffff
	v_cmp_lt_u32_e32 vcc, vcc_lo, v37
                                        ; implicit-def: $vgpr5
	s_and_saveexec_b64 s[74:75], vcc
	s_xor_b64 vcc, exec, s[74:75]
; %bb.7076:
	v_bfe_u32 v5, v4, 21, 1
	s_mov_b32 s74, 0x80fffff
	v_add3_u32 v5, v4, v5, s74
	v_lshrrev_b32_e32 v5, 21, v5
                                        ; implicit-def: $vgpr37
; %bb.7077:
	s_andn2_saveexec_b64 vcc, vcc
; %bb.7078:
	v_add_f32_e32 v5, 0x43000000, v37
; %bb.7079:
	s_or_b64 exec, exec, vcc
                                        ; implicit-def: $vgpr37
.LBB94_7080:
	s_andn2_saveexec_b64 s[72:73], s[72:73]
; %bb.7081:
	s_mov_b32 vcc_lo, 0x7f800000
	v_mov_b32_e32 v5, 0x7c
	v_mov_b32_e32 v38, 0x7f
	v_cmp_lt_u32_e32 vcc, vcc_lo, v37
	v_cndmask_b32_e32 v5, v5, v38, vcc
; %bb.7082:
	s_or_b64 exec, exec, s[72:73]
	v_lshrrev_b32_e32 v4, 24, v4
	s_movk_i32 vcc_lo, 0x80
	v_and_or_b32 v4, v4, vcc_lo, v5
	flat_store_byte v[2:3], v4
.LBB94_7083:
	s_or_b64 exec, exec, s[4:5]
	s_or_b64 s[4:5], s[6:7], exec
                                        ; implicit-def: $vgpr4
                                        ; implicit-def: $vgpr2_vgpr3
.LBB94_7084:
	s_or_saveexec_b64 s[70:71], s[70:71]
	s_mov_b64 vcc, s[66:67]
	s_xor_b64 exec, exec, s[70:71]
	s_cbranch_execz .LBB94_7094
; %bb.7085:
	v_mov_b32_e32 v5, 14
	v_cmp_gt_i16_sdwa vcc, v11, v5 src0_sel:BYTE_0 src1_sel:DWORD
	s_mov_b64 s[72:73], s[4:5]
	s_mov_b64 s[74:75], s[66:67]
	s_and_saveexec_b64 s[76:77], vcc
	s_xor_b64 s[76:77], exec, s[76:77]
	s_cbranch_execz .LBB94_7089
; %bb.7086:
	v_mov_b32_e32 v5, 15
	v_cmp_eq_u16_sdwa s[78:79], v11, v5 src0_sel:BYTE_0 src1_sel:DWORD
	s_mov_b64 s[74:75], -1
	s_mov_b64 vcc, s[4:5]
	s_and_saveexec_b64 s[72:73], s[78:79]
	s_cbranch_execz .LBB94_7088
; %bb.7087:
	v_bfe_u32 v5, v4, 16, 1
	s_movk_i32 vcc_lo, 0x7fff
	v_add3_u32 v5, v4, v5, vcc_lo
	v_lshrrev_b32_e32 v5, 16, v5
	v_mov_b32_e32 v37, 0x7fc0
	v_cmp_o_f32_e32 vcc, v4, v4
	v_cndmask_b32_e32 v4, v37, v5, vcc
	flat_store_short v[2:3], v4
	s_xor_b64 s[74:75], exec, -1
	s_or_b64 vcc, s[4:5], exec
.LBB94_7088:
	s_or_b64 exec, exec, s[72:73]
	s_andn2_b64 s[72:73], s[66:67], exec
	s_and_b64 s[74:75], s[74:75], exec
	s_or_b64 s[74:75], s[72:73], s[74:75]
	s_andn2_b64 s[72:73], s[4:5], exec
	s_and_b64 vcc, vcc, exec
	s_or_b64 s[72:73], s[72:73], vcc
                                        ; implicit-def: $vgpr4
                                        ; implicit-def: $vgpr2_vgpr3
.LBB94_7089:
	s_andn2_saveexec_b64 s[76:77], s[76:77]
	s_cbranch_execz .LBB94_7093
; %bb.7090:
	v_mov_b32_e32 v5, 11
	v_cmp_eq_u16_sdwa s[82:83], v11, v5 src0_sel:BYTE_0 src1_sel:DWORD
	s_mov_b64 s[78:79], -1
	s_mov_b64 vcc, s[72:73]
	s_and_saveexec_b64 s[80:81], s[82:83]
	s_cbranch_execz .LBB94_7092
; %bb.7091:
	v_cmp_neq_f32_e32 vcc, 0, v4
	v_cndmask_b32_e64 v4, 0, 1, vcc
	flat_store_byte v[2:3], v4
	s_xor_b64 s[78:79], exec, -1
	s_or_b64 vcc, s[72:73], exec
.LBB94_7092:
	s_or_b64 exec, exec, s[80:81]
	s_andn2_b64 s[74:75], s[74:75], exec
	s_and_b64 s[78:79], s[78:79], exec
	s_andn2_b64 s[72:73], s[72:73], exec
	s_and_b64 vcc, vcc, exec
	s_or_b64 s[74:75], s[74:75], s[78:79]
	s_or_b64 s[72:73], s[72:73], vcc
.LBB94_7093:
	s_or_b64 exec, exec, s[76:77]
	s_andn2_b64 vcc, s[66:67], exec
	s_and_b64 s[74:75], s[74:75], exec
	s_andn2_b64 s[4:5], s[4:5], exec
	s_and_b64 s[72:73], s[72:73], exec
	s_or_b64 vcc, vcc, s[74:75]
	s_or_b64 s[4:5], s[4:5], s[72:73]
.LBB94_7094:
	s_or_b64 exec, exec, s[70:71]
	s_andn2_b64 s[66:67], s[66:67], exec
	s_and_b64 vcc, vcc, exec
	s_andn2_b64 s[6:7], s[6:7], exec
	s_and_b64 s[4:5], s[4:5], exec
	s_or_b64 s[66:67], s[66:67], vcc
	s_or_b64 s[6:7], s[6:7], s[4:5]
.LBB94_7095:
	s_or_b64 exec, exec, s[68:69]
	s_andn2_b64 s[4:5], s[58:59], exec
	s_and_b64 vcc, s[66:67], exec
	s_or_b64 s[4:5], s[4:5], vcc
	s_and_b64 s[6:7], s[6:7], exec
                                        ; implicit-def: $vgpr4
                                        ; implicit-def: $vgpr2_vgpr3
	s_andn2_saveexec_b64 s[62:63], s[62:63]
	s_cbranch_execz .LBB94_4027
.LBB94_7096:
	v_mov_b32_e32 v5, 4
	v_cmp_gt_i16_sdwa vcc, v11, v5 src0_sel:BYTE_0 src1_sel:DWORD
	s_and_saveexec_b64 s[66:67], vcc
	s_xor_b64 vcc, exec, s[66:67]
	s_cbranch_execz .LBB94_7118
; %bb.7097:
	v_mov_b32_e32 v5, 7
	v_cmp_gt_i16_sdwa s[66:67], v11, v5 src0_sel:BYTE_0 src1_sel:DWORD
	s_and_saveexec_b64 s[68:69], s[66:67]
	s_xor_b64 s[66:67], exec, s[68:69]
	s_cbranch_execz .LBB94_7107
; %bb.7098:
	v_mov_b32_e32 v5, 8
	v_cmp_gt_i16_sdwa s[68:69], v11, v5 src0_sel:BYTE_0 src1_sel:DWORD
	s_and_saveexec_b64 s[70:71], s[68:69]
	s_xor_b64 s[68:69], exec, s[70:71]
	;; [unrolled: 6-line block ×3, first 2 shown]
	s_cbranch_execz .LBB94_7101
; %bb.7100:
	v_mov_b32_e32 v50, 0
	v_cvt_f64_f32_e32 v[48:49], v4
	v_mov_b32_e32 v51, v50
	flat_store_dwordx4 v[2:3], v[48:51]
                                        ; implicit-def: $vgpr4
                                        ; implicit-def: $vgpr2_vgpr3
.LBB94_7101:
	s_andn2_saveexec_b64 s[70:71], s[70:71]
	s_cbranch_execz .LBB94_7103
; %bb.7102:
	v_mov_b32_e32 v5, 0
	flat_store_dwordx2 v[2:3], v[4:5]
.LBB94_7103:
	s_or_b64 exec, exec, s[70:71]
                                        ; implicit-def: $vgpr4
                                        ; implicit-def: $vgpr2_vgpr3
.LBB94_7104:
	s_andn2_saveexec_b64 s[68:69], s[68:69]
	s_cbranch_execz .LBB94_7106
; %bb.7105:
	v_cvt_f16_f32_e32 v4, v4
	flat_store_dword v[2:3], v4
.LBB94_7106:
	s_or_b64 exec, exec, s[68:69]
                                        ; implicit-def: $vgpr4
                                        ; implicit-def: $vgpr2_vgpr3
.LBB94_7107:
	s_andn2_saveexec_b64 s[66:67], s[66:67]
	s_cbranch_execz .LBB94_7117
; %bb.7108:
	v_mov_b32_e32 v5, 5
	v_cmp_gt_i16_sdwa s[68:69], v11, v5 src0_sel:BYTE_0 src1_sel:DWORD
	s_and_saveexec_b64 s[70:71], s[68:69]
	s_xor_b64 s[68:69], exec, s[70:71]
	s_cbranch_execz .LBB94_7114
; %bb.7109:
	v_mov_b32_e32 v5, 6
	v_cmp_gt_i16_sdwa s[70:71], v11, v5 src0_sel:BYTE_0 src1_sel:DWORD
	s_and_saveexec_b64 s[72:73], s[70:71]
	s_xor_b64 s[70:71], exec, s[72:73]
	s_cbranch_execz .LBB94_7111
; %bb.7110:
	v_cvt_f64_f32_e32 v[4:5], v4
	flat_store_dwordx2 v[2:3], v[4:5]
                                        ; implicit-def: $vgpr2_vgpr3
                                        ; implicit-def: $vgpr4
.LBB94_7111:
	s_andn2_saveexec_b64 s[70:71], s[70:71]
	s_cbranch_execz .LBB94_7113
; %bb.7112:
	flat_store_dword v[2:3], v4
.LBB94_7113:
	s_or_b64 exec, exec, s[70:71]
                                        ; implicit-def: $vgpr4
                                        ; implicit-def: $vgpr2_vgpr3
.LBB94_7114:
	s_andn2_saveexec_b64 s[68:69], s[68:69]
	s_cbranch_execz .LBB94_7116
; %bb.7115:
	v_cvt_f16_f32_e32 v4, v4
	flat_store_short v[2:3], v4
.LBB94_7116:
	s_or_b64 exec, exec, s[68:69]
.LBB94_7117:
	s_or_b64 exec, exec, s[66:67]
                                        ; implicit-def: $vgpr4
                                        ; implicit-def: $vgpr2_vgpr3
.LBB94_7118:
	s_andn2_saveexec_b64 s[66:67], vcc
	s_cbranch_execz .LBB94_7136
; %bb.7119:
	v_mov_b32_e32 v5, 1
	v_cmp_gt_i16_sdwa vcc, v11, v5 src0_sel:BYTE_0 src1_sel:DWORD
	s_and_saveexec_b64 s[68:69], vcc
	s_xor_b64 s[68:69], exec, s[68:69]
	s_cbranch_execz .LBB94_7129
; %bb.7120:
	v_mov_b32_e32 v5, 2
	v_cmp_gt_i16_sdwa vcc, v11, v5 src0_sel:BYTE_0 src1_sel:DWORD
	s_and_saveexec_b64 s[70:71], vcc
	s_xor_b64 s[70:71], exec, s[70:71]
	s_cbranch_execz .LBB94_7126
; %bb.7121:
	v_mov_b32_e32 v5, 3
	v_cmp_gt_i16_sdwa vcc, v11, v5 src0_sel:BYTE_0 src1_sel:DWORD
	s_and_saveexec_b64 s[72:73], vcc
	s_xor_b64 s[72:73], exec, s[72:73]
	s_cbranch_execz .LBB94_7123
; %bb.7122:
	v_trunc_f32_e32 v4, v4
	s_mov_b32 s74, 0x2f800000
	v_mul_f32_e64 v5, |v4|, s74
	v_floor_f32_e32 v5, v5
	s_mov_b32 s74, 0xcf800000
	v_cvt_u32_f32_e32 v37, v5
	v_fma_f32 v5, v5, s74, |v4|
	v_cvt_u32_f32_e32 v5, v5
	v_ashrrev_i32_e32 v38, 31, v4
	v_xor_b32_e32 v37, v37, v38
	v_xor_b32_e32 v4, v5, v38
	v_sub_co_u32_e32 v4, vcc, v4, v38
	v_subb_co_u32_e32 v5, vcc, v37, v38, vcc
	flat_store_dwordx2 v[2:3], v[4:5]
                                        ; implicit-def: $vgpr4
                                        ; implicit-def: $vgpr2_vgpr3
.LBB94_7123:
	s_andn2_saveexec_b64 vcc, s[72:73]
	s_cbranch_execz .LBB94_7125
; %bb.7124:
	v_cvt_i32_f32_e32 v4, v4
	flat_store_dword v[2:3], v4
.LBB94_7125:
	s_or_b64 exec, exec, vcc
                                        ; implicit-def: $vgpr4
                                        ; implicit-def: $vgpr2_vgpr3
.LBB94_7126:
	s_andn2_saveexec_b64 vcc, s[70:71]
	s_cbranch_execz .LBB94_7128
; %bb.7127:
	v_cvt_i32_f32_e32 v4, v4
	flat_store_short v[2:3], v4
.LBB94_7128:
	s_or_b64 exec, exec, vcc
                                        ; implicit-def: $vgpr4
                                        ; implicit-def: $vgpr2_vgpr3
.LBB94_7129:
	s_andn2_saveexec_b64 vcc, s[68:69]
	s_cbranch_execz .LBB94_7135
; %bb.7130:
	v_mov_b32_e32 v5, 0
	v_cmp_gt_i16_sdwa s[68:69], v11, v5 src0_sel:BYTE_0 src1_sel:DWORD
	s_and_saveexec_b64 s[70:71], s[68:69]
	s_xor_b64 s[68:69], exec, s[70:71]
	s_cbranch_execz .LBB94_7132
; %bb.7131:
	v_cvt_i32_f32_e32 v4, v4
	flat_store_byte v[2:3], v4
                                        ; implicit-def: $vgpr4
                                        ; implicit-def: $vgpr2_vgpr3
.LBB94_7132:
	s_andn2_saveexec_b64 s[68:69], s[68:69]
	s_cbranch_execz .LBB94_7134
; %bb.7133:
	v_trunc_f32_e32 v4, v4
	s_mov_b32 s70, 0x2f800000
	v_mul_f32_e64 v5, |v4|, s70
	v_floor_f32_e32 v5, v5
	s_mov_b32 s70, 0xcf800000
	v_fma_f32 v5, v5, s70, |v4|
	v_cvt_u32_f32_e32 v5, v5
	v_ashrrev_i32_e32 v4, 31, v4
	v_xor_b32_e32 v5, v5, v4
	v_sub_u32_e32 v4, v5, v4
	flat_store_byte v[2:3], v4
.LBB94_7134:
	s_or_b64 exec, exec, s[68:69]
.LBB94_7135:
	s_or_b64 exec, exec, vcc
.LBB94_7136:
	s_or_b64 exec, exec, s[66:67]
	s_or_b64 s[6:7], s[6:7], exec
	s_or_b64 exec, exec, s[62:63]
	s_mov_b64 vcc, 0
	s_and_saveexec_b64 s[62:63], s[6:7]
	s_cbranch_execnz .LBB94_4028
	s_branch .LBB94_4029
.LBB94_7137:
	v_bfe_u32 v5, v4, 21, 1
	s_mov_b32 s60, 0x88fffff
	v_add3_u32 v5, v4, v5, s60
	s_mov_b64 s[58:59], exec
	v_lshrrev_b32_e32 v5, 21, v5
                                        ; implicit-def: $vgpr65
	s_or_saveexec_b64 s[60:61], s[4:5]
                                        ; implicit-def: $sgpr62
	s_xor_b64 exec, exec, s[60:61]
	s_cbranch_execz .LBB94_6302
.LBB94_7138:
	v_add_f32_e32 v5, 0x42800000, v65
	v_and_b32_e32 v5, 0xff, v5
	v_cmp_ne_u32_e64 s[4:5], 0, v5
	s_andn2_b64 s[58:59], s[58:59], exec
	s_and_b64 s[4:5], s[4:5], exec
	s_mov_b32 s62, 0
	s_or_b64 s[58:59], s[58:59], s[4:5]
	s_or_b64 exec, exec, s[60:61]
	v_mov_b32_e32 v66, s62
	s_and_saveexec_b64 s[4:5], s[58:59]
	s_cbranch_execnz .LBB94_6303
	s_branch .LBB94_6304
.LBB94_7139:
	v_bfe_u32 v5, v4, 20, 1
	s_mov_b32 s58, 0x487ffff
	v_add3_u32 v5, v4, v5, s58
	s_mov_b64 s[56:57], exec
	v_lshrrev_b32_e32 v5, 20, v5
                                        ; implicit-def: $vgpr55
	s_or_saveexec_b64 s[58:59], s[4:5]
                                        ; implicit-def: $sgpr60
	s_xor_b64 exec, exec, s[58:59]
	s_cbranch_execz .LBB94_6415
.LBB94_7140:
	v_add_f32_e32 v5, 0x46000000, v55
	v_and_b32_e32 v5, 0xff, v5
	v_cmp_ne_u32_e64 s[4:5], 0, v5
	s_andn2_b64 s[56:57], s[56:57], exec
	s_and_b64 s[4:5], s[4:5], exec
	s_mov_b32 s60, 0
	s_or_b64 s[56:57], s[56:57], s[4:5]
	s_or_b64 exec, exec, s[58:59]
	v_mov_b32_e32 v64, s60
	s_and_saveexec_b64 s[4:5], s[56:57]
	s_cbranch_execnz .LBB94_6416
	s_branch .LBB94_6417
.LBB94_7141:
	v_mov_b32_e32 v5, 25
	v_cmp_gt_i16_sdwa s[4:5], v11, v5 src0_sel:BYTE_0 src1_sel:DWORD
	s_mov_b64 s[70:71], s[62:63]
	s_and_saveexec_b64 s[72:73], s[4:5]
	s_xor_b64 s[72:73], exec, s[72:73]
	s_cbranch_execz .LBB94_7177
; %bb.7142:
	v_mov_b32_e32 v5, 28
	v_cmp_gt_i16_sdwa s[4:5], v11, v5 src0_sel:BYTE_0 src1_sel:DWORD
	s_mov_b64 s[74:75], s[62:63]
	s_and_saveexec_b64 s[70:71], s[4:5]
	s_xor_b64 s[70:71], exec, s[70:71]
	s_cbranch_execz .LBB94_7160
; %bb.7143:
	v_mov_b32_e32 v5, 43
	v_cmp_gt_i16_sdwa s[74:75], v11, v5 src0_sel:BYTE_0 src1_sel:DWORD
	s_mov_b64 s[4:5], 0
	s_mov_b64 s[6:7], s[62:63]
	s_and_saveexec_b64 s[76:77], s[74:75]
	s_xor_b64 s[74:75], exec, s[76:77]
	s_cbranch_execz .LBB94_7155
; %bb.7144:
	v_mov_b32_e32 v5, 45
	v_cmp_gt_i16_sdwa s[4:5], v11, v5 src0_sel:BYTE_0 src1_sel:DWORD
	s_mov_b64 s[76:77], 0
	s_mov_b64 s[78:79], s[62:63]
	s_and_saveexec_b64 s[6:7], s[4:5]
	s_xor_b64 s[6:7], exec, s[6:7]
	s_cbranch_execz .LBB94_7148
; %bb.7145:
	v_mov_b32_e32 v5, 46
	v_cmp_eq_u16_sdwa s[80:81], v11, v5 src0_sel:BYTE_0 src1_sel:DWORD
	s_mov_b64 s[4:5], -1
	s_and_saveexec_b64 s[78:79], s[80:81]
	s_cbranch_execz .LBB94_7147
; %bb.7146:
	v_bfe_u32 v5, v4, 16, 1
	s_movk_i32 s4, 0x7fff
	v_add3_u32 v5, v4, v5, s4
	v_lshrrev_b32_e32 v5, 16, v5
	v_mov_b32_e32 v35, 0x7fc0
	v_cmp_o_f32_e64 s[4:5], v4, v4
	v_cndmask_b32_e64 v4, v35, v5, s[4:5]
	s_mov_b64 s[76:77], exec
	flat_store_dword v[2:3], v4
	s_xor_b64 s[4:5], exec, -1
.LBB94_7147:
	s_or_b64 exec, exec, s[78:79]
	s_andn2_b64 s[78:79], s[62:63], exec
	s_and_b64 s[4:5], s[4:5], exec
	s_or_b64 s[78:79], s[78:79], s[4:5]
	s_and_b64 s[76:77], s[76:77], exec
                                        ; implicit-def: $vgpr2_vgpr3
                                        ; implicit-def: $vgpr4
.LBB94_7148:
	s_andn2_saveexec_b64 s[80:81], s[6:7]
	s_cbranch_execz .LBB94_7154
; %bb.7149:
	v_mov_b32_e32 v5, 44
	v_cmp_eq_u16_sdwa s[84:85], v11, v5 src0_sel:BYTE_0 src1_sel:DWORD
	s_mov_b64 s[6:7], -1
	s_mov_b64 s[4:5], s[76:77]
	s_and_saveexec_b64 s[82:83], s[84:85]
	s_cbranch_execz .LBB94_7153
; %bb.7150:
	v_bfe_u32 v5, v4, 23, 8
	s_movk_i32 s4, 0xff
	v_cmp_ne_u32_e64 s[4:5], s4, v5
	v_mov_b32_e32 v35, 0xff
	s_and_saveexec_b64 s[84:85], s[4:5]
; %bb.7151:
	s_mov_b32 s6, 0x3fffff
	v_lshrrev_b32_e32 v35, 23, v4
	v_and_b32_e32 v36, 0x400000, v4
	v_and_or_b32 v4, v4, s6, v5
	v_cmp_ne_u32_e64 s[4:5], 0, v36
	v_cmp_ne_u32_e64 s[6:7], 0, v4
	s_and_b64 s[4:5], s[4:5], s[6:7]
	v_cndmask_b32_e64 v4, 0, 1, s[4:5]
	v_add_u32_e32 v35, v35, v4
; %bb.7152:
	s_or_b64 exec, exec, s[84:85]
	s_xor_b64 s[6:7], exec, -1
	s_or_b64 s[4:5], s[76:77], exec
	flat_store_byte v[2:3], v35
.LBB94_7153:
	s_or_b64 exec, exec, s[82:83]
	s_andn2_b64 s[78:79], s[78:79], exec
	s_and_b64 s[6:7], s[6:7], exec
	s_or_b64 s[78:79], s[78:79], s[6:7]
	s_andn2_b64 s[6:7], s[76:77], exec
	s_and_b64 s[4:5], s[4:5], exec
	s_or_b64 s[76:77], s[6:7], s[4:5]
.LBB94_7154:
	s_or_b64 exec, exec, s[80:81]
	s_andn2_b64 s[4:5], s[62:63], exec
	s_and_b64 s[6:7], s[78:79], exec
	s_or_b64 s[6:7], s[4:5], s[6:7]
	s_and_b64 s[4:5], s[76:77], exec
                                        ; implicit-def: $vgpr4
                                        ; implicit-def: $vgpr2_vgpr3
.LBB94_7155:
	s_andn2_saveexec_b64 s[74:75], s[74:75]
	s_cbranch_execz .LBB94_7159
; %bb.7156:
	v_mov_b32_e32 v5, 29
	v_cmp_eq_u16_sdwa s[82:83], v11, v5 src0_sel:BYTE_0 src1_sel:DWORD
	s_mov_b64 s[80:81], -1
	s_mov_b64 s[78:79], s[4:5]
	s_and_saveexec_b64 s[76:77], s[82:83]
	s_cbranch_execz .LBB94_7158
; %bb.7157:
	v_trunc_f32_e32 v4, v4
	v_mul_f32_e32 v5, 0x2f800000, v4
	v_floor_f32_e32 v35, v5
	v_fmac_f32_e32 v4, 0xcf800000, v35
	v_cvt_u32_f32_e32 v5, v35
	v_cvt_u32_f32_e32 v4, v4
	s_xor_b64 s[80:81], exec, -1
	s_or_b64 s[78:79], s[4:5], exec
	flat_store_dwordx2 v[2:3], v[4:5]
.LBB94_7158:
	s_or_b64 exec, exec, s[76:77]
	s_andn2_b64 s[6:7], s[6:7], exec
	s_and_b64 s[76:77], s[80:81], exec
	s_or_b64 s[6:7], s[6:7], s[76:77]
	s_andn2_b64 s[4:5], s[4:5], exec
	s_and_b64 s[76:77], s[78:79], exec
	s_or_b64 s[4:5], s[4:5], s[76:77]
.LBB94_7159:
	s_or_b64 exec, exec, s[74:75]
	s_andn2_b64 s[74:75], s[62:63], exec
	s_and_b64 s[6:7], s[6:7], exec
	s_or_b64 s[74:75], s[74:75], s[6:7]
	s_and_b64 s[6:7], s[4:5], exec
                                        ; implicit-def: $vgpr2_vgpr3
                                        ; implicit-def: $vgpr35
                                        ; implicit-def: $vgpr4
.LBB94_7160:
	s_andn2_saveexec_b64 s[70:71], s[70:71]
	s_cbranch_execz .LBB94_7176
; %bb.7161:
	v_mov_b32_e32 v5, 26
	v_cmp_gt_i16_sdwa s[4:5], v11, v5 src0_sel:BYTE_0 src1_sel:DWORD
	s_and_saveexec_b64 s[76:77], s[4:5]
	s_xor_b64 s[4:5], exec, s[76:77]
	s_cbranch_execz .LBB94_7167
; %bb.7162:
	v_cvt_u32_f32_e32 v4, v4
	v_mov_b32_e32 v5, 27
	v_cmp_gt_i16_sdwa s[76:77], v11, v5 src0_sel:BYTE_0 src1_sel:DWORD
	s_and_saveexec_b64 s[78:79], s[76:77]
	s_xor_b64 s[76:77], exec, s[78:79]
	s_cbranch_execz .LBB94_7164
; %bb.7163:
	flat_store_dword v[2:3], v4
                                        ; implicit-def: $vgpr2_vgpr3
                                        ; implicit-def: $vgpr4
.LBB94_7164:
	s_andn2_saveexec_b64 s[76:77], s[76:77]
	s_cbranch_execz .LBB94_7166
; %bb.7165:
	flat_store_short v[2:3], v4
.LBB94_7166:
	s_or_b64 exec, exec, s[76:77]
                                        ; implicit-def: $vgpr2_vgpr3
                                        ; implicit-def: $vgpr35
                                        ; implicit-def: $vgpr4
.LBB94_7167:
	s_andn2_saveexec_b64 s[76:77], s[4:5]
	s_cbranch_execz .LBB94_7175
; %bb.7168:
	v_cndmask_b32_e64 v35, |v0|, |v35|, vcc
	s_mov_b32 s4, 0x43800000
	v_cmp_gt_u32_e64 s[4:5], s4, v35
	v_mov_b32_e32 v36, 0x80
	s_and_saveexec_b64 s[78:79], s[4:5]
	s_cbranch_execz .LBB94_7174
; %bb.7169:
	s_mov_b32 s4, 0x3bffffff
	v_cmp_lt_u32_e64 s[4:5], s4, v35
	s_mov_b64 s[80:81], 0
                                        ; implicit-def: $vgpr5
	s_and_saveexec_b64 s[82:83], s[4:5]
	s_xor_b64 s[4:5], exec, s[82:83]
	s_cbranch_execnz .LBB94_7899
; %bb.7170:
	s_or_saveexec_b64 s[82:83], s[4:5]
                                        ; implicit-def: $sgpr84
	s_xor_b64 exec, exec, s[82:83]
	s_cbranch_execnz .LBB94_7900
.LBB94_7171:
	s_or_b64 exec, exec, s[82:83]
	v_mov_b32_e32 v36, s84
	s_and_saveexec_b64 s[4:5], s[80:81]
.LBB94_7172:
	v_lshrrev_b32_e32 v4, 24, v4
	s_movk_i32 s80, 0x80
	v_and_or_b32 v36, v4, s80, v5
.LBB94_7173:
	s_or_b64 exec, exec, s[4:5]
.LBB94_7174:
	s_or_b64 exec, exec, s[78:79]
	flat_store_byte v[2:3], v36
.LBB94_7175:
	s_or_b64 exec, exec, s[76:77]
	s_or_b64 s[6:7], s[6:7], exec
.LBB94_7176:
	s_or_b64 exec, exec, s[70:71]
	s_andn2_b64 s[4:5], s[62:63], exec
	s_and_b64 s[70:71], s[74:75], exec
	s_or_b64 s[70:71], s[4:5], s[70:71]
	s_and_b64 s[6:7], s[6:7], exec
                                        ; implicit-def: $vgpr4
                                        ; implicit-def: $vgpr2_vgpr3
                                        ; implicit-def: $vgpr35
.LBB94_7177:
	s_andn2_saveexec_b64 s[72:73], s[72:73]
	s_cbranch_execz .LBB94_7221
; %bb.7178:
	v_mov_b32_e32 v5, 22
	v_cmp_gt_i16_sdwa s[74:75], v11, v5 src0_sel:BYTE_0 src1_sel:DWORD
	s_mov_b64 s[4:5], s[6:7]
	s_and_saveexec_b64 s[76:77], s[74:75]
	s_xor_b64 s[74:75], exec, s[76:77]
	s_cbranch_execz .LBB94_7210
; %bb.7179:
	v_mov_b32_e32 v5, 23
	v_cmp_gt_i16_sdwa s[4:5], v11, v5 src0_sel:BYTE_0 src1_sel:DWORD
	s_and_saveexec_b64 s[76:77], s[4:5]
	s_xor_b64 s[76:77], exec, s[76:77]
	s_cbranch_execz .LBB94_7199
; %bb.7180:
	v_mov_b32_e32 v5, 24
	v_cmp_gt_i16_sdwa s[4:5], v11, v5 src0_sel:BYTE_0 src1_sel:DWORD
	s_and_saveexec_b64 s[78:79], s[4:5]
	s_xor_b64 s[78:79], exec, s[78:79]
	s_cbranch_execz .LBB94_7188
; %bb.7181:
	v_cndmask_b32_e64 v35, |v0|, |v35|, vcc
	s_mov_b32 s4, 0x47800000
	v_cmp_gt_u32_e64 s[4:5], s4, v35
	v_mov_b32_e32 v36, 0x80
	s_and_saveexec_b64 s[80:81], s[4:5]
	s_cbranch_execz .LBB94_7187
; %bb.7182:
	s_mov_b32 s4, 0x37ffffff
	v_cmp_lt_u32_e64 s[4:5], s4, v35
	s_mov_b64 s[82:83], 0
                                        ; implicit-def: $vgpr5
	s_and_saveexec_b64 s[84:85], s[4:5]
	s_xor_b64 s[4:5], exec, s[84:85]
	s_cbranch_execnz .LBB94_7901
; %bb.7183:
	s_or_saveexec_b64 s[84:85], s[4:5]
                                        ; implicit-def: $sgpr86
	s_xor_b64 exec, exec, s[84:85]
	s_cbranch_execnz .LBB94_7902
.LBB94_7184:
	s_or_b64 exec, exec, s[84:85]
	v_mov_b32_e32 v36, s86
	s_and_saveexec_b64 s[4:5], s[82:83]
.LBB94_7185:
	v_lshrrev_b32_e32 v4, 24, v4
	s_movk_i32 s82, 0x80
	v_and_or_b32 v36, v4, s82, v5
.LBB94_7186:
	s_or_b64 exec, exec, s[4:5]
.LBB94_7187:
	s_or_b64 exec, exec, s[80:81]
	flat_store_byte v[2:3], v36
                                        ; implicit-def: $vgpr4
                                        ; implicit-def: $vgpr2_vgpr3
                                        ; implicit-def: $vgpr35
.LBB94_7188:
	s_andn2_saveexec_b64 s[78:79], s[78:79]
	s_cbranch_execz .LBB94_7198
; %bb.7189:
	v_cndmask_b32_e64 v35, |v0|, |v35|, vcc
	s_mov_b32 s4, 0x43f00000
	v_cmp_gt_u32_e64 s[4:5], s4, v35
                                        ; implicit-def: $vgpr5
	s_and_saveexec_b64 s[80:81], s[4:5]
	s_xor_b64 s[80:81], exec, s[80:81]
	s_cbranch_execz .LBB94_7195
; %bb.7190:
	s_mov_b32 s4, 0x3c7fffff
	v_cmp_lt_u32_e64 s[4:5], s4, v35
                                        ; implicit-def: $vgpr5
	s_and_saveexec_b64 s[82:83], s[4:5]
	s_xor_b64 s[82:83], exec, s[82:83]
; %bb.7191:
	v_bfe_u32 v5, v4, 20, 1
	s_mov_b32 s4, 0x407ffff
	v_add3_u32 v5, v4, v5, s4
	v_lshrrev_b32_e32 v35, 20, v5
	v_and_b32_e32 v5, 0xff00000, v5
	s_mov_b32 s4, 0x7f00000
	v_mov_b32_e32 v36, 0x7e
	v_cmp_ne_u32_e64 s[4:5], s4, v5
	v_cndmask_b32_e64 v5, v36, v35, s[4:5]
                                        ; implicit-def: $vgpr35
; %bb.7192:
	s_andn2_saveexec_b64 s[4:5], s[82:83]
; %bb.7193:
	v_add_f32_e32 v5, 0x46800000, v35
; %bb.7194:
	s_or_b64 exec, exec, s[4:5]
                                        ; implicit-def: $vgpr35
.LBB94_7195:
	s_andn2_saveexec_b64 s[80:81], s[80:81]
; %bb.7196:
	s_mov_b32 s4, 0x7f800000
	v_mov_b32_e32 v5, 0x7e
	v_mov_b32_e32 v36, 0x7f
	v_cmp_lt_u32_e64 s[4:5], s4, v35
	v_cndmask_b32_e64 v5, v5, v36, s[4:5]
; %bb.7197:
	s_or_b64 exec, exec, s[80:81]
	v_lshrrev_b32_e32 v4, 24, v4
	s_movk_i32 s4, 0x80
	v_and_or_b32 v4, v4, s4, v5
	flat_store_byte v[2:3], v4
.LBB94_7198:
	s_or_b64 exec, exec, s[78:79]
                                        ; implicit-def: $vgpr4
                                        ; implicit-def: $vgpr2_vgpr3
                                        ; implicit-def: $vgpr35
.LBB94_7199:
	s_andn2_saveexec_b64 s[4:5], s[76:77]
	s_cbranch_execz .LBB94_7209
; %bb.7200:
	v_cndmask_b32_e64 v35, |v0|, |v35|, vcc
	s_mov_b32 vcc_lo, 0x47800000
	v_cmp_gt_u32_e32 vcc, vcc_lo, v35
                                        ; implicit-def: $vgpr5
	s_and_saveexec_b64 s[76:77], vcc
	s_xor_b64 s[76:77], exec, s[76:77]
	s_cbranch_execz .LBB94_7206
; %bb.7201:
	s_mov_b32 vcc_lo, 0x387fffff
	v_cmp_lt_u32_e32 vcc, vcc_lo, v35
                                        ; implicit-def: $vgpr5
	s_and_saveexec_b64 s[78:79], vcc
	s_xor_b64 vcc, exec, s[78:79]
; %bb.7202:
	v_bfe_u32 v5, v4, 21, 1
	s_mov_b32 s78, 0x80fffff
	v_add3_u32 v5, v4, v5, s78
	v_lshrrev_b32_e32 v5, 21, v5
                                        ; implicit-def: $vgpr35
; %bb.7203:
	s_andn2_saveexec_b64 vcc, vcc
; %bb.7204:
	v_add_f32_e32 v5, 0x43000000, v35
; %bb.7205:
	s_or_b64 exec, exec, vcc
                                        ; implicit-def: $vgpr35
.LBB94_7206:
	s_andn2_saveexec_b64 s[76:77], s[76:77]
; %bb.7207:
	s_mov_b32 vcc_lo, 0x7f800000
	v_mov_b32_e32 v5, 0x7c
	v_mov_b32_e32 v36, 0x7f
	v_cmp_lt_u32_e32 vcc, vcc_lo, v35
	v_cndmask_b32_e32 v5, v5, v36, vcc
; %bb.7208:
	s_or_b64 exec, exec, s[76:77]
	v_lshrrev_b32_e32 v4, 24, v4
	s_movk_i32 vcc_lo, 0x80
	v_and_or_b32 v4, v4, vcc_lo, v5
	flat_store_byte v[2:3], v4
.LBB94_7209:
	s_or_b64 exec, exec, s[4:5]
	s_or_b64 s[4:5], s[6:7], exec
                                        ; implicit-def: $vgpr4
                                        ; implicit-def: $vgpr2_vgpr3
.LBB94_7210:
	s_or_saveexec_b64 s[74:75], s[74:75]
	s_mov_b64 vcc, s[70:71]
	s_xor_b64 exec, exec, s[74:75]
	s_cbranch_execz .LBB94_7220
; %bb.7211:
	v_mov_b32_e32 v5, 14
	v_cmp_gt_i16_sdwa vcc, v11, v5 src0_sel:BYTE_0 src1_sel:DWORD
	s_mov_b64 s[76:77], s[4:5]
	s_mov_b64 s[78:79], s[70:71]
	s_and_saveexec_b64 s[80:81], vcc
	s_xor_b64 s[80:81], exec, s[80:81]
	s_cbranch_execz .LBB94_7215
; %bb.7212:
	v_mov_b32_e32 v5, 15
	v_cmp_eq_u16_sdwa s[82:83], v11, v5 src0_sel:BYTE_0 src1_sel:DWORD
	s_mov_b64 s[78:79], -1
	s_mov_b64 vcc, s[4:5]
	s_and_saveexec_b64 s[76:77], s[82:83]
	s_cbranch_execz .LBB94_7214
; %bb.7213:
	v_bfe_u32 v5, v4, 16, 1
	s_movk_i32 vcc_lo, 0x7fff
	v_add3_u32 v5, v4, v5, vcc_lo
	v_lshrrev_b32_e32 v5, 16, v5
	v_mov_b32_e32 v35, 0x7fc0
	v_cmp_o_f32_e32 vcc, v4, v4
	v_cndmask_b32_e32 v4, v35, v5, vcc
	flat_store_short v[2:3], v4
	s_xor_b64 s[78:79], exec, -1
	s_or_b64 vcc, s[4:5], exec
.LBB94_7214:
	s_or_b64 exec, exec, s[76:77]
	s_andn2_b64 s[76:77], s[70:71], exec
	s_and_b64 s[78:79], s[78:79], exec
	s_or_b64 s[78:79], s[76:77], s[78:79]
	s_andn2_b64 s[76:77], s[4:5], exec
	s_and_b64 vcc, vcc, exec
	s_or_b64 s[76:77], s[76:77], vcc
                                        ; implicit-def: $vgpr4
                                        ; implicit-def: $vgpr2_vgpr3
.LBB94_7215:
	s_andn2_saveexec_b64 s[80:81], s[80:81]
	s_cbranch_execz .LBB94_7219
; %bb.7216:
	v_mov_b32_e32 v5, 11
	v_cmp_eq_u16_sdwa s[86:87], v11, v5 src0_sel:BYTE_0 src1_sel:DWORD
	s_mov_b64 s[82:83], -1
	s_mov_b64 vcc, s[76:77]
	s_and_saveexec_b64 s[84:85], s[86:87]
	s_cbranch_execz .LBB94_7218
; %bb.7217:
	v_cmp_neq_f32_e32 vcc, 0, v4
	v_cndmask_b32_e64 v4, 0, 1, vcc
	flat_store_byte v[2:3], v4
	s_xor_b64 s[82:83], exec, -1
	s_or_b64 vcc, s[76:77], exec
.LBB94_7218:
	s_or_b64 exec, exec, s[84:85]
	s_andn2_b64 s[78:79], s[78:79], exec
	s_and_b64 s[82:83], s[82:83], exec
	s_andn2_b64 s[76:77], s[76:77], exec
	s_and_b64 vcc, vcc, exec
	s_or_b64 s[78:79], s[78:79], s[82:83]
	s_or_b64 s[76:77], s[76:77], vcc
.LBB94_7219:
	s_or_b64 exec, exec, s[80:81]
	s_andn2_b64 vcc, s[70:71], exec
	s_and_b64 s[78:79], s[78:79], exec
	s_andn2_b64 s[4:5], s[4:5], exec
	s_and_b64 s[76:77], s[76:77], exec
	s_or_b64 vcc, vcc, s[78:79]
	s_or_b64 s[4:5], s[4:5], s[76:77]
.LBB94_7220:
	s_or_b64 exec, exec, s[74:75]
	s_andn2_b64 s[70:71], s[70:71], exec
	s_and_b64 vcc, vcc, exec
	s_andn2_b64 s[6:7], s[6:7], exec
	s_and_b64 s[4:5], s[4:5], exec
	s_or_b64 s[70:71], s[70:71], vcc
	s_or_b64 s[6:7], s[6:7], s[4:5]
.LBB94_7221:
	s_or_b64 exec, exec, s[72:73]
	s_andn2_b64 s[4:5], s[62:63], exec
	s_and_b64 vcc, s[70:71], exec
	s_or_b64 s[4:5], s[4:5], vcc
	s_and_b64 s[6:7], s[6:7], exec
                                        ; implicit-def: $vgpr4
                                        ; implicit-def: $vgpr2_vgpr3
	s_andn2_saveexec_b64 s[66:67], s[66:67]
	s_cbranch_execz .LBB94_4034
.LBB94_7222:
	v_mov_b32_e32 v5, 4
	v_cmp_gt_i16_sdwa vcc, v11, v5 src0_sel:BYTE_0 src1_sel:DWORD
	s_and_saveexec_b64 s[70:71], vcc
	s_xor_b64 vcc, exec, s[70:71]
	s_cbranch_execz .LBB94_7244
; %bb.7223:
	v_mov_b32_e32 v5, 7
	v_cmp_gt_i16_sdwa s[70:71], v11, v5 src0_sel:BYTE_0 src1_sel:DWORD
	s_and_saveexec_b64 s[72:73], s[70:71]
	s_xor_b64 s[70:71], exec, s[72:73]
	s_cbranch_execz .LBB94_7233
; %bb.7224:
	v_mov_b32_e32 v5, 8
	v_cmp_gt_i16_sdwa s[72:73], v11, v5 src0_sel:BYTE_0 src1_sel:DWORD
	s_and_saveexec_b64 s[74:75], s[72:73]
	s_xor_b64 s[72:73], exec, s[74:75]
	;; [unrolled: 6-line block ×3, first 2 shown]
	s_cbranch_execz .LBB94_7227
; %bb.7226:
	v_mov_b32_e32 v38, 0
	v_cvt_f64_f32_e32 v[36:37], v4
	v_mov_b32_e32 v39, v38
	flat_store_dwordx4 v[2:3], v[36:39]
                                        ; implicit-def: $vgpr4
                                        ; implicit-def: $vgpr2_vgpr3
.LBB94_7227:
	s_andn2_saveexec_b64 s[74:75], s[74:75]
	s_cbranch_execz .LBB94_7229
; %bb.7228:
	v_mov_b32_e32 v5, 0
	flat_store_dwordx2 v[2:3], v[4:5]
.LBB94_7229:
	s_or_b64 exec, exec, s[74:75]
                                        ; implicit-def: $vgpr4
                                        ; implicit-def: $vgpr2_vgpr3
.LBB94_7230:
	s_andn2_saveexec_b64 s[72:73], s[72:73]
	s_cbranch_execz .LBB94_7232
; %bb.7231:
	v_cvt_f16_f32_e32 v4, v4
	flat_store_dword v[2:3], v4
.LBB94_7232:
	s_or_b64 exec, exec, s[72:73]
                                        ; implicit-def: $vgpr4
                                        ; implicit-def: $vgpr2_vgpr3
.LBB94_7233:
	s_andn2_saveexec_b64 s[70:71], s[70:71]
	s_cbranch_execz .LBB94_7243
; %bb.7234:
	v_mov_b32_e32 v5, 5
	v_cmp_gt_i16_sdwa s[72:73], v11, v5 src0_sel:BYTE_0 src1_sel:DWORD
	s_and_saveexec_b64 s[74:75], s[72:73]
	s_xor_b64 s[72:73], exec, s[74:75]
	s_cbranch_execz .LBB94_7240
; %bb.7235:
	v_mov_b32_e32 v5, 6
	v_cmp_gt_i16_sdwa s[74:75], v11, v5 src0_sel:BYTE_0 src1_sel:DWORD
	s_and_saveexec_b64 s[76:77], s[74:75]
	s_xor_b64 s[74:75], exec, s[76:77]
	s_cbranch_execz .LBB94_7237
; %bb.7236:
	v_cvt_f64_f32_e32 v[4:5], v4
	flat_store_dwordx2 v[2:3], v[4:5]
                                        ; implicit-def: $vgpr2_vgpr3
                                        ; implicit-def: $vgpr4
.LBB94_7237:
	s_andn2_saveexec_b64 s[74:75], s[74:75]
	s_cbranch_execz .LBB94_7239
; %bb.7238:
	flat_store_dword v[2:3], v4
.LBB94_7239:
	s_or_b64 exec, exec, s[74:75]
                                        ; implicit-def: $vgpr4
                                        ; implicit-def: $vgpr2_vgpr3
.LBB94_7240:
	s_andn2_saveexec_b64 s[72:73], s[72:73]
	s_cbranch_execz .LBB94_7242
; %bb.7241:
	v_cvt_f16_f32_e32 v4, v4
	flat_store_short v[2:3], v4
.LBB94_7242:
	s_or_b64 exec, exec, s[72:73]
.LBB94_7243:
	s_or_b64 exec, exec, s[70:71]
                                        ; implicit-def: $vgpr4
                                        ; implicit-def: $vgpr2_vgpr3
.LBB94_7244:
	s_andn2_saveexec_b64 s[70:71], vcc
	s_cbranch_execz .LBB94_7262
; %bb.7245:
	v_mov_b32_e32 v5, 1
	v_cmp_gt_i16_sdwa vcc, v11, v5 src0_sel:BYTE_0 src1_sel:DWORD
	s_and_saveexec_b64 s[72:73], vcc
	s_xor_b64 s[72:73], exec, s[72:73]
	s_cbranch_execz .LBB94_7255
; %bb.7246:
	v_mov_b32_e32 v5, 2
	v_cmp_gt_i16_sdwa vcc, v11, v5 src0_sel:BYTE_0 src1_sel:DWORD
	s_and_saveexec_b64 s[74:75], vcc
	s_xor_b64 s[74:75], exec, s[74:75]
	;; [unrolled: 6-line block ×3, first 2 shown]
	s_cbranch_execz .LBB94_7249
; %bb.7248:
	v_trunc_f32_e32 v4, v4
	s_mov_b32 s78, 0x2f800000
	v_mul_f32_e64 v5, |v4|, s78
	v_floor_f32_e32 v5, v5
	s_mov_b32 s78, 0xcf800000
	v_cvt_u32_f32_e32 v35, v5
	v_fma_f32 v5, v5, s78, |v4|
	v_cvt_u32_f32_e32 v5, v5
	v_ashrrev_i32_e32 v36, 31, v4
	v_xor_b32_e32 v35, v35, v36
	v_xor_b32_e32 v4, v5, v36
	v_sub_co_u32_e32 v4, vcc, v4, v36
	v_subb_co_u32_e32 v5, vcc, v35, v36, vcc
	flat_store_dwordx2 v[2:3], v[4:5]
                                        ; implicit-def: $vgpr4
                                        ; implicit-def: $vgpr2_vgpr3
.LBB94_7249:
	s_andn2_saveexec_b64 vcc, s[76:77]
	s_cbranch_execz .LBB94_7251
; %bb.7250:
	v_cvt_i32_f32_e32 v4, v4
	flat_store_dword v[2:3], v4
.LBB94_7251:
	s_or_b64 exec, exec, vcc
                                        ; implicit-def: $vgpr4
                                        ; implicit-def: $vgpr2_vgpr3
.LBB94_7252:
	s_andn2_saveexec_b64 vcc, s[74:75]
	s_cbranch_execz .LBB94_7254
; %bb.7253:
	v_cvt_i32_f32_e32 v4, v4
	flat_store_short v[2:3], v4
.LBB94_7254:
	s_or_b64 exec, exec, vcc
                                        ; implicit-def: $vgpr4
                                        ; implicit-def: $vgpr2_vgpr3
.LBB94_7255:
	s_andn2_saveexec_b64 vcc, s[72:73]
	s_cbranch_execz .LBB94_7261
; %bb.7256:
	v_mov_b32_e32 v5, 0
	v_cmp_gt_i16_sdwa s[72:73], v11, v5 src0_sel:BYTE_0 src1_sel:DWORD
	s_and_saveexec_b64 s[74:75], s[72:73]
	s_xor_b64 s[72:73], exec, s[74:75]
	s_cbranch_execz .LBB94_7258
; %bb.7257:
	v_cvt_i32_f32_e32 v4, v4
	flat_store_byte v[2:3], v4
                                        ; implicit-def: $vgpr4
                                        ; implicit-def: $vgpr2_vgpr3
.LBB94_7258:
	s_andn2_saveexec_b64 s[72:73], s[72:73]
	s_cbranch_execz .LBB94_7260
; %bb.7259:
	v_trunc_f32_e32 v4, v4
	s_mov_b32 s74, 0x2f800000
	v_mul_f32_e64 v5, |v4|, s74
	v_floor_f32_e32 v5, v5
	s_mov_b32 s74, 0xcf800000
	v_fma_f32 v5, v5, s74, |v4|
	v_cvt_u32_f32_e32 v5, v5
	v_ashrrev_i32_e32 v4, 31, v4
	v_xor_b32_e32 v5, v5, v4
	v_sub_u32_e32 v4, v5, v4
	flat_store_byte v[2:3], v4
.LBB94_7260:
	s_or_b64 exec, exec, s[72:73]
.LBB94_7261:
	s_or_b64 exec, exec, vcc
.LBB94_7262:
	s_or_b64 exec, exec, s[70:71]
	s_or_b64 s[6:7], s[6:7], exec
	s_or_b64 exec, exec, s[66:67]
	s_mov_b64 vcc, 0
	s_and_saveexec_b64 s[66:67], s[6:7]
	s_cbranch_execnz .LBB94_4035
	s_branch .LBB94_4036
.LBB94_7263:
	v_bfe_u32 v5, v4, 21, 1
	s_mov_b32 s60, 0x88fffff
	v_add3_u32 v5, v4, v5, s60
	s_mov_b64 s[58:59], exec
	v_lshrrev_b32_e32 v5, 21, v5
                                        ; implicit-def: $vgpr55
	s_or_saveexec_b64 s[60:61], s[4:5]
                                        ; implicit-def: $sgpr62
	s_xor_b64 exec, exec, s[60:61]
	s_cbranch_execz .LBB94_6428
.LBB94_7264:
	v_add_f32_e32 v5, 0x42800000, v55
	v_and_b32_e32 v5, 0xff, v5
	v_cmp_ne_u32_e64 s[4:5], 0, v5
	s_andn2_b64 s[58:59], s[58:59], exec
	s_and_b64 s[4:5], s[4:5], exec
	s_mov_b32 s62, 0
	s_or_b64 s[58:59], s[58:59], s[4:5]
	s_or_b64 exec, exec, s[60:61]
	v_mov_b32_e32 v64, s62
	s_and_saveexec_b64 s[4:5], s[58:59]
	s_cbranch_execnz .LBB94_6429
	s_branch .LBB94_6430
.LBB94_7265:
	v_bfe_u32 v5, v4, 20, 1
	s_mov_b32 s62, 0x487ffff
	v_add3_u32 v5, v4, v5, s62
	s_mov_b64 s[60:61], exec
	v_lshrrev_b32_e32 v5, 20, v5
                                        ; implicit-def: $vgpr53
	s_or_saveexec_b64 s[62:63], s[4:5]
                                        ; implicit-def: $sgpr64
	s_xor_b64 exec, exec, s[62:63]
	s_cbranch_execz .LBB94_6541
.LBB94_7266:
	v_add_f32_e32 v5, 0x46000000, v53
	v_and_b32_e32 v5, 0xff, v5
	v_cmp_ne_u32_e64 s[4:5], 0, v5
	s_andn2_b64 s[60:61], s[60:61], exec
	s_and_b64 s[4:5], s[4:5], exec
	s_mov_b32 s64, 0
	s_or_b64 s[60:61], s[60:61], s[4:5]
	s_or_b64 exec, exec, s[62:63]
	v_mov_b32_e32 v54, s64
	s_and_saveexec_b64 s[4:5], s[60:61]
	s_cbranch_execnz .LBB94_6542
	s_branch .LBB94_6543
.LBB94_7267:
	v_mov_b32_e32 v5, 25
	v_cmp_gt_i16_sdwa s[4:5], v11, v5 src0_sel:BYTE_0 src1_sel:DWORD
	s_mov_b64 s[74:75], s[66:67]
	s_and_saveexec_b64 s[76:77], s[4:5]
	s_xor_b64 s[76:77], exec, s[76:77]
	s_cbranch_execz .LBB94_7303
; %bb.7268:
	v_mov_b32_e32 v5, 28
	v_cmp_gt_i16_sdwa s[4:5], v11, v5 src0_sel:BYTE_0 src1_sel:DWORD
	s_mov_b64 s[78:79], s[66:67]
	s_and_saveexec_b64 s[74:75], s[4:5]
	s_xor_b64 s[74:75], exec, s[74:75]
	s_cbranch_execz .LBB94_7286
; %bb.7269:
	v_mov_b32_e32 v5, 43
	v_cmp_gt_i16_sdwa s[78:79], v11, v5 src0_sel:BYTE_0 src1_sel:DWORD
	s_mov_b64 s[4:5], 0
	s_mov_b64 s[6:7], s[66:67]
	s_and_saveexec_b64 s[80:81], s[78:79]
	s_xor_b64 s[78:79], exec, s[80:81]
	s_cbranch_execz .LBB94_7281
; %bb.7270:
	v_mov_b32_e32 v5, 45
	v_cmp_gt_i16_sdwa s[4:5], v11, v5 src0_sel:BYTE_0 src1_sel:DWORD
	s_mov_b64 s[80:81], 0
	s_mov_b64 s[82:83], s[66:67]
	s_and_saveexec_b64 s[6:7], s[4:5]
	s_xor_b64 s[6:7], exec, s[6:7]
	s_cbranch_execz .LBB94_7274
; %bb.7271:
	v_mov_b32_e32 v5, 46
	v_cmp_eq_u16_sdwa s[84:85], v11, v5 src0_sel:BYTE_0 src1_sel:DWORD
	s_mov_b64 s[4:5], -1
	s_and_saveexec_b64 s[82:83], s[84:85]
	s_cbranch_execz .LBB94_7273
; %bb.7272:
	v_bfe_u32 v5, v4, 16, 1
	s_movk_i32 s4, 0x7fff
	v_add3_u32 v5, v4, v5, s4
	v_lshrrev_b32_e32 v5, 16, v5
	v_mov_b32_e32 v33, 0x7fc0
	v_cmp_o_f32_e64 s[4:5], v4, v4
	v_cndmask_b32_e64 v4, v33, v5, s[4:5]
	s_mov_b64 s[80:81], exec
	flat_store_dword v[2:3], v4
	s_xor_b64 s[4:5], exec, -1
.LBB94_7273:
	s_or_b64 exec, exec, s[82:83]
	s_andn2_b64 s[82:83], s[66:67], exec
	s_and_b64 s[4:5], s[4:5], exec
	s_or_b64 s[82:83], s[82:83], s[4:5]
	s_and_b64 s[80:81], s[80:81], exec
                                        ; implicit-def: $vgpr2_vgpr3
                                        ; implicit-def: $vgpr4
.LBB94_7274:
	s_andn2_saveexec_b64 s[84:85], s[6:7]
	s_cbranch_execz .LBB94_7280
; %bb.7275:
	v_mov_b32_e32 v5, 44
	v_cmp_eq_u16_sdwa s[88:89], v11, v5 src0_sel:BYTE_0 src1_sel:DWORD
	s_mov_b64 s[6:7], -1
	s_mov_b64 s[4:5], s[80:81]
	s_and_saveexec_b64 s[86:87], s[88:89]
	s_cbranch_execz .LBB94_7279
; %bb.7276:
	v_bfe_u32 v5, v4, 23, 8
	s_movk_i32 s4, 0xff
	v_cmp_ne_u32_e64 s[4:5], s4, v5
	v_mov_b32_e32 v33, 0xff
	s_and_saveexec_b64 s[88:89], s[4:5]
; %bb.7277:
	s_mov_b32 s6, 0x3fffff
	v_lshrrev_b32_e32 v33, 23, v4
	v_and_b32_e32 v34, 0x400000, v4
	v_and_or_b32 v4, v4, s6, v5
	v_cmp_ne_u32_e64 s[4:5], 0, v34
	v_cmp_ne_u32_e64 s[6:7], 0, v4
	s_and_b64 s[4:5], s[4:5], s[6:7]
	v_cndmask_b32_e64 v4, 0, 1, s[4:5]
	v_add_u32_e32 v33, v33, v4
; %bb.7278:
	s_or_b64 exec, exec, s[88:89]
	s_xor_b64 s[6:7], exec, -1
	s_or_b64 s[4:5], s[80:81], exec
	flat_store_byte v[2:3], v33
.LBB94_7279:
	s_or_b64 exec, exec, s[86:87]
	s_andn2_b64 s[82:83], s[82:83], exec
	s_and_b64 s[6:7], s[6:7], exec
	s_or_b64 s[82:83], s[82:83], s[6:7]
	s_andn2_b64 s[6:7], s[80:81], exec
	s_and_b64 s[4:5], s[4:5], exec
	s_or_b64 s[80:81], s[6:7], s[4:5]
.LBB94_7280:
	s_or_b64 exec, exec, s[84:85]
	s_andn2_b64 s[4:5], s[66:67], exec
	s_and_b64 s[6:7], s[82:83], exec
	s_or_b64 s[6:7], s[4:5], s[6:7]
	s_and_b64 s[4:5], s[80:81], exec
                                        ; implicit-def: $vgpr4
                                        ; implicit-def: $vgpr2_vgpr3
.LBB94_7281:
	s_andn2_saveexec_b64 s[78:79], s[78:79]
	s_cbranch_execz .LBB94_7285
; %bb.7282:
	v_mov_b32_e32 v5, 29
	v_cmp_eq_u16_sdwa s[86:87], v11, v5 src0_sel:BYTE_0 src1_sel:DWORD
	s_mov_b64 s[84:85], -1
	s_mov_b64 s[82:83], s[4:5]
	s_and_saveexec_b64 s[80:81], s[86:87]
	s_cbranch_execz .LBB94_7284
; %bb.7283:
	v_trunc_f32_e32 v4, v4
	v_mul_f32_e32 v5, 0x2f800000, v4
	v_floor_f32_e32 v33, v5
	v_fmac_f32_e32 v4, 0xcf800000, v33
	v_cvt_u32_f32_e32 v5, v33
	v_cvt_u32_f32_e32 v4, v4
	s_xor_b64 s[84:85], exec, -1
	s_or_b64 s[82:83], s[4:5], exec
	flat_store_dwordx2 v[2:3], v[4:5]
.LBB94_7284:
	s_or_b64 exec, exec, s[80:81]
	s_andn2_b64 s[6:7], s[6:7], exec
	s_and_b64 s[80:81], s[84:85], exec
	s_or_b64 s[6:7], s[6:7], s[80:81]
	s_andn2_b64 s[4:5], s[4:5], exec
	s_and_b64 s[80:81], s[82:83], exec
	s_or_b64 s[4:5], s[4:5], s[80:81]
.LBB94_7285:
	s_or_b64 exec, exec, s[78:79]
	s_andn2_b64 s[78:79], s[66:67], exec
	s_and_b64 s[6:7], s[6:7], exec
	s_or_b64 s[78:79], s[78:79], s[6:7]
	s_and_b64 s[6:7], s[4:5], exec
                                        ; implicit-def: $vgpr2_vgpr3
                                        ; implicit-def: $vgpr33
                                        ; implicit-def: $vgpr4
.LBB94_7286:
	s_andn2_saveexec_b64 s[74:75], s[74:75]
	s_cbranch_execz .LBB94_7302
; %bb.7287:
	v_mov_b32_e32 v5, 26
	v_cmp_gt_i16_sdwa s[4:5], v11, v5 src0_sel:BYTE_0 src1_sel:DWORD
	s_and_saveexec_b64 s[80:81], s[4:5]
	s_xor_b64 s[4:5], exec, s[80:81]
	s_cbranch_execz .LBB94_7293
; %bb.7288:
	v_cvt_u32_f32_e32 v4, v4
	v_mov_b32_e32 v5, 27
	v_cmp_gt_i16_sdwa s[80:81], v11, v5 src0_sel:BYTE_0 src1_sel:DWORD
	s_and_saveexec_b64 s[82:83], s[80:81]
	s_xor_b64 s[80:81], exec, s[82:83]
	s_cbranch_execz .LBB94_7290
; %bb.7289:
	flat_store_dword v[2:3], v4
                                        ; implicit-def: $vgpr2_vgpr3
                                        ; implicit-def: $vgpr4
.LBB94_7290:
	s_andn2_saveexec_b64 s[80:81], s[80:81]
	s_cbranch_execz .LBB94_7292
; %bb.7291:
	flat_store_short v[2:3], v4
.LBB94_7292:
	s_or_b64 exec, exec, s[80:81]
                                        ; implicit-def: $vgpr2_vgpr3
                                        ; implicit-def: $vgpr33
                                        ; implicit-def: $vgpr4
.LBB94_7293:
	s_andn2_saveexec_b64 s[80:81], s[4:5]
	s_cbranch_execz .LBB94_7301
; %bb.7294:
	v_cndmask_b32_e64 v33, |v0|, |v33|, vcc
	s_mov_b32 s4, 0x43800000
	v_cmp_gt_u32_e64 s[4:5], s4, v33
	v_mov_b32_e32 v34, 0x80
	s_and_saveexec_b64 s[82:83], s[4:5]
	s_cbranch_execz .LBB94_7300
; %bb.7295:
	s_mov_b32 s4, 0x3bffffff
	v_cmp_lt_u32_e64 s[4:5], s4, v33
	s_mov_b64 s[84:85], 0
                                        ; implicit-def: $vgpr5
	s_and_saveexec_b64 s[86:87], s[4:5]
	s_xor_b64 s[4:5], exec, s[86:87]
	s_cbranch_execnz .LBB94_7903
; %bb.7296:
	s_or_saveexec_b64 s[86:87], s[4:5]
                                        ; implicit-def: $sgpr88
	s_xor_b64 exec, exec, s[86:87]
	s_cbranch_execnz .LBB94_7904
.LBB94_7297:
	s_or_b64 exec, exec, s[86:87]
	v_mov_b32_e32 v34, s88
	s_and_saveexec_b64 s[4:5], s[84:85]
.LBB94_7298:
	v_lshrrev_b32_e32 v4, 24, v4
	s_movk_i32 s84, 0x80
	v_and_or_b32 v34, v4, s84, v5
.LBB94_7299:
	s_or_b64 exec, exec, s[4:5]
.LBB94_7300:
	s_or_b64 exec, exec, s[82:83]
	flat_store_byte v[2:3], v34
.LBB94_7301:
	s_or_b64 exec, exec, s[80:81]
	s_or_b64 s[6:7], s[6:7], exec
.LBB94_7302:
	s_or_b64 exec, exec, s[74:75]
	s_andn2_b64 s[4:5], s[66:67], exec
	s_and_b64 s[74:75], s[78:79], exec
	s_or_b64 s[74:75], s[4:5], s[74:75]
	s_and_b64 s[6:7], s[6:7], exec
                                        ; implicit-def: $vgpr4
                                        ; implicit-def: $vgpr2_vgpr3
                                        ; implicit-def: $vgpr33
.LBB94_7303:
	s_andn2_saveexec_b64 s[76:77], s[76:77]
	s_cbranch_execz .LBB94_7347
; %bb.7304:
	v_mov_b32_e32 v5, 22
	v_cmp_gt_i16_sdwa s[78:79], v11, v5 src0_sel:BYTE_0 src1_sel:DWORD
	s_mov_b64 s[4:5], s[6:7]
	s_and_saveexec_b64 s[80:81], s[78:79]
	s_xor_b64 s[78:79], exec, s[80:81]
	s_cbranch_execz .LBB94_7336
; %bb.7305:
	v_mov_b32_e32 v5, 23
	v_cmp_gt_i16_sdwa s[4:5], v11, v5 src0_sel:BYTE_0 src1_sel:DWORD
	s_and_saveexec_b64 s[80:81], s[4:5]
	s_xor_b64 s[80:81], exec, s[80:81]
	s_cbranch_execz .LBB94_7325
; %bb.7306:
	v_mov_b32_e32 v5, 24
	v_cmp_gt_i16_sdwa s[4:5], v11, v5 src0_sel:BYTE_0 src1_sel:DWORD
	s_and_saveexec_b64 s[82:83], s[4:5]
	s_xor_b64 s[82:83], exec, s[82:83]
	s_cbranch_execz .LBB94_7314
; %bb.7307:
	v_cndmask_b32_e64 v33, |v0|, |v33|, vcc
	s_mov_b32 s4, 0x47800000
	v_cmp_gt_u32_e64 s[4:5], s4, v33
	v_mov_b32_e32 v34, 0x80
	s_and_saveexec_b64 s[84:85], s[4:5]
	s_cbranch_execz .LBB94_7313
; %bb.7308:
	s_mov_b32 s4, 0x37ffffff
	v_cmp_lt_u32_e64 s[4:5], s4, v33
	s_mov_b64 s[86:87], 0
                                        ; implicit-def: $vgpr5
	s_and_saveexec_b64 s[88:89], s[4:5]
	s_xor_b64 s[4:5], exec, s[88:89]
	s_cbranch_execnz .LBB94_7905
; %bb.7309:
	s_or_saveexec_b64 s[88:89], s[4:5]
                                        ; implicit-def: $sgpr90
	s_xor_b64 exec, exec, s[88:89]
	s_cbranch_execnz .LBB94_7906
.LBB94_7310:
	s_or_b64 exec, exec, s[88:89]
	v_mov_b32_e32 v34, s90
	s_and_saveexec_b64 s[4:5], s[86:87]
.LBB94_7311:
	v_lshrrev_b32_e32 v4, 24, v4
	s_movk_i32 s86, 0x80
	v_and_or_b32 v34, v4, s86, v5
.LBB94_7312:
	s_or_b64 exec, exec, s[4:5]
.LBB94_7313:
	s_or_b64 exec, exec, s[84:85]
	flat_store_byte v[2:3], v34
                                        ; implicit-def: $vgpr4
                                        ; implicit-def: $vgpr2_vgpr3
                                        ; implicit-def: $vgpr33
.LBB94_7314:
	s_andn2_saveexec_b64 s[82:83], s[82:83]
	s_cbranch_execz .LBB94_7324
; %bb.7315:
	v_cndmask_b32_e64 v33, |v0|, |v33|, vcc
	s_mov_b32 s4, 0x43f00000
	v_cmp_gt_u32_e64 s[4:5], s4, v33
                                        ; implicit-def: $vgpr5
	s_and_saveexec_b64 s[84:85], s[4:5]
	s_xor_b64 s[84:85], exec, s[84:85]
	s_cbranch_execz .LBB94_7321
; %bb.7316:
	s_mov_b32 s4, 0x3c7fffff
	v_cmp_lt_u32_e64 s[4:5], s4, v33
                                        ; implicit-def: $vgpr5
	s_and_saveexec_b64 s[86:87], s[4:5]
	s_xor_b64 s[86:87], exec, s[86:87]
; %bb.7317:
	v_bfe_u32 v5, v4, 20, 1
	s_mov_b32 s4, 0x407ffff
	v_add3_u32 v5, v4, v5, s4
	v_lshrrev_b32_e32 v33, 20, v5
	v_and_b32_e32 v5, 0xff00000, v5
	s_mov_b32 s4, 0x7f00000
	v_mov_b32_e32 v34, 0x7e
	v_cmp_ne_u32_e64 s[4:5], s4, v5
	v_cndmask_b32_e64 v5, v34, v33, s[4:5]
                                        ; implicit-def: $vgpr33
; %bb.7318:
	s_andn2_saveexec_b64 s[4:5], s[86:87]
; %bb.7319:
	v_add_f32_e32 v5, 0x46800000, v33
; %bb.7320:
	s_or_b64 exec, exec, s[4:5]
                                        ; implicit-def: $vgpr33
.LBB94_7321:
	s_andn2_saveexec_b64 s[84:85], s[84:85]
; %bb.7322:
	s_mov_b32 s4, 0x7f800000
	v_mov_b32_e32 v5, 0x7e
	v_mov_b32_e32 v34, 0x7f
	v_cmp_lt_u32_e64 s[4:5], s4, v33
	v_cndmask_b32_e64 v5, v5, v34, s[4:5]
; %bb.7323:
	s_or_b64 exec, exec, s[84:85]
	v_lshrrev_b32_e32 v4, 24, v4
	s_movk_i32 s4, 0x80
	v_and_or_b32 v4, v4, s4, v5
	flat_store_byte v[2:3], v4
.LBB94_7324:
	s_or_b64 exec, exec, s[82:83]
                                        ; implicit-def: $vgpr4
                                        ; implicit-def: $vgpr2_vgpr3
                                        ; implicit-def: $vgpr33
.LBB94_7325:
	s_andn2_saveexec_b64 s[4:5], s[80:81]
	s_cbranch_execz .LBB94_7335
; %bb.7326:
	v_cndmask_b32_e64 v33, |v0|, |v33|, vcc
	s_mov_b32 vcc_lo, 0x47800000
	v_cmp_gt_u32_e32 vcc, vcc_lo, v33
                                        ; implicit-def: $vgpr5
	s_and_saveexec_b64 s[80:81], vcc
	s_xor_b64 s[80:81], exec, s[80:81]
	s_cbranch_execz .LBB94_7332
; %bb.7327:
	s_mov_b32 vcc_lo, 0x387fffff
	v_cmp_lt_u32_e32 vcc, vcc_lo, v33
                                        ; implicit-def: $vgpr5
	s_and_saveexec_b64 s[82:83], vcc
	s_xor_b64 vcc, exec, s[82:83]
; %bb.7328:
	v_bfe_u32 v5, v4, 21, 1
	s_mov_b32 s82, 0x80fffff
	v_add3_u32 v5, v4, v5, s82
	v_lshrrev_b32_e32 v5, 21, v5
                                        ; implicit-def: $vgpr33
; %bb.7329:
	s_andn2_saveexec_b64 vcc, vcc
; %bb.7330:
	v_add_f32_e32 v5, 0x43000000, v33
; %bb.7331:
	s_or_b64 exec, exec, vcc
                                        ; implicit-def: $vgpr33
.LBB94_7332:
	s_andn2_saveexec_b64 s[80:81], s[80:81]
; %bb.7333:
	s_mov_b32 vcc_lo, 0x7f800000
	v_mov_b32_e32 v5, 0x7c
	v_mov_b32_e32 v34, 0x7f
	v_cmp_lt_u32_e32 vcc, vcc_lo, v33
	v_cndmask_b32_e32 v5, v5, v34, vcc
; %bb.7334:
	s_or_b64 exec, exec, s[80:81]
	v_lshrrev_b32_e32 v4, 24, v4
	s_movk_i32 vcc_lo, 0x80
	v_and_or_b32 v4, v4, vcc_lo, v5
	flat_store_byte v[2:3], v4
.LBB94_7335:
	s_or_b64 exec, exec, s[4:5]
	s_or_b64 s[4:5], s[6:7], exec
                                        ; implicit-def: $vgpr4
                                        ; implicit-def: $vgpr2_vgpr3
.LBB94_7336:
	s_or_saveexec_b64 s[78:79], s[78:79]
	s_mov_b64 vcc, s[74:75]
	s_xor_b64 exec, exec, s[78:79]
	s_cbranch_execz .LBB94_7346
; %bb.7337:
	v_mov_b32_e32 v5, 14
	v_cmp_gt_i16_sdwa vcc, v11, v5 src0_sel:BYTE_0 src1_sel:DWORD
	s_mov_b64 s[80:81], s[4:5]
	s_mov_b64 s[82:83], s[74:75]
	s_and_saveexec_b64 s[84:85], vcc
	s_xor_b64 s[84:85], exec, s[84:85]
	s_cbranch_execz .LBB94_7341
; %bb.7338:
	v_mov_b32_e32 v5, 15
	v_cmp_eq_u16_sdwa s[86:87], v11, v5 src0_sel:BYTE_0 src1_sel:DWORD
	s_mov_b64 s[82:83], -1
	s_mov_b64 vcc, s[4:5]
	s_and_saveexec_b64 s[80:81], s[86:87]
	s_cbranch_execz .LBB94_7340
; %bb.7339:
	v_bfe_u32 v5, v4, 16, 1
	s_movk_i32 vcc_lo, 0x7fff
	v_add3_u32 v5, v4, v5, vcc_lo
	v_lshrrev_b32_e32 v5, 16, v5
	v_mov_b32_e32 v33, 0x7fc0
	v_cmp_o_f32_e32 vcc, v4, v4
	v_cndmask_b32_e32 v4, v33, v5, vcc
	flat_store_short v[2:3], v4
	s_xor_b64 s[82:83], exec, -1
	s_or_b64 vcc, s[4:5], exec
.LBB94_7340:
	s_or_b64 exec, exec, s[80:81]
	s_andn2_b64 s[80:81], s[74:75], exec
	s_and_b64 s[82:83], s[82:83], exec
	s_or_b64 s[82:83], s[80:81], s[82:83]
	s_andn2_b64 s[80:81], s[4:5], exec
	s_and_b64 vcc, vcc, exec
	s_or_b64 s[80:81], s[80:81], vcc
                                        ; implicit-def: $vgpr4
                                        ; implicit-def: $vgpr2_vgpr3
.LBB94_7341:
	s_andn2_saveexec_b64 s[84:85], s[84:85]
	s_cbranch_execz .LBB94_7345
; %bb.7342:
	v_mov_b32_e32 v5, 11
	v_cmp_eq_u16_sdwa s[90:91], v11, v5 src0_sel:BYTE_0 src1_sel:DWORD
	s_mov_b64 s[86:87], -1
	s_mov_b64 vcc, s[80:81]
	s_and_saveexec_b64 s[88:89], s[90:91]
	s_cbranch_execz .LBB94_7344
; %bb.7343:
	v_cmp_neq_f32_e32 vcc, 0, v4
	v_cndmask_b32_e64 v4, 0, 1, vcc
	flat_store_byte v[2:3], v4
	s_xor_b64 s[86:87], exec, -1
	s_or_b64 vcc, s[80:81], exec
.LBB94_7344:
	s_or_b64 exec, exec, s[88:89]
	s_andn2_b64 s[82:83], s[82:83], exec
	s_and_b64 s[86:87], s[86:87], exec
	s_andn2_b64 s[80:81], s[80:81], exec
	s_and_b64 vcc, vcc, exec
	s_or_b64 s[82:83], s[82:83], s[86:87]
	s_or_b64 s[80:81], s[80:81], vcc
.LBB94_7345:
	s_or_b64 exec, exec, s[84:85]
	s_andn2_b64 vcc, s[74:75], exec
	s_and_b64 s[82:83], s[82:83], exec
	s_andn2_b64 s[4:5], s[4:5], exec
	s_and_b64 s[80:81], s[80:81], exec
	s_or_b64 vcc, vcc, s[82:83]
	s_or_b64 s[4:5], s[4:5], s[80:81]
.LBB94_7346:
	s_or_b64 exec, exec, s[78:79]
	s_andn2_b64 s[74:75], s[74:75], exec
	s_and_b64 vcc, vcc, exec
	s_andn2_b64 s[6:7], s[6:7], exec
	s_and_b64 s[4:5], s[4:5], exec
	s_or_b64 s[74:75], s[74:75], vcc
	s_or_b64 s[6:7], s[6:7], s[4:5]
.LBB94_7347:
	s_or_b64 exec, exec, s[76:77]
	s_andn2_b64 s[4:5], s[66:67], exec
	s_and_b64 vcc, s[74:75], exec
	s_or_b64 s[4:5], s[4:5], vcc
	s_and_b64 s[6:7], s[6:7], exec
                                        ; implicit-def: $vgpr4
                                        ; implicit-def: $vgpr2_vgpr3
	s_andn2_saveexec_b64 s[70:71], s[70:71]
	s_cbranch_execz .LBB94_4041
.LBB94_7348:
	v_mov_b32_e32 v5, 4
	v_cmp_gt_i16_sdwa vcc, v11, v5 src0_sel:BYTE_0 src1_sel:DWORD
	s_and_saveexec_b64 s[74:75], vcc
	s_xor_b64 vcc, exec, s[74:75]
	s_cbranch_execz .LBB94_7370
; %bb.7349:
	v_mov_b32_e32 v5, 7
	v_cmp_gt_i16_sdwa s[74:75], v11, v5 src0_sel:BYTE_0 src1_sel:DWORD
	s_and_saveexec_b64 s[76:77], s[74:75]
	s_xor_b64 s[74:75], exec, s[76:77]
	s_cbranch_execz .LBB94_7359
; %bb.7350:
	v_mov_b32_e32 v5, 8
	v_cmp_gt_i16_sdwa s[76:77], v11, v5 src0_sel:BYTE_0 src1_sel:DWORD
	s_and_saveexec_b64 s[78:79], s[76:77]
	s_xor_b64 s[76:77], exec, s[78:79]
	;; [unrolled: 6-line block ×3, first 2 shown]
	s_cbranch_execz .LBB94_7353
; %bb.7352:
	v_mov_b32_e32 v36, 0
	v_cvt_f64_f32_e32 v[34:35], v4
	v_mov_b32_e32 v37, v36
	flat_store_dwordx4 v[2:3], v[34:37]
                                        ; implicit-def: $vgpr4
                                        ; implicit-def: $vgpr2_vgpr3
.LBB94_7353:
	s_andn2_saveexec_b64 s[78:79], s[78:79]
	s_cbranch_execz .LBB94_7355
; %bb.7354:
	v_mov_b32_e32 v5, 0
	flat_store_dwordx2 v[2:3], v[4:5]
.LBB94_7355:
	s_or_b64 exec, exec, s[78:79]
                                        ; implicit-def: $vgpr4
                                        ; implicit-def: $vgpr2_vgpr3
.LBB94_7356:
	s_andn2_saveexec_b64 s[76:77], s[76:77]
	s_cbranch_execz .LBB94_7358
; %bb.7357:
	v_cvt_f16_f32_e32 v4, v4
	flat_store_dword v[2:3], v4
.LBB94_7358:
	s_or_b64 exec, exec, s[76:77]
                                        ; implicit-def: $vgpr4
                                        ; implicit-def: $vgpr2_vgpr3
.LBB94_7359:
	s_andn2_saveexec_b64 s[74:75], s[74:75]
	s_cbranch_execz .LBB94_7369
; %bb.7360:
	v_mov_b32_e32 v5, 5
	v_cmp_gt_i16_sdwa s[76:77], v11, v5 src0_sel:BYTE_0 src1_sel:DWORD
	s_and_saveexec_b64 s[78:79], s[76:77]
	s_xor_b64 s[76:77], exec, s[78:79]
	s_cbranch_execz .LBB94_7366
; %bb.7361:
	v_mov_b32_e32 v5, 6
	v_cmp_gt_i16_sdwa s[78:79], v11, v5 src0_sel:BYTE_0 src1_sel:DWORD
	s_and_saveexec_b64 s[80:81], s[78:79]
	s_xor_b64 s[78:79], exec, s[80:81]
	s_cbranch_execz .LBB94_7363
; %bb.7362:
	v_cvt_f64_f32_e32 v[4:5], v4
	flat_store_dwordx2 v[2:3], v[4:5]
                                        ; implicit-def: $vgpr2_vgpr3
                                        ; implicit-def: $vgpr4
.LBB94_7363:
	s_andn2_saveexec_b64 s[78:79], s[78:79]
	s_cbranch_execz .LBB94_7365
; %bb.7364:
	flat_store_dword v[2:3], v4
.LBB94_7365:
	s_or_b64 exec, exec, s[78:79]
                                        ; implicit-def: $vgpr4
                                        ; implicit-def: $vgpr2_vgpr3
.LBB94_7366:
	s_andn2_saveexec_b64 s[76:77], s[76:77]
	s_cbranch_execz .LBB94_7368
; %bb.7367:
	v_cvt_f16_f32_e32 v4, v4
	flat_store_short v[2:3], v4
.LBB94_7368:
	s_or_b64 exec, exec, s[76:77]
.LBB94_7369:
	s_or_b64 exec, exec, s[74:75]
                                        ; implicit-def: $vgpr4
                                        ; implicit-def: $vgpr2_vgpr3
.LBB94_7370:
	s_andn2_saveexec_b64 s[74:75], vcc
	s_cbranch_execz .LBB94_7388
; %bb.7371:
	v_mov_b32_e32 v5, 1
	v_cmp_gt_i16_sdwa vcc, v11, v5 src0_sel:BYTE_0 src1_sel:DWORD
	s_and_saveexec_b64 s[76:77], vcc
	s_xor_b64 s[76:77], exec, s[76:77]
	s_cbranch_execz .LBB94_7381
; %bb.7372:
	v_mov_b32_e32 v5, 2
	v_cmp_gt_i16_sdwa vcc, v11, v5 src0_sel:BYTE_0 src1_sel:DWORD
	s_and_saveexec_b64 s[78:79], vcc
	s_xor_b64 s[78:79], exec, s[78:79]
	;; [unrolled: 6-line block ×3, first 2 shown]
	s_cbranch_execz .LBB94_7375
; %bb.7374:
	v_trunc_f32_e32 v4, v4
	s_mov_b32 s82, 0x2f800000
	v_mul_f32_e64 v5, |v4|, s82
	v_floor_f32_e32 v5, v5
	s_mov_b32 s82, 0xcf800000
	v_cvt_u32_f32_e32 v33, v5
	v_fma_f32 v5, v5, s82, |v4|
	v_cvt_u32_f32_e32 v5, v5
	v_ashrrev_i32_e32 v34, 31, v4
	v_xor_b32_e32 v33, v33, v34
	v_xor_b32_e32 v4, v5, v34
	v_sub_co_u32_e32 v4, vcc, v4, v34
	v_subb_co_u32_e32 v5, vcc, v33, v34, vcc
	flat_store_dwordx2 v[2:3], v[4:5]
                                        ; implicit-def: $vgpr4
                                        ; implicit-def: $vgpr2_vgpr3
.LBB94_7375:
	s_andn2_saveexec_b64 vcc, s[80:81]
	s_cbranch_execz .LBB94_7377
; %bb.7376:
	v_cvt_i32_f32_e32 v4, v4
	flat_store_dword v[2:3], v4
.LBB94_7377:
	s_or_b64 exec, exec, vcc
                                        ; implicit-def: $vgpr4
                                        ; implicit-def: $vgpr2_vgpr3
.LBB94_7378:
	s_andn2_saveexec_b64 vcc, s[78:79]
	s_cbranch_execz .LBB94_7380
; %bb.7379:
	v_cvt_i32_f32_e32 v4, v4
	flat_store_short v[2:3], v4
.LBB94_7380:
	s_or_b64 exec, exec, vcc
                                        ; implicit-def: $vgpr4
                                        ; implicit-def: $vgpr2_vgpr3
.LBB94_7381:
	s_andn2_saveexec_b64 vcc, s[76:77]
	s_cbranch_execz .LBB94_7387
; %bb.7382:
	v_mov_b32_e32 v5, 0
	v_cmp_gt_i16_sdwa s[76:77], v11, v5 src0_sel:BYTE_0 src1_sel:DWORD
	s_and_saveexec_b64 s[78:79], s[76:77]
	s_xor_b64 s[76:77], exec, s[78:79]
	s_cbranch_execz .LBB94_7384
; %bb.7383:
	v_cvt_i32_f32_e32 v4, v4
	flat_store_byte v[2:3], v4
                                        ; implicit-def: $vgpr4
                                        ; implicit-def: $vgpr2_vgpr3
.LBB94_7384:
	s_andn2_saveexec_b64 s[76:77], s[76:77]
	s_cbranch_execz .LBB94_7386
; %bb.7385:
	v_trunc_f32_e32 v4, v4
	s_mov_b32 s78, 0x2f800000
	v_mul_f32_e64 v5, |v4|, s78
	v_floor_f32_e32 v5, v5
	s_mov_b32 s78, 0xcf800000
	v_fma_f32 v5, v5, s78, |v4|
	v_cvt_u32_f32_e32 v5, v5
	v_ashrrev_i32_e32 v4, 31, v4
	v_xor_b32_e32 v5, v5, v4
	v_sub_u32_e32 v4, v5, v4
	flat_store_byte v[2:3], v4
.LBB94_7386:
	s_or_b64 exec, exec, s[76:77]
.LBB94_7387:
	s_or_b64 exec, exec, vcc
.LBB94_7388:
	s_or_b64 exec, exec, s[74:75]
	s_or_b64 s[6:7], s[6:7], exec
	s_or_b64 exec, exec, s[70:71]
	s_mov_b64 vcc, 0
	s_and_saveexec_b64 s[70:71], s[6:7]
	s_cbranch_execnz .LBB94_4042
	s_branch .LBB94_4043
.LBB94_7389:
	v_bfe_u32 v5, v4, 21, 1
	s_mov_b32 s64, 0x88fffff
	v_add3_u32 v5, v4, v5, s64
	s_mov_b64 s[62:63], exec
	v_lshrrev_b32_e32 v5, 21, v5
                                        ; implicit-def: $vgpr53
	s_or_saveexec_b64 s[64:65], s[4:5]
                                        ; implicit-def: $sgpr66
	s_xor_b64 exec, exec, s[64:65]
	s_cbranch_execz .LBB94_6554
.LBB94_7390:
	v_add_f32_e32 v5, 0x42800000, v53
	v_and_b32_e32 v5, 0xff, v5
	v_cmp_ne_u32_e64 s[4:5], 0, v5
	s_andn2_b64 s[62:63], s[62:63], exec
	s_and_b64 s[4:5], s[4:5], exec
	s_mov_b32 s66, 0
	s_or_b64 s[62:63], s[62:63], s[4:5]
	s_or_b64 exec, exec, s[64:65]
	v_mov_b32_e32 v54, s66
	s_and_saveexec_b64 s[4:5], s[62:63]
	s_cbranch_execnz .LBB94_6555
	s_branch .LBB94_6556
.LBB94_7391:
	v_bfe_u32 v5, v4, 20, 1
	s_mov_b32 s66, 0x487ffff
	v_add3_u32 v5, v4, v5, s66
	s_mov_b64 s[64:65], exec
	v_lshrrev_b32_e32 v5, 20, v5
                                        ; implicit-def: $vgpr51
	s_or_saveexec_b64 s[66:67], s[4:5]
                                        ; implicit-def: $sgpr68
	s_xor_b64 exec, exec, s[66:67]
	s_cbranch_execz .LBB94_6667
.LBB94_7392:
	v_add_f32_e32 v5, 0x46000000, v51
	v_and_b32_e32 v5, 0xff, v5
	v_cmp_ne_u32_e64 s[4:5], 0, v5
	s_andn2_b64 s[64:65], s[64:65], exec
	s_and_b64 s[4:5], s[4:5], exec
	s_mov_b32 s68, 0
	s_or_b64 s[64:65], s[64:65], s[4:5]
	s_or_b64 exec, exec, s[66:67]
	v_mov_b32_e32 v52, s68
	s_and_saveexec_b64 s[4:5], s[64:65]
	s_cbranch_execnz .LBB94_6668
	s_branch .LBB94_6669
.LBB94_7393:
	v_mov_b32_e32 v5, 25
	v_cmp_gt_i16_sdwa s[4:5], v11, v5 src0_sel:BYTE_0 src1_sel:DWORD
	s_mov_b64 s[78:79], s[70:71]
	s_and_saveexec_b64 s[80:81], s[4:5]
	s_xor_b64 s[80:81], exec, s[80:81]
	s_cbranch_execz .LBB94_7429
; %bb.7394:
	v_mov_b32_e32 v5, 28
	v_cmp_gt_i16_sdwa s[4:5], v11, v5 src0_sel:BYTE_0 src1_sel:DWORD
	s_mov_b64 s[82:83], s[70:71]
	s_and_saveexec_b64 s[78:79], s[4:5]
	s_xor_b64 s[78:79], exec, s[78:79]
	s_cbranch_execz .LBB94_7412
; %bb.7395:
	v_mov_b32_e32 v5, 43
	v_cmp_gt_i16_sdwa s[82:83], v11, v5 src0_sel:BYTE_0 src1_sel:DWORD
	s_mov_b64 s[4:5], 0
	s_mov_b64 s[6:7], s[70:71]
	s_and_saveexec_b64 s[84:85], s[82:83]
	s_xor_b64 s[82:83], exec, s[84:85]
	s_cbranch_execz .LBB94_7407
; %bb.7396:
	v_mov_b32_e32 v5, 45
	v_cmp_gt_i16_sdwa s[4:5], v11, v5 src0_sel:BYTE_0 src1_sel:DWORD
	s_mov_b64 s[84:85], 0
	s_mov_b64 s[86:87], s[70:71]
	s_and_saveexec_b64 s[6:7], s[4:5]
	s_xor_b64 s[6:7], exec, s[6:7]
	s_cbranch_execz .LBB94_7400
; %bb.7397:
	v_mov_b32_e32 v5, 46
	v_cmp_eq_u16_sdwa s[88:89], v11, v5 src0_sel:BYTE_0 src1_sel:DWORD
	s_mov_b64 s[4:5], -1
	s_and_saveexec_b64 s[86:87], s[88:89]
	s_cbranch_execz .LBB94_7399
; %bb.7398:
	v_bfe_u32 v5, v4, 16, 1
	s_movk_i32 s4, 0x7fff
	v_add3_u32 v5, v4, v5, s4
	v_lshrrev_b32_e32 v5, 16, v5
	v_mov_b32_e32 v31, 0x7fc0
	v_cmp_o_f32_e64 s[4:5], v4, v4
	v_cndmask_b32_e64 v4, v31, v5, s[4:5]
	s_mov_b64 s[84:85], exec
	flat_store_dword v[2:3], v4
	s_xor_b64 s[4:5], exec, -1
.LBB94_7399:
	s_or_b64 exec, exec, s[86:87]
	s_andn2_b64 s[86:87], s[70:71], exec
	s_and_b64 s[4:5], s[4:5], exec
	s_or_b64 s[86:87], s[86:87], s[4:5]
	s_and_b64 s[84:85], s[84:85], exec
                                        ; implicit-def: $vgpr2_vgpr3
                                        ; implicit-def: $vgpr4
.LBB94_7400:
	s_andn2_saveexec_b64 s[88:89], s[6:7]
	s_cbranch_execz .LBB94_7406
; %bb.7401:
	v_mov_b32_e32 v5, 44
	v_cmp_eq_u16_sdwa s[92:93], v11, v5 src0_sel:BYTE_0 src1_sel:DWORD
	s_mov_b64 s[6:7], -1
	s_mov_b64 s[4:5], s[84:85]
	s_and_saveexec_b64 s[90:91], s[92:93]
	s_cbranch_execz .LBB94_7405
; %bb.7402:
	v_bfe_u32 v5, v4, 23, 8
	s_movk_i32 s4, 0xff
	v_cmp_ne_u32_e64 s[4:5], s4, v5
	v_mov_b32_e32 v31, 0xff
	s_and_saveexec_b64 s[92:93], s[4:5]
; %bb.7403:
	s_mov_b32 s6, 0x3fffff
	v_lshrrev_b32_e32 v31, 23, v4
	v_and_b32_e32 v32, 0x400000, v4
	v_and_or_b32 v4, v4, s6, v5
	v_cmp_ne_u32_e64 s[4:5], 0, v32
	v_cmp_ne_u32_e64 s[6:7], 0, v4
	s_and_b64 s[4:5], s[4:5], s[6:7]
	v_cndmask_b32_e64 v4, 0, 1, s[4:5]
	v_add_u32_e32 v31, v31, v4
; %bb.7404:
	s_or_b64 exec, exec, s[92:93]
	s_xor_b64 s[6:7], exec, -1
	s_or_b64 s[4:5], s[84:85], exec
	flat_store_byte v[2:3], v31
.LBB94_7405:
	s_or_b64 exec, exec, s[90:91]
	s_andn2_b64 s[86:87], s[86:87], exec
	s_and_b64 s[6:7], s[6:7], exec
	s_or_b64 s[86:87], s[86:87], s[6:7]
	s_andn2_b64 s[6:7], s[84:85], exec
	s_and_b64 s[4:5], s[4:5], exec
	s_or_b64 s[84:85], s[6:7], s[4:5]
.LBB94_7406:
	s_or_b64 exec, exec, s[88:89]
	s_andn2_b64 s[4:5], s[70:71], exec
	s_and_b64 s[6:7], s[86:87], exec
	s_or_b64 s[6:7], s[4:5], s[6:7]
	s_and_b64 s[4:5], s[84:85], exec
                                        ; implicit-def: $vgpr4
                                        ; implicit-def: $vgpr2_vgpr3
.LBB94_7407:
	s_andn2_saveexec_b64 s[82:83], s[82:83]
	s_cbranch_execz .LBB94_7411
; %bb.7408:
	v_mov_b32_e32 v5, 29
	v_cmp_eq_u16_sdwa s[90:91], v11, v5 src0_sel:BYTE_0 src1_sel:DWORD
	s_mov_b64 s[88:89], -1
	s_mov_b64 s[86:87], s[4:5]
	s_and_saveexec_b64 s[84:85], s[90:91]
	s_cbranch_execz .LBB94_7410
; %bb.7409:
	v_trunc_f32_e32 v4, v4
	v_mul_f32_e32 v5, 0x2f800000, v4
	v_floor_f32_e32 v31, v5
	v_fmac_f32_e32 v4, 0xcf800000, v31
	v_cvt_u32_f32_e32 v5, v31
	v_cvt_u32_f32_e32 v4, v4
	s_xor_b64 s[88:89], exec, -1
	s_or_b64 s[86:87], s[4:5], exec
	flat_store_dwordx2 v[2:3], v[4:5]
.LBB94_7410:
	s_or_b64 exec, exec, s[84:85]
	s_andn2_b64 s[6:7], s[6:7], exec
	s_and_b64 s[84:85], s[88:89], exec
	s_or_b64 s[6:7], s[6:7], s[84:85]
	s_andn2_b64 s[4:5], s[4:5], exec
	s_and_b64 s[84:85], s[86:87], exec
	s_or_b64 s[4:5], s[4:5], s[84:85]
.LBB94_7411:
	s_or_b64 exec, exec, s[82:83]
	s_andn2_b64 s[82:83], s[70:71], exec
	s_and_b64 s[6:7], s[6:7], exec
	s_or_b64 s[82:83], s[82:83], s[6:7]
	s_and_b64 s[6:7], s[4:5], exec
                                        ; implicit-def: $vgpr2_vgpr3
                                        ; implicit-def: $vgpr31
                                        ; implicit-def: $vgpr4
.LBB94_7412:
	s_andn2_saveexec_b64 s[78:79], s[78:79]
	s_cbranch_execz .LBB94_7428
; %bb.7413:
	v_mov_b32_e32 v5, 26
	v_cmp_gt_i16_sdwa s[4:5], v11, v5 src0_sel:BYTE_0 src1_sel:DWORD
	s_and_saveexec_b64 s[84:85], s[4:5]
	s_xor_b64 s[4:5], exec, s[84:85]
	s_cbranch_execz .LBB94_7419
; %bb.7414:
	v_cvt_u32_f32_e32 v4, v4
	v_mov_b32_e32 v5, 27
	v_cmp_gt_i16_sdwa s[84:85], v11, v5 src0_sel:BYTE_0 src1_sel:DWORD
	s_and_saveexec_b64 s[86:87], s[84:85]
	s_xor_b64 s[84:85], exec, s[86:87]
	s_cbranch_execz .LBB94_7416
; %bb.7415:
	flat_store_dword v[2:3], v4
                                        ; implicit-def: $vgpr2_vgpr3
                                        ; implicit-def: $vgpr4
.LBB94_7416:
	s_andn2_saveexec_b64 s[84:85], s[84:85]
	s_cbranch_execz .LBB94_7418
; %bb.7417:
	flat_store_short v[2:3], v4
.LBB94_7418:
	s_or_b64 exec, exec, s[84:85]
                                        ; implicit-def: $vgpr2_vgpr3
                                        ; implicit-def: $vgpr31
                                        ; implicit-def: $vgpr4
.LBB94_7419:
	s_andn2_saveexec_b64 s[84:85], s[4:5]
	s_cbranch_execz .LBB94_7427
; %bb.7420:
	v_cndmask_b32_e64 v31, |v0|, |v31|, vcc
	s_mov_b32 s4, 0x43800000
	v_cmp_gt_u32_e64 s[4:5], s4, v31
	v_mov_b32_e32 v32, 0x80
	s_and_saveexec_b64 s[86:87], s[4:5]
	s_cbranch_execz .LBB94_7426
; %bb.7421:
	s_mov_b32 s4, 0x3bffffff
	v_cmp_lt_u32_e64 s[4:5], s4, v31
	s_mov_b64 s[88:89], 0
                                        ; implicit-def: $vgpr5
	s_and_saveexec_b64 s[90:91], s[4:5]
	s_xor_b64 s[4:5], exec, s[90:91]
	s_cbranch_execnz .LBB94_7907
; %bb.7422:
	s_or_saveexec_b64 s[90:91], s[4:5]
                                        ; implicit-def: $sgpr92
	s_xor_b64 exec, exec, s[90:91]
	s_cbranch_execnz .LBB94_7908
.LBB94_7423:
	s_or_b64 exec, exec, s[90:91]
	v_mov_b32_e32 v32, s92
	s_and_saveexec_b64 s[4:5], s[88:89]
.LBB94_7424:
	v_lshrrev_b32_e32 v4, 24, v4
	s_movk_i32 s88, 0x80
	v_and_or_b32 v32, v4, s88, v5
.LBB94_7425:
	s_or_b64 exec, exec, s[4:5]
.LBB94_7426:
	s_or_b64 exec, exec, s[86:87]
	flat_store_byte v[2:3], v32
.LBB94_7427:
	s_or_b64 exec, exec, s[84:85]
	s_or_b64 s[6:7], s[6:7], exec
.LBB94_7428:
	s_or_b64 exec, exec, s[78:79]
	s_andn2_b64 s[4:5], s[70:71], exec
	s_and_b64 s[78:79], s[82:83], exec
	s_or_b64 s[78:79], s[4:5], s[78:79]
	s_and_b64 s[6:7], s[6:7], exec
                                        ; implicit-def: $vgpr4
                                        ; implicit-def: $vgpr2_vgpr3
                                        ; implicit-def: $vgpr31
.LBB94_7429:
	s_andn2_saveexec_b64 s[80:81], s[80:81]
	s_cbranch_execz .LBB94_7473
; %bb.7430:
	v_mov_b32_e32 v5, 22
	v_cmp_gt_i16_sdwa s[82:83], v11, v5 src0_sel:BYTE_0 src1_sel:DWORD
	s_mov_b64 s[4:5], s[6:7]
	s_and_saveexec_b64 s[84:85], s[82:83]
	s_xor_b64 s[82:83], exec, s[84:85]
	s_cbranch_execz .LBB94_7462
; %bb.7431:
	v_mov_b32_e32 v5, 23
	v_cmp_gt_i16_sdwa s[4:5], v11, v5 src0_sel:BYTE_0 src1_sel:DWORD
	s_and_saveexec_b64 s[84:85], s[4:5]
	s_xor_b64 s[84:85], exec, s[84:85]
	s_cbranch_execz .LBB94_7451
; %bb.7432:
	v_mov_b32_e32 v5, 24
	v_cmp_gt_i16_sdwa s[4:5], v11, v5 src0_sel:BYTE_0 src1_sel:DWORD
	s_and_saveexec_b64 s[86:87], s[4:5]
	s_xor_b64 s[86:87], exec, s[86:87]
	s_cbranch_execz .LBB94_7440
; %bb.7433:
	v_cndmask_b32_e64 v31, |v0|, |v31|, vcc
	s_mov_b32 s4, 0x47800000
	v_cmp_gt_u32_e64 s[4:5], s4, v31
	v_mov_b32_e32 v32, 0x80
	s_and_saveexec_b64 s[88:89], s[4:5]
	s_cbranch_execz .LBB94_7439
; %bb.7434:
	s_mov_b32 s4, 0x37ffffff
	v_cmp_lt_u32_e64 s[4:5], s4, v31
	s_mov_b64 s[90:91], 0
                                        ; implicit-def: $vgpr5
	s_and_saveexec_b64 s[92:93], s[4:5]
	s_xor_b64 s[4:5], exec, s[92:93]
	s_cbranch_execnz .LBB94_7909
; %bb.7435:
	s_or_saveexec_b64 s[92:93], s[4:5]
                                        ; implicit-def: $sgpr94
	s_xor_b64 exec, exec, s[92:93]
	s_cbranch_execnz .LBB94_7910
.LBB94_7436:
	s_or_b64 exec, exec, s[92:93]
	v_mov_b32_e32 v32, s94
	s_and_saveexec_b64 s[4:5], s[90:91]
.LBB94_7437:
	v_lshrrev_b32_e32 v4, 24, v4
	s_movk_i32 s90, 0x80
	v_and_or_b32 v32, v4, s90, v5
.LBB94_7438:
	s_or_b64 exec, exec, s[4:5]
.LBB94_7439:
	s_or_b64 exec, exec, s[88:89]
	flat_store_byte v[2:3], v32
                                        ; implicit-def: $vgpr4
                                        ; implicit-def: $vgpr2_vgpr3
                                        ; implicit-def: $vgpr31
.LBB94_7440:
	s_andn2_saveexec_b64 s[86:87], s[86:87]
	s_cbranch_execz .LBB94_7450
; %bb.7441:
	v_cndmask_b32_e64 v31, |v0|, |v31|, vcc
	s_mov_b32 s4, 0x43f00000
	v_cmp_gt_u32_e64 s[4:5], s4, v31
                                        ; implicit-def: $vgpr5
	s_and_saveexec_b64 s[88:89], s[4:5]
	s_xor_b64 s[88:89], exec, s[88:89]
	s_cbranch_execz .LBB94_7447
; %bb.7442:
	s_mov_b32 s4, 0x3c7fffff
	v_cmp_lt_u32_e64 s[4:5], s4, v31
                                        ; implicit-def: $vgpr5
	s_and_saveexec_b64 s[90:91], s[4:5]
	s_xor_b64 s[90:91], exec, s[90:91]
; %bb.7443:
	v_bfe_u32 v5, v4, 20, 1
	s_mov_b32 s4, 0x407ffff
	v_add3_u32 v5, v4, v5, s4
	v_lshrrev_b32_e32 v31, 20, v5
	v_and_b32_e32 v5, 0xff00000, v5
	s_mov_b32 s4, 0x7f00000
	v_mov_b32_e32 v32, 0x7e
	v_cmp_ne_u32_e64 s[4:5], s4, v5
	v_cndmask_b32_e64 v5, v32, v31, s[4:5]
                                        ; implicit-def: $vgpr31
; %bb.7444:
	s_andn2_saveexec_b64 s[4:5], s[90:91]
; %bb.7445:
	v_add_f32_e32 v5, 0x46800000, v31
; %bb.7446:
	s_or_b64 exec, exec, s[4:5]
                                        ; implicit-def: $vgpr31
.LBB94_7447:
	s_andn2_saveexec_b64 s[88:89], s[88:89]
; %bb.7448:
	s_mov_b32 s4, 0x7f800000
	v_mov_b32_e32 v5, 0x7e
	v_mov_b32_e32 v32, 0x7f
	v_cmp_lt_u32_e64 s[4:5], s4, v31
	v_cndmask_b32_e64 v5, v5, v32, s[4:5]
; %bb.7449:
	s_or_b64 exec, exec, s[88:89]
	v_lshrrev_b32_e32 v4, 24, v4
	s_movk_i32 s4, 0x80
	v_and_or_b32 v4, v4, s4, v5
	flat_store_byte v[2:3], v4
.LBB94_7450:
	s_or_b64 exec, exec, s[86:87]
                                        ; implicit-def: $vgpr4
                                        ; implicit-def: $vgpr2_vgpr3
                                        ; implicit-def: $vgpr31
.LBB94_7451:
	s_andn2_saveexec_b64 s[4:5], s[84:85]
	s_cbranch_execz .LBB94_7461
; %bb.7452:
	v_cndmask_b32_e64 v31, |v0|, |v31|, vcc
	s_mov_b32 vcc_lo, 0x47800000
	v_cmp_gt_u32_e32 vcc, vcc_lo, v31
                                        ; implicit-def: $vgpr5
	s_and_saveexec_b64 s[84:85], vcc
	s_xor_b64 s[84:85], exec, s[84:85]
	s_cbranch_execz .LBB94_7458
; %bb.7453:
	s_mov_b32 vcc_lo, 0x387fffff
	v_cmp_lt_u32_e32 vcc, vcc_lo, v31
                                        ; implicit-def: $vgpr5
	s_and_saveexec_b64 s[86:87], vcc
	s_xor_b64 vcc, exec, s[86:87]
; %bb.7454:
	v_bfe_u32 v5, v4, 21, 1
	s_mov_b32 s86, 0x80fffff
	v_add3_u32 v5, v4, v5, s86
	v_lshrrev_b32_e32 v5, 21, v5
                                        ; implicit-def: $vgpr31
; %bb.7455:
	s_andn2_saveexec_b64 vcc, vcc
; %bb.7456:
	v_add_f32_e32 v5, 0x43000000, v31
; %bb.7457:
	s_or_b64 exec, exec, vcc
                                        ; implicit-def: $vgpr31
.LBB94_7458:
	s_andn2_saveexec_b64 s[84:85], s[84:85]
; %bb.7459:
	s_mov_b32 vcc_lo, 0x7f800000
	v_mov_b32_e32 v5, 0x7c
	v_mov_b32_e32 v32, 0x7f
	v_cmp_lt_u32_e32 vcc, vcc_lo, v31
	v_cndmask_b32_e32 v5, v5, v32, vcc
; %bb.7460:
	s_or_b64 exec, exec, s[84:85]
	v_lshrrev_b32_e32 v4, 24, v4
	s_movk_i32 vcc_lo, 0x80
	v_and_or_b32 v4, v4, vcc_lo, v5
	flat_store_byte v[2:3], v4
.LBB94_7461:
	s_or_b64 exec, exec, s[4:5]
	s_or_b64 s[4:5], s[6:7], exec
                                        ; implicit-def: $vgpr4
                                        ; implicit-def: $vgpr2_vgpr3
.LBB94_7462:
	s_or_saveexec_b64 s[82:83], s[82:83]
	s_mov_b64 vcc, s[78:79]
	s_xor_b64 exec, exec, s[82:83]
	s_cbranch_execz .LBB94_7472
; %bb.7463:
	v_mov_b32_e32 v5, 14
	v_cmp_gt_i16_sdwa vcc, v11, v5 src0_sel:BYTE_0 src1_sel:DWORD
	s_mov_b64 s[84:85], s[4:5]
	s_mov_b64 s[86:87], s[78:79]
	s_and_saveexec_b64 s[88:89], vcc
	s_xor_b64 s[88:89], exec, s[88:89]
	s_cbranch_execz .LBB94_7467
; %bb.7464:
	v_mov_b32_e32 v5, 15
	v_cmp_eq_u16_sdwa s[90:91], v11, v5 src0_sel:BYTE_0 src1_sel:DWORD
	s_mov_b64 s[86:87], -1
	s_mov_b64 vcc, s[4:5]
	s_and_saveexec_b64 s[84:85], s[90:91]
	s_cbranch_execz .LBB94_7466
; %bb.7465:
	v_bfe_u32 v5, v4, 16, 1
	s_movk_i32 vcc_lo, 0x7fff
	v_add3_u32 v5, v4, v5, vcc_lo
	v_lshrrev_b32_e32 v5, 16, v5
	v_mov_b32_e32 v31, 0x7fc0
	v_cmp_o_f32_e32 vcc, v4, v4
	v_cndmask_b32_e32 v4, v31, v5, vcc
	flat_store_short v[2:3], v4
	s_xor_b64 s[86:87], exec, -1
	s_or_b64 vcc, s[4:5], exec
.LBB94_7466:
	s_or_b64 exec, exec, s[84:85]
	s_andn2_b64 s[84:85], s[78:79], exec
	s_and_b64 s[86:87], s[86:87], exec
	s_or_b64 s[86:87], s[84:85], s[86:87]
	s_andn2_b64 s[84:85], s[4:5], exec
	s_and_b64 vcc, vcc, exec
	s_or_b64 s[84:85], s[84:85], vcc
                                        ; implicit-def: $vgpr4
                                        ; implicit-def: $vgpr2_vgpr3
.LBB94_7467:
	s_andn2_saveexec_b64 s[88:89], s[88:89]
	s_cbranch_execz .LBB94_7471
; %bb.7468:
	v_mov_b32_e32 v5, 11
	v_cmp_eq_u16_sdwa s[94:95], v11, v5 src0_sel:BYTE_0 src1_sel:DWORD
	s_mov_b64 s[90:91], -1
	s_mov_b64 vcc, s[84:85]
	s_and_saveexec_b64 s[92:93], s[94:95]
	s_cbranch_execz .LBB94_7470
; %bb.7469:
	v_cmp_neq_f32_e32 vcc, 0, v4
	v_cndmask_b32_e64 v4, 0, 1, vcc
	flat_store_byte v[2:3], v4
	s_xor_b64 s[90:91], exec, -1
	s_or_b64 vcc, s[84:85], exec
.LBB94_7470:
	s_or_b64 exec, exec, s[92:93]
	s_andn2_b64 s[86:87], s[86:87], exec
	s_and_b64 s[90:91], s[90:91], exec
	s_andn2_b64 s[84:85], s[84:85], exec
	s_and_b64 vcc, vcc, exec
	s_or_b64 s[86:87], s[86:87], s[90:91]
	s_or_b64 s[84:85], s[84:85], vcc
.LBB94_7471:
	s_or_b64 exec, exec, s[88:89]
	s_andn2_b64 vcc, s[78:79], exec
	s_and_b64 s[86:87], s[86:87], exec
	s_andn2_b64 s[4:5], s[4:5], exec
	s_and_b64 s[84:85], s[84:85], exec
	s_or_b64 vcc, vcc, s[86:87]
	s_or_b64 s[4:5], s[4:5], s[84:85]
.LBB94_7472:
	s_or_b64 exec, exec, s[82:83]
	s_andn2_b64 s[78:79], s[78:79], exec
	s_and_b64 vcc, vcc, exec
	s_andn2_b64 s[6:7], s[6:7], exec
	s_and_b64 s[4:5], s[4:5], exec
	s_or_b64 s[78:79], s[78:79], vcc
	s_or_b64 s[6:7], s[6:7], s[4:5]
.LBB94_7473:
	s_or_b64 exec, exec, s[80:81]
	s_andn2_b64 s[4:5], s[70:71], exec
	s_and_b64 vcc, s[78:79], exec
	s_or_b64 s[4:5], s[4:5], vcc
	s_and_b64 s[6:7], s[6:7], exec
                                        ; implicit-def: $vgpr4
                                        ; implicit-def: $vgpr2_vgpr3
	s_andn2_saveexec_b64 s[74:75], s[74:75]
	s_cbranch_execz .LBB94_4048
.LBB94_7474:
	v_mov_b32_e32 v5, 4
	v_cmp_gt_i16_sdwa vcc, v11, v5 src0_sel:BYTE_0 src1_sel:DWORD
	s_and_saveexec_b64 s[78:79], vcc
	s_xor_b64 vcc, exec, s[78:79]
	s_cbranch_execz .LBB94_7496
; %bb.7475:
	v_mov_b32_e32 v5, 7
	v_cmp_gt_i16_sdwa s[78:79], v11, v5 src0_sel:BYTE_0 src1_sel:DWORD
	s_and_saveexec_b64 s[80:81], s[78:79]
	s_xor_b64 s[78:79], exec, s[80:81]
	s_cbranch_execz .LBB94_7485
; %bb.7476:
	v_mov_b32_e32 v5, 8
	v_cmp_gt_i16_sdwa s[80:81], v11, v5 src0_sel:BYTE_0 src1_sel:DWORD
	s_and_saveexec_b64 s[82:83], s[80:81]
	s_xor_b64 s[80:81], exec, s[82:83]
	;; [unrolled: 6-line block ×3, first 2 shown]
	s_cbranch_execz .LBB94_7479
; %bb.7478:
	v_mov_b32_e32 v34, 0
	v_cvt_f64_f32_e32 v[32:33], v4
	v_mov_b32_e32 v35, v34
	flat_store_dwordx4 v[2:3], v[32:35]
                                        ; implicit-def: $vgpr4
                                        ; implicit-def: $vgpr2_vgpr3
.LBB94_7479:
	s_andn2_saveexec_b64 s[82:83], s[82:83]
	s_cbranch_execz .LBB94_7481
; %bb.7480:
	v_mov_b32_e32 v5, 0
	flat_store_dwordx2 v[2:3], v[4:5]
.LBB94_7481:
	s_or_b64 exec, exec, s[82:83]
                                        ; implicit-def: $vgpr4
                                        ; implicit-def: $vgpr2_vgpr3
.LBB94_7482:
	s_andn2_saveexec_b64 s[80:81], s[80:81]
	s_cbranch_execz .LBB94_7484
; %bb.7483:
	v_cvt_f16_f32_e32 v4, v4
	flat_store_dword v[2:3], v4
.LBB94_7484:
	s_or_b64 exec, exec, s[80:81]
                                        ; implicit-def: $vgpr4
                                        ; implicit-def: $vgpr2_vgpr3
.LBB94_7485:
	s_andn2_saveexec_b64 s[78:79], s[78:79]
	s_cbranch_execz .LBB94_7495
; %bb.7486:
	v_mov_b32_e32 v5, 5
	v_cmp_gt_i16_sdwa s[80:81], v11, v5 src0_sel:BYTE_0 src1_sel:DWORD
	s_and_saveexec_b64 s[82:83], s[80:81]
	s_xor_b64 s[80:81], exec, s[82:83]
	s_cbranch_execz .LBB94_7492
; %bb.7487:
	v_mov_b32_e32 v5, 6
	v_cmp_gt_i16_sdwa s[82:83], v11, v5 src0_sel:BYTE_0 src1_sel:DWORD
	s_and_saveexec_b64 s[84:85], s[82:83]
	s_xor_b64 s[82:83], exec, s[84:85]
	s_cbranch_execz .LBB94_7489
; %bb.7488:
	v_cvt_f64_f32_e32 v[4:5], v4
	flat_store_dwordx2 v[2:3], v[4:5]
                                        ; implicit-def: $vgpr2_vgpr3
                                        ; implicit-def: $vgpr4
.LBB94_7489:
	s_andn2_saveexec_b64 s[82:83], s[82:83]
	s_cbranch_execz .LBB94_7491
; %bb.7490:
	flat_store_dword v[2:3], v4
.LBB94_7491:
	s_or_b64 exec, exec, s[82:83]
                                        ; implicit-def: $vgpr4
                                        ; implicit-def: $vgpr2_vgpr3
.LBB94_7492:
	s_andn2_saveexec_b64 s[80:81], s[80:81]
	s_cbranch_execz .LBB94_7494
; %bb.7493:
	v_cvt_f16_f32_e32 v4, v4
	flat_store_short v[2:3], v4
.LBB94_7494:
	s_or_b64 exec, exec, s[80:81]
.LBB94_7495:
	s_or_b64 exec, exec, s[78:79]
                                        ; implicit-def: $vgpr4
                                        ; implicit-def: $vgpr2_vgpr3
.LBB94_7496:
	s_andn2_saveexec_b64 s[78:79], vcc
	s_cbranch_execz .LBB94_7514
; %bb.7497:
	v_mov_b32_e32 v5, 1
	v_cmp_gt_i16_sdwa vcc, v11, v5 src0_sel:BYTE_0 src1_sel:DWORD
	s_and_saveexec_b64 s[80:81], vcc
	s_xor_b64 s[80:81], exec, s[80:81]
	s_cbranch_execz .LBB94_7507
; %bb.7498:
	v_mov_b32_e32 v5, 2
	v_cmp_gt_i16_sdwa vcc, v11, v5 src0_sel:BYTE_0 src1_sel:DWORD
	s_and_saveexec_b64 s[82:83], vcc
	s_xor_b64 s[82:83], exec, s[82:83]
	;; [unrolled: 6-line block ×3, first 2 shown]
	s_cbranch_execz .LBB94_7501
; %bb.7500:
	v_trunc_f32_e32 v4, v4
	s_mov_b32 s86, 0x2f800000
	v_mul_f32_e64 v5, |v4|, s86
	v_floor_f32_e32 v5, v5
	s_mov_b32 s86, 0xcf800000
	v_cvt_u32_f32_e32 v31, v5
	v_fma_f32 v5, v5, s86, |v4|
	v_cvt_u32_f32_e32 v5, v5
	v_ashrrev_i32_e32 v32, 31, v4
	v_xor_b32_e32 v31, v31, v32
	v_xor_b32_e32 v4, v5, v32
	v_sub_co_u32_e32 v4, vcc, v4, v32
	v_subb_co_u32_e32 v5, vcc, v31, v32, vcc
	flat_store_dwordx2 v[2:3], v[4:5]
                                        ; implicit-def: $vgpr4
                                        ; implicit-def: $vgpr2_vgpr3
.LBB94_7501:
	s_andn2_saveexec_b64 vcc, s[84:85]
	s_cbranch_execz .LBB94_7503
; %bb.7502:
	v_cvt_i32_f32_e32 v4, v4
	flat_store_dword v[2:3], v4
.LBB94_7503:
	s_or_b64 exec, exec, vcc
                                        ; implicit-def: $vgpr4
                                        ; implicit-def: $vgpr2_vgpr3
.LBB94_7504:
	s_andn2_saveexec_b64 vcc, s[82:83]
	s_cbranch_execz .LBB94_7506
; %bb.7505:
	v_cvt_i32_f32_e32 v4, v4
	flat_store_short v[2:3], v4
.LBB94_7506:
	s_or_b64 exec, exec, vcc
                                        ; implicit-def: $vgpr4
                                        ; implicit-def: $vgpr2_vgpr3
.LBB94_7507:
	s_andn2_saveexec_b64 vcc, s[80:81]
	s_cbranch_execz .LBB94_7513
; %bb.7508:
	v_mov_b32_e32 v5, 0
	v_cmp_gt_i16_sdwa s[80:81], v11, v5 src0_sel:BYTE_0 src1_sel:DWORD
	s_and_saveexec_b64 s[82:83], s[80:81]
	s_xor_b64 s[80:81], exec, s[82:83]
	s_cbranch_execz .LBB94_7510
; %bb.7509:
	v_cvt_i32_f32_e32 v4, v4
	flat_store_byte v[2:3], v4
                                        ; implicit-def: $vgpr4
                                        ; implicit-def: $vgpr2_vgpr3
.LBB94_7510:
	s_andn2_saveexec_b64 s[80:81], s[80:81]
	s_cbranch_execz .LBB94_7512
; %bb.7511:
	v_trunc_f32_e32 v4, v4
	s_mov_b32 s82, 0x2f800000
	v_mul_f32_e64 v5, |v4|, s82
	v_floor_f32_e32 v5, v5
	s_mov_b32 s82, 0xcf800000
	v_fma_f32 v5, v5, s82, |v4|
	v_cvt_u32_f32_e32 v5, v5
	v_ashrrev_i32_e32 v4, 31, v4
	v_xor_b32_e32 v5, v5, v4
	v_sub_u32_e32 v4, v5, v4
	flat_store_byte v[2:3], v4
.LBB94_7512:
	s_or_b64 exec, exec, s[80:81]
.LBB94_7513:
	s_or_b64 exec, exec, vcc
.LBB94_7514:
	s_or_b64 exec, exec, s[78:79]
	s_or_b64 s[6:7], s[6:7], exec
	s_or_b64 exec, exec, s[74:75]
	s_mov_b64 vcc, 0
	s_and_saveexec_b64 s[74:75], s[6:7]
	s_cbranch_execnz .LBB94_4049
	s_branch .LBB94_4050
.LBB94_7515:
	v_bfe_u32 v5, v4, 21, 1
	s_mov_b32 s68, 0x88fffff
	v_add3_u32 v5, v4, v5, s68
	s_mov_b64 s[66:67], exec
	v_lshrrev_b32_e32 v5, 21, v5
                                        ; implicit-def: $vgpr51
	s_or_saveexec_b64 s[68:69], s[4:5]
                                        ; implicit-def: $sgpr70
	s_xor_b64 exec, exec, s[68:69]
	s_cbranch_execz .LBB94_6680
.LBB94_7516:
	v_add_f32_e32 v5, 0x42800000, v51
	v_and_b32_e32 v5, 0xff, v5
	v_cmp_ne_u32_e64 s[4:5], 0, v5
	s_andn2_b64 s[66:67], s[66:67], exec
	s_and_b64 s[4:5], s[4:5], exec
	s_mov_b32 s70, 0
	s_or_b64 s[66:67], s[66:67], s[4:5]
	s_or_b64 exec, exec, s[68:69]
	v_mov_b32_e32 v52, s70
	s_and_saveexec_b64 s[4:5], s[66:67]
	s_cbranch_execnz .LBB94_6681
	s_branch .LBB94_6682
.LBB94_7517:
	v_bfe_u32 v5, v4, 20, 1
	s_mov_b32 s70, 0x487ffff
	v_add3_u32 v5, v4, v5, s70
	s_mov_b64 s[68:69], exec
	v_lshrrev_b32_e32 v5, 20, v5
                                        ; implicit-def: $vgpr49
	s_or_saveexec_b64 s[70:71], s[4:5]
                                        ; implicit-def: $sgpr72
	s_xor_b64 exec, exec, s[70:71]
	s_cbranch_execz .LBB94_6795
.LBB94_7518:
	v_add_f32_e32 v5, 0x46000000, v49
	v_and_b32_e32 v5, 0xff, v5
	v_cmp_ne_u32_e64 s[4:5], 0, v5
	s_andn2_b64 s[68:69], s[68:69], exec
	s_and_b64 s[4:5], s[4:5], exec
	s_mov_b32 s72, 0
	s_or_b64 s[68:69], s[68:69], s[4:5]
	s_or_b64 exec, exec, s[70:71]
	v_mov_b32_e32 v50, s72
	s_and_saveexec_b64 s[4:5], s[68:69]
	s_cbranch_execnz .LBB94_6796
	s_branch .LBB94_6797
.LBB94_7519:
	v_mov_b32_e32 v5, 25
	v_cmp_gt_i16_sdwa s[4:5], v11, v5 src0_sel:BYTE_0 src1_sel:DWORD
	s_mov_b64 s[82:83], s[74:75]
	s_and_saveexec_b64 s[84:85], s[4:5]
	s_xor_b64 s[84:85], exec, s[84:85]
	s_cbranch_execz .LBB94_7555
; %bb.7520:
	v_mov_b32_e32 v5, 28
	v_cmp_gt_i16_sdwa s[4:5], v11, v5 src0_sel:BYTE_0 src1_sel:DWORD
	s_mov_b64 s[86:87], s[74:75]
	s_and_saveexec_b64 s[82:83], s[4:5]
	s_xor_b64 s[82:83], exec, s[82:83]
	s_cbranch_execz .LBB94_7538
; %bb.7521:
	v_mov_b32_e32 v5, 43
	v_cmp_gt_i16_sdwa s[86:87], v11, v5 src0_sel:BYTE_0 src1_sel:DWORD
	s_mov_b64 s[4:5], 0
	s_mov_b64 s[6:7], s[74:75]
	s_and_saveexec_b64 s[88:89], s[86:87]
	s_xor_b64 s[86:87], exec, s[88:89]
	s_cbranch_execz .LBB94_7533
; %bb.7522:
	v_mov_b32_e32 v5, 45
	v_cmp_gt_i16_sdwa s[4:5], v11, v5 src0_sel:BYTE_0 src1_sel:DWORD
	s_mov_b64 s[88:89], 0
	s_mov_b64 s[90:91], s[74:75]
	s_and_saveexec_b64 s[6:7], s[4:5]
	s_xor_b64 s[6:7], exec, s[6:7]
	s_cbranch_execz .LBB94_7526
; %bb.7523:
	v_mov_b32_e32 v5, 46
	v_cmp_eq_u16_sdwa s[92:93], v11, v5 src0_sel:BYTE_0 src1_sel:DWORD
	s_mov_b64 s[4:5], -1
	s_and_saveexec_b64 s[90:91], s[92:93]
	s_cbranch_execz .LBB94_7525
; %bb.7524:
	v_bfe_u32 v5, v4, 16, 1
	s_movk_i32 s4, 0x7fff
	v_add3_u32 v5, v4, v5, s4
	v_lshrrev_b32_e32 v5, 16, v5
	v_mov_b32_e32 v29, 0x7fc0
	v_cmp_o_f32_e64 s[4:5], v4, v4
	v_cndmask_b32_e64 v4, v29, v5, s[4:5]
	s_mov_b64 s[88:89], exec
	flat_store_dword v[2:3], v4
	s_xor_b64 s[4:5], exec, -1
.LBB94_7525:
	s_or_b64 exec, exec, s[90:91]
	s_andn2_b64 s[90:91], s[74:75], exec
	s_and_b64 s[4:5], s[4:5], exec
	s_or_b64 s[90:91], s[90:91], s[4:5]
	s_and_b64 s[88:89], s[88:89], exec
                                        ; implicit-def: $vgpr2_vgpr3
                                        ; implicit-def: $vgpr4
.LBB94_7526:
	s_andn2_saveexec_b64 s[92:93], s[6:7]
	s_cbranch_execz .LBB94_7532
; %bb.7527:
	v_mov_b32_e32 v5, 44
	v_cmp_eq_u16_sdwa s[96:97], v11, v5 src0_sel:BYTE_0 src1_sel:DWORD
	s_mov_b64 s[6:7], -1
	s_mov_b64 s[4:5], s[88:89]
	s_and_saveexec_b64 s[94:95], s[96:97]
	s_cbranch_execz .LBB94_7531
; %bb.7528:
	v_bfe_u32 v5, v4, 23, 8
	s_movk_i32 s4, 0xff
	v_cmp_ne_u32_e64 s[4:5], s4, v5
	v_mov_b32_e32 v29, 0xff
	s_and_saveexec_b64 s[96:97], s[4:5]
; %bb.7529:
	s_mov_b32 s6, 0x3fffff
	v_lshrrev_b32_e32 v29, 23, v4
	v_and_b32_e32 v30, 0x400000, v4
	v_and_or_b32 v4, v4, s6, v5
	v_cmp_ne_u32_e64 s[4:5], 0, v30
	v_cmp_ne_u32_e64 s[6:7], 0, v4
	s_and_b64 s[4:5], s[4:5], s[6:7]
	v_cndmask_b32_e64 v4, 0, 1, s[4:5]
	v_add_u32_e32 v29, v29, v4
; %bb.7530:
	s_or_b64 exec, exec, s[96:97]
	s_xor_b64 s[6:7], exec, -1
	s_or_b64 s[4:5], s[88:89], exec
	flat_store_byte v[2:3], v29
.LBB94_7531:
	s_or_b64 exec, exec, s[94:95]
	s_andn2_b64 s[76:77], s[90:91], exec
	s_and_b64 s[6:7], s[6:7], exec
	s_or_b64 s[90:91], s[76:77], s[6:7]
	s_andn2_b64 s[6:7], s[88:89], exec
	s_and_b64 s[4:5], s[4:5], exec
	s_or_b64 s[88:89], s[6:7], s[4:5]
.LBB94_7532:
	s_or_b64 exec, exec, s[92:93]
	s_andn2_b64 s[4:5], s[74:75], exec
	s_and_b64 s[6:7], s[90:91], exec
	s_or_b64 s[6:7], s[4:5], s[6:7]
	s_and_b64 s[4:5], s[88:89], exec
                                        ; implicit-def: $vgpr4
                                        ; implicit-def: $vgpr2_vgpr3
.LBB94_7533:
	s_andn2_saveexec_b64 s[86:87], s[86:87]
	s_cbranch_execz .LBB94_7537
; %bb.7534:
	v_mov_b32_e32 v5, 29
	v_cmp_eq_u16_sdwa s[94:95], v11, v5 src0_sel:BYTE_0 src1_sel:DWORD
	s_mov_b64 s[92:93], -1
	s_mov_b64 s[90:91], s[4:5]
	s_and_saveexec_b64 s[88:89], s[94:95]
	s_cbranch_execz .LBB94_7536
; %bb.7535:
	v_trunc_f32_e32 v4, v4
	v_mul_f32_e32 v5, 0x2f800000, v4
	v_floor_f32_e32 v29, v5
	v_fmac_f32_e32 v4, 0xcf800000, v29
	v_cvt_u32_f32_e32 v5, v29
	v_cvt_u32_f32_e32 v4, v4
	s_xor_b64 s[92:93], exec, -1
	s_or_b64 s[90:91], s[4:5], exec
	flat_store_dwordx2 v[2:3], v[4:5]
.LBB94_7536:
	s_or_b64 exec, exec, s[88:89]
	s_andn2_b64 s[6:7], s[6:7], exec
	s_and_b64 s[88:89], s[92:93], exec
	s_or_b64 s[6:7], s[6:7], s[88:89]
	s_andn2_b64 s[4:5], s[4:5], exec
	s_and_b64 s[88:89], s[90:91], exec
	s_or_b64 s[4:5], s[4:5], s[88:89]
.LBB94_7537:
	s_or_b64 exec, exec, s[86:87]
	s_andn2_b64 s[76:77], s[74:75], exec
	s_and_b64 s[6:7], s[6:7], exec
	s_or_b64 s[86:87], s[76:77], s[6:7]
	s_and_b64 s[6:7], s[4:5], exec
                                        ; implicit-def: $vgpr2_vgpr3
                                        ; implicit-def: $vgpr29
                                        ; implicit-def: $vgpr4
.LBB94_7538:
	s_andn2_saveexec_b64 s[82:83], s[82:83]
	s_cbranch_execz .LBB94_7554
; %bb.7539:
	v_mov_b32_e32 v5, 26
	v_cmp_gt_i16_sdwa s[4:5], v11, v5 src0_sel:BYTE_0 src1_sel:DWORD
	s_and_saveexec_b64 s[88:89], s[4:5]
	s_xor_b64 s[4:5], exec, s[88:89]
	s_cbranch_execz .LBB94_7545
; %bb.7540:
	v_cvt_u32_f32_e32 v4, v4
	v_mov_b32_e32 v5, 27
	v_cmp_gt_i16_sdwa s[88:89], v11, v5 src0_sel:BYTE_0 src1_sel:DWORD
	s_and_saveexec_b64 s[90:91], s[88:89]
	s_xor_b64 s[88:89], exec, s[90:91]
	s_cbranch_execz .LBB94_7542
; %bb.7541:
	flat_store_dword v[2:3], v4
                                        ; implicit-def: $vgpr2_vgpr3
                                        ; implicit-def: $vgpr4
.LBB94_7542:
	s_andn2_saveexec_b64 s[88:89], s[88:89]
	s_cbranch_execz .LBB94_7544
; %bb.7543:
	flat_store_short v[2:3], v4
.LBB94_7544:
	s_or_b64 exec, exec, s[88:89]
                                        ; implicit-def: $vgpr2_vgpr3
                                        ; implicit-def: $vgpr29
                                        ; implicit-def: $vgpr4
.LBB94_7545:
	s_andn2_saveexec_b64 s[88:89], s[4:5]
	s_cbranch_execz .LBB94_7553
; %bb.7546:
	v_cndmask_b32_e64 v29, |v0|, |v29|, vcc
	s_mov_b32 s4, 0x43800000
	v_cmp_gt_u32_e64 s[4:5], s4, v29
	v_mov_b32_e32 v30, 0x80
	s_and_saveexec_b64 s[90:91], s[4:5]
	s_cbranch_execz .LBB94_7552
; %bb.7547:
	s_mov_b32 s4, 0x3bffffff
	v_cmp_lt_u32_e64 s[4:5], s4, v29
	s_mov_b64 s[92:93], 0
                                        ; implicit-def: $vgpr5
	s_and_saveexec_b64 s[76:77], s[4:5]
	s_xor_b64 s[4:5], exec, s[76:77]
	s_cbranch_execnz .LBB94_7911
; %bb.7548:
	s_or_saveexec_b64 s[94:95], s[4:5]
                                        ; implicit-def: $sgpr96
	s_xor_b64 exec, exec, s[94:95]
	s_cbranch_execnz .LBB94_7912
.LBB94_7549:
	s_or_b64 exec, exec, s[94:95]
	v_mov_b32_e32 v30, s96
	s_and_saveexec_b64 s[4:5], s[92:93]
.LBB94_7550:
	v_lshrrev_b32_e32 v4, 24, v4
	s_movk_i32 s76, 0x80
	v_and_or_b32 v30, v4, s76, v5
.LBB94_7551:
	s_or_b64 exec, exec, s[4:5]
.LBB94_7552:
	s_or_b64 exec, exec, s[90:91]
	flat_store_byte v[2:3], v30
.LBB94_7553:
	s_or_b64 exec, exec, s[88:89]
	s_or_b64 s[6:7], s[6:7], exec
.LBB94_7554:
	s_or_b64 exec, exec, s[82:83]
	s_andn2_b64 s[4:5], s[74:75], exec
	s_and_b64 s[82:83], s[86:87], exec
	s_or_b64 s[82:83], s[4:5], s[82:83]
	s_and_b64 s[6:7], s[6:7], exec
                                        ; implicit-def: $vgpr4
                                        ; implicit-def: $vgpr2_vgpr3
                                        ; implicit-def: $vgpr29
.LBB94_7555:
	s_andn2_saveexec_b64 s[84:85], s[84:85]
	s_cbranch_execz .LBB94_7601
; %bb.7556:
	v_mov_b32_e32 v5, 22
	v_cmp_gt_i16_sdwa s[86:87], v11, v5 src0_sel:BYTE_0 src1_sel:DWORD
	s_mov_b64 s[4:5], s[6:7]
	s_and_saveexec_b64 s[88:89], s[86:87]
	s_xor_b64 s[86:87], exec, s[88:89]
	s_cbranch_execz .LBB94_7590
; %bb.7557:
	v_mov_b32_e32 v5, 23
	v_cmp_gt_i16_sdwa s[4:5], v11, v5 src0_sel:BYTE_0 src1_sel:DWORD
	s_and_saveexec_b64 s[88:89], s[4:5]
	s_xor_b64 s[88:89], exec, s[88:89]
	s_cbranch_execz .LBB94_7579
; %bb.7558:
	v_mov_b32_e32 v5, 24
	v_cmp_gt_i16_sdwa s[4:5], v11, v5 src0_sel:BYTE_0 src1_sel:DWORD
	s_and_saveexec_b64 s[90:91], s[4:5]
	s_xor_b64 s[90:91], exec, s[90:91]
	s_cbranch_execz .LBB94_7568
; %bb.7559:
	v_cndmask_b32_e64 v29, |v0|, |v29|, vcc
	s_mov_b32 s4, 0x47800000
	v_cmp_gt_u32_e64 s[4:5], s4, v29
	v_mov_b32_e32 v30, 0x80
	s_and_saveexec_b64 s[92:93], s[4:5]
	s_cbranch_execz .LBB94_7567
; %bb.7560:
	s_mov_b32 s4, 0x37ffffff
	v_cmp_lt_u32_e64 s[4:5], s4, v29
	s_mov_b64 s[94:95], 0
                                        ; implicit-def: $vgpr5
	s_and_saveexec_b64 s[76:77], s[4:5]
	s_xor_b64 s[4:5], exec, s[76:77]
; %bb.7561:
	v_bfe_u32 v5, v4, 21, 1
	s_mov_b32 s76, 0x88fffff
	v_add3_u32 v5, v4, v5, s76
	s_mov_b64 s[94:95], exec
	v_lshrrev_b32_e32 v5, 21, v5
                                        ; implicit-def: $vgpr29
; %bb.7562:
	s_or_saveexec_b64 s[96:97], s[4:5]
                                        ; implicit-def: $sgpr4
                                        ; kill: killed $sgpr4
	s_xor_b64 exec, exec, s[96:97]
	s_cbranch_execz .LBB94_7564
; %bb.7563:
	v_add_f32_e32 v5, 0x42800000, v29
	v_and_b32_e32 v5, 0xff, v5
	s_mov_b32 s4, 0
	v_writelane_b32 v43, s4, 22
	v_cmp_ne_u32_e64 s[4:5], 0, v5
	s_andn2_b64 s[76:77], s[94:95], exec
	s_and_b64 s[4:5], s[4:5], exec
	s_or_b64 s[94:95], s[76:77], s[4:5]
.LBB94_7564:
	s_or_b64 exec, exec, s[96:97]
	v_readlane_b32 s4, v43, 22
	v_mov_b32_e32 v30, s4
	s_and_saveexec_b64 s[4:5], s[94:95]
; %bb.7565:
	v_lshrrev_b32_e32 v4, 24, v4
	s_movk_i32 s76, 0x80
	v_and_or_b32 v30, v4, s76, v5
; %bb.7566:
	s_or_b64 exec, exec, s[4:5]
.LBB94_7567:
	s_or_b64 exec, exec, s[92:93]
	flat_store_byte v[2:3], v30
                                        ; implicit-def: $vgpr4
                                        ; implicit-def: $vgpr2_vgpr3
                                        ; implicit-def: $vgpr29
.LBB94_7568:
	s_andn2_saveexec_b64 s[90:91], s[90:91]
	s_cbranch_execz .LBB94_7578
; %bb.7569:
	v_cndmask_b32_e64 v29, |v0|, |v29|, vcc
	s_mov_b32 s4, 0x43f00000
	v_cmp_gt_u32_e64 s[4:5], s4, v29
                                        ; implicit-def: $vgpr5
	s_and_saveexec_b64 s[76:77], s[4:5]
	s_xor_b64 s[92:93], exec, s[76:77]
	s_cbranch_execz .LBB94_7575
; %bb.7570:
	s_mov_b32 s4, 0x3c7fffff
	v_cmp_lt_u32_e64 s[4:5], s4, v29
                                        ; implicit-def: $vgpr5
	s_and_saveexec_b64 s[76:77], s[4:5]
	s_xor_b64 s[94:95], exec, s[76:77]
; %bb.7571:
	v_bfe_u32 v5, v4, 20, 1
	s_mov_b32 s4, 0x407ffff
	v_add3_u32 v5, v4, v5, s4
	v_lshrrev_b32_e32 v29, 20, v5
	v_and_b32_e32 v5, 0xff00000, v5
	s_mov_b32 s4, 0x7f00000
	v_mov_b32_e32 v30, 0x7e
	v_cmp_ne_u32_e64 s[4:5], s4, v5
	v_cndmask_b32_e64 v5, v30, v29, s[4:5]
                                        ; implicit-def: $vgpr29
; %bb.7572:
	s_andn2_saveexec_b64 s[4:5], s[94:95]
; %bb.7573:
	v_add_f32_e32 v5, 0x46800000, v29
; %bb.7574:
	s_or_b64 exec, exec, s[4:5]
                                        ; implicit-def: $vgpr29
.LBB94_7575:
	s_andn2_saveexec_b64 s[92:93], s[92:93]
; %bb.7576:
	s_mov_b32 s4, 0x7f800000
	v_mov_b32_e32 v5, 0x7e
	v_mov_b32_e32 v30, 0x7f
	v_cmp_lt_u32_e64 s[4:5], s4, v29
	v_cndmask_b32_e64 v5, v5, v30, s[4:5]
; %bb.7577:
	s_or_b64 exec, exec, s[92:93]
	v_lshrrev_b32_e32 v4, 24, v4
	s_movk_i32 s4, 0x80
	v_and_or_b32 v4, v4, s4, v5
	flat_store_byte v[2:3], v4
.LBB94_7578:
	s_or_b64 exec, exec, s[90:91]
                                        ; implicit-def: $vgpr4
                                        ; implicit-def: $vgpr2_vgpr3
                                        ; implicit-def: $vgpr29
.LBB94_7579:
	s_andn2_saveexec_b64 s[4:5], s[88:89]
	s_cbranch_execz .LBB94_7589
; %bb.7580:
	v_cndmask_b32_e64 v29, |v0|, |v29|, vcc
	s_mov_b32 vcc_lo, 0x47800000
	v_cmp_gt_u32_e32 vcc, vcc_lo, v29
                                        ; implicit-def: $vgpr5
	s_and_saveexec_b64 s[76:77], vcc
	s_xor_b64 s[88:89], exec, s[76:77]
	s_cbranch_execz .LBB94_7586
; %bb.7581:
	s_mov_b32 vcc_lo, 0x387fffff
	v_cmp_lt_u32_e32 vcc, vcc_lo, v29
                                        ; implicit-def: $vgpr5
	s_and_saveexec_b64 s[76:77], vcc
	s_xor_b64 vcc, exec, s[76:77]
; %bb.7582:
	v_bfe_u32 v5, v4, 21, 1
	s_mov_b32 s76, 0x80fffff
	v_add3_u32 v5, v4, v5, s76
	v_lshrrev_b32_e32 v5, 21, v5
                                        ; implicit-def: $vgpr29
; %bb.7583:
	s_andn2_saveexec_b64 vcc, vcc
; %bb.7584:
	v_add_f32_e32 v5, 0x43000000, v29
; %bb.7585:
	s_or_b64 exec, exec, vcc
                                        ; implicit-def: $vgpr29
.LBB94_7586:
	s_andn2_saveexec_b64 s[88:89], s[88:89]
; %bb.7587:
	s_mov_b32 vcc_lo, 0x7f800000
	v_mov_b32_e32 v5, 0x7c
	v_mov_b32_e32 v30, 0x7f
	v_cmp_lt_u32_e32 vcc, vcc_lo, v29
	v_cndmask_b32_e32 v5, v5, v30, vcc
; %bb.7588:
	s_or_b64 exec, exec, s[88:89]
	v_lshrrev_b32_e32 v4, 24, v4
	s_movk_i32 vcc_lo, 0x80
	v_and_or_b32 v4, v4, vcc_lo, v5
	flat_store_byte v[2:3], v4
.LBB94_7589:
	s_or_b64 exec, exec, s[4:5]
	s_or_b64 s[4:5], s[6:7], exec
                                        ; implicit-def: $vgpr4
                                        ; implicit-def: $vgpr2_vgpr3
.LBB94_7590:
	s_or_saveexec_b64 s[86:87], s[86:87]
	s_mov_b64 vcc, s[82:83]
	s_xor_b64 exec, exec, s[86:87]
	s_cbranch_execz .LBB94_7600
; %bb.7591:
	v_mov_b32_e32 v5, 14
	v_cmp_gt_i16_sdwa vcc, v11, v5 src0_sel:BYTE_0 src1_sel:DWORD
	s_mov_b64 s[88:89], s[4:5]
	s_mov_b64 s[90:91], s[82:83]
	s_and_saveexec_b64 s[92:93], vcc
	s_xor_b64 s[92:93], exec, s[92:93]
	s_cbranch_execz .LBB94_7595
; %bb.7592:
	v_mov_b32_e32 v5, 15
	v_cmp_eq_u16_sdwa s[94:95], v11, v5 src0_sel:BYTE_0 src1_sel:DWORD
	s_mov_b64 s[90:91], -1
	s_mov_b64 vcc, s[4:5]
	s_and_saveexec_b64 s[88:89], s[94:95]
	s_cbranch_execz .LBB94_7594
; %bb.7593:
	v_bfe_u32 v5, v4, 16, 1
	s_movk_i32 vcc_lo, 0x7fff
	v_add3_u32 v5, v4, v5, vcc_lo
	v_lshrrev_b32_e32 v5, 16, v5
	v_mov_b32_e32 v29, 0x7fc0
	v_cmp_o_f32_e32 vcc, v4, v4
	v_cndmask_b32_e32 v4, v29, v5, vcc
	flat_store_short v[2:3], v4
	s_xor_b64 s[90:91], exec, -1
	s_or_b64 vcc, s[4:5], exec
.LBB94_7594:
	s_or_b64 exec, exec, s[88:89]
	s_andn2_b64 s[88:89], s[82:83], exec
	s_and_b64 s[90:91], s[90:91], exec
	s_or_b64 s[90:91], s[88:89], s[90:91]
	s_andn2_b64 s[88:89], s[4:5], exec
	s_and_b64 vcc, vcc, exec
	s_or_b64 s[88:89], s[88:89], vcc
                                        ; implicit-def: $vgpr4
                                        ; implicit-def: $vgpr2_vgpr3
.LBB94_7595:
	s_andn2_saveexec_b64 s[92:93], s[92:93]
	s_cbranch_execz .LBB94_7599
; %bb.7596:
	v_mov_b32_e32 v5, 11
	v_cmp_eq_u16_sdwa s[76:77], v11, v5 src0_sel:BYTE_0 src1_sel:DWORD
	s_mov_b64 s[94:95], -1
	s_mov_b64 vcc, s[88:89]
	s_and_saveexec_b64 s[96:97], s[76:77]
	s_cbranch_execz .LBB94_7598
; %bb.7597:
	v_cmp_neq_f32_e32 vcc, 0, v4
	v_cndmask_b32_e64 v4, 0, 1, vcc
	flat_store_byte v[2:3], v4
	s_xor_b64 s[94:95], exec, -1
	s_or_b64 vcc, s[88:89], exec
.LBB94_7598:
	s_or_b64 exec, exec, s[96:97]
	s_andn2_b64 s[76:77], s[90:91], exec
	s_and_b64 s[90:91], s[94:95], exec
	s_or_b64 s[90:91], s[76:77], s[90:91]
	s_andn2_b64 s[76:77], s[88:89], exec
	s_and_b64 vcc, vcc, exec
	s_or_b64 s[88:89], s[76:77], vcc
.LBB94_7599:
	s_or_b64 exec, exec, s[92:93]
	s_andn2_b64 vcc, s[82:83], exec
	s_and_b64 s[76:77], s[90:91], exec
	s_or_b64 vcc, vcc, s[76:77]
	s_andn2_b64 s[4:5], s[4:5], exec
	s_and_b64 s[76:77], s[88:89], exec
	s_or_b64 s[4:5], s[4:5], s[76:77]
.LBB94_7600:
	s_or_b64 exec, exec, s[86:87]
	s_andn2_b64 s[82:83], s[82:83], exec
	s_and_b64 vcc, vcc, exec
	s_andn2_b64 s[6:7], s[6:7], exec
	s_and_b64 s[4:5], s[4:5], exec
	s_or_b64 s[82:83], s[82:83], vcc
	s_or_b64 s[6:7], s[6:7], s[4:5]
.LBB94_7601:
	s_or_b64 exec, exec, s[84:85]
	s_andn2_b64 s[4:5], s[74:75], exec
	s_and_b64 vcc, s[82:83], exec
	s_or_b64 s[4:5], s[4:5], vcc
	s_and_b64 s[6:7], s[6:7], exec
                                        ; implicit-def: $vgpr4
                                        ; implicit-def: $vgpr2_vgpr3
	s_andn2_saveexec_b64 s[78:79], s[78:79]
	s_cbranch_execz .LBB94_4055
.LBB94_7602:
	v_mov_b32_e32 v5, 4
	v_cmp_gt_i16_sdwa vcc, v11, v5 src0_sel:BYTE_0 src1_sel:DWORD
	s_and_saveexec_b64 s[76:77], vcc
	s_xor_b64 vcc, exec, s[76:77]
	s_cbranch_execz .LBB94_7624
; %bb.7603:
	v_mov_b32_e32 v5, 7
	v_cmp_gt_i16_sdwa s[76:77], v11, v5 src0_sel:BYTE_0 src1_sel:DWORD
	s_and_saveexec_b64 s[82:83], s[76:77]
	s_xor_b64 s[82:83], exec, s[82:83]
	s_cbranch_execz .LBB94_7613
; %bb.7604:
	v_mov_b32_e32 v5, 8
	v_cmp_gt_i16_sdwa s[76:77], v11, v5 src0_sel:BYTE_0 src1_sel:DWORD
	s_and_saveexec_b64 s[84:85], s[76:77]
	s_xor_b64 s[84:85], exec, s[84:85]
	s_cbranch_execz .LBB94_7610
; %bb.7605:
	v_mov_b32_e32 v5, 9
	v_cmp_gt_i16_sdwa s[76:77], v11, v5 src0_sel:BYTE_0 src1_sel:DWORD
	s_and_saveexec_b64 s[86:87], s[76:77]
	s_xor_b64 s[86:87], exec, s[86:87]
	s_cbranch_execz .LBB94_7607
; %bb.7606:
	v_mov_b32_e32 v32, 0
	v_cvt_f64_f32_e32 v[30:31], v4
	v_mov_b32_e32 v33, v32
	flat_store_dwordx4 v[2:3], v[30:33]
                                        ; implicit-def: $vgpr4
                                        ; implicit-def: $vgpr2_vgpr3
.LBB94_7607:
	s_andn2_saveexec_b64 s[86:87], s[86:87]
	s_cbranch_execz .LBB94_7609
; %bb.7608:
	v_mov_b32_e32 v5, 0
	flat_store_dwordx2 v[2:3], v[4:5]
.LBB94_7609:
	s_or_b64 exec, exec, s[86:87]
                                        ; implicit-def: $vgpr4
                                        ; implicit-def: $vgpr2_vgpr3
.LBB94_7610:
	s_andn2_saveexec_b64 s[84:85], s[84:85]
	s_cbranch_execz .LBB94_7612
; %bb.7611:
	v_cvt_f16_f32_e32 v4, v4
	flat_store_dword v[2:3], v4
.LBB94_7612:
	s_or_b64 exec, exec, s[84:85]
                                        ; implicit-def: $vgpr4
                                        ; implicit-def: $vgpr2_vgpr3
.LBB94_7613:
	s_andn2_saveexec_b64 s[82:83], s[82:83]
	s_cbranch_execz .LBB94_7623
; %bb.7614:
	v_mov_b32_e32 v5, 5
	v_cmp_gt_i16_sdwa s[76:77], v11, v5 src0_sel:BYTE_0 src1_sel:DWORD
	s_and_saveexec_b64 s[84:85], s[76:77]
	s_xor_b64 s[84:85], exec, s[84:85]
	s_cbranch_execz .LBB94_7620
; %bb.7615:
	v_mov_b32_e32 v5, 6
	v_cmp_gt_i16_sdwa s[76:77], v11, v5 src0_sel:BYTE_0 src1_sel:DWORD
	s_and_saveexec_b64 s[86:87], s[76:77]
	s_xor_b64 s[86:87], exec, s[86:87]
	s_cbranch_execz .LBB94_7617
; %bb.7616:
	v_cvt_f64_f32_e32 v[4:5], v4
	flat_store_dwordx2 v[2:3], v[4:5]
                                        ; implicit-def: $vgpr2_vgpr3
                                        ; implicit-def: $vgpr4
.LBB94_7617:
	s_andn2_saveexec_b64 s[86:87], s[86:87]
	s_cbranch_execz .LBB94_7619
; %bb.7618:
	flat_store_dword v[2:3], v4
.LBB94_7619:
	s_or_b64 exec, exec, s[86:87]
                                        ; implicit-def: $vgpr4
                                        ; implicit-def: $vgpr2_vgpr3
.LBB94_7620:
	s_andn2_saveexec_b64 s[84:85], s[84:85]
	s_cbranch_execz .LBB94_7622
; %bb.7621:
	v_cvt_f16_f32_e32 v4, v4
	flat_store_short v[2:3], v4
.LBB94_7622:
	s_or_b64 exec, exec, s[84:85]
.LBB94_7623:
	s_or_b64 exec, exec, s[82:83]
                                        ; implicit-def: $vgpr4
                                        ; implicit-def: $vgpr2_vgpr3
.LBB94_7624:
	s_andn2_saveexec_b64 s[82:83], vcc
	s_cbranch_execz .LBB94_7642
; %bb.7625:
	v_mov_b32_e32 v5, 1
	v_cmp_gt_i16_sdwa vcc, v11, v5 src0_sel:BYTE_0 src1_sel:DWORD
	s_and_saveexec_b64 s[76:77], vcc
	s_xor_b64 s[84:85], exec, s[76:77]
	s_cbranch_execz .LBB94_7635
; %bb.7626:
	v_mov_b32_e32 v5, 2
	v_cmp_gt_i16_sdwa vcc, v11, v5 src0_sel:BYTE_0 src1_sel:DWORD
	s_and_saveexec_b64 s[76:77], vcc
	s_xor_b64 s[86:87], exec, s[76:77]
	;; [unrolled: 6-line block ×3, first 2 shown]
	s_cbranch_execz .LBB94_7629
; %bb.7628:
	v_trunc_f32_e32 v4, v4
	s_mov_b32 s76, 0x2f800000
	v_mul_f32_e64 v5, |v4|, s76
	v_floor_f32_e32 v5, v5
	s_mov_b32 s76, 0xcf800000
	v_cvt_u32_f32_e32 v29, v5
	v_fma_f32 v5, v5, s76, |v4|
	v_cvt_u32_f32_e32 v5, v5
	v_ashrrev_i32_e32 v30, 31, v4
	v_xor_b32_e32 v29, v29, v30
	v_xor_b32_e32 v4, v5, v30
	v_sub_co_u32_e32 v4, vcc, v4, v30
	v_subb_co_u32_e32 v5, vcc, v29, v30, vcc
	flat_store_dwordx2 v[2:3], v[4:5]
                                        ; implicit-def: $vgpr4
                                        ; implicit-def: $vgpr2_vgpr3
.LBB94_7629:
	s_andn2_saveexec_b64 vcc, s[88:89]
	s_cbranch_execz .LBB94_7631
; %bb.7630:
	v_cvt_i32_f32_e32 v4, v4
	flat_store_dword v[2:3], v4
.LBB94_7631:
	s_or_b64 exec, exec, vcc
                                        ; implicit-def: $vgpr4
                                        ; implicit-def: $vgpr2_vgpr3
.LBB94_7632:
	s_andn2_saveexec_b64 vcc, s[86:87]
	s_cbranch_execz .LBB94_7634
; %bb.7633:
	v_cvt_i32_f32_e32 v4, v4
	flat_store_short v[2:3], v4
.LBB94_7634:
	s_or_b64 exec, exec, vcc
                                        ; implicit-def: $vgpr4
                                        ; implicit-def: $vgpr2_vgpr3
.LBB94_7635:
	s_andn2_saveexec_b64 vcc, s[84:85]
	s_cbranch_execz .LBB94_7641
; %bb.7636:
	v_mov_b32_e32 v5, 0
	v_cmp_gt_i16_sdwa s[76:77], v11, v5 src0_sel:BYTE_0 src1_sel:DWORD
	s_and_saveexec_b64 s[84:85], s[76:77]
	s_xor_b64 s[84:85], exec, s[84:85]
	s_cbranch_execz .LBB94_7638
; %bb.7637:
	v_cvt_i32_f32_e32 v4, v4
	flat_store_byte v[2:3], v4
                                        ; implicit-def: $vgpr4
                                        ; implicit-def: $vgpr2_vgpr3
.LBB94_7638:
	s_andn2_saveexec_b64 s[84:85], s[84:85]
	s_cbranch_execz .LBB94_7640
; %bb.7639:
	v_trunc_f32_e32 v4, v4
	s_mov_b32 s76, 0x2f800000
	v_mul_f32_e64 v5, |v4|, s76
	v_floor_f32_e32 v5, v5
	s_mov_b32 s76, 0xcf800000
	v_fma_f32 v5, v5, s76, |v4|
	v_cvt_u32_f32_e32 v5, v5
	v_ashrrev_i32_e32 v4, 31, v4
	v_xor_b32_e32 v5, v5, v4
	v_sub_u32_e32 v4, v5, v4
	flat_store_byte v[2:3], v4
.LBB94_7640:
	s_or_b64 exec, exec, s[84:85]
.LBB94_7641:
	s_or_b64 exec, exec, vcc
.LBB94_7642:
	s_or_b64 exec, exec, s[82:83]
	s_or_b64 s[6:7], s[6:7], exec
	s_or_b64 exec, exec, s[78:79]
	s_mov_b64 vcc, 0
	s_and_saveexec_b64 s[78:79], s[6:7]
	s_cbranch_execnz .LBB94_4056
	s_branch .LBB94_4057
.LBB94_7643:
	v_bfe_u32 v5, v4, 21, 1
	s_mov_b32 s72, 0x88fffff
	v_add3_u32 v5, v4, v5, s72
	s_mov_b64 s[70:71], exec
	v_lshrrev_b32_e32 v5, 21, v5
                                        ; implicit-def: $vgpr49
	s_or_saveexec_b64 s[72:73], s[4:5]
                                        ; implicit-def: $sgpr74
	s_xor_b64 exec, exec, s[72:73]
	s_cbranch_execz .LBB94_6808
.LBB94_7644:
	v_add_f32_e32 v5, 0x42800000, v49
	v_and_b32_e32 v5, 0xff, v5
	v_cmp_ne_u32_e64 s[4:5], 0, v5
	s_andn2_b64 s[70:71], s[70:71], exec
	s_and_b64 s[4:5], s[4:5], exec
	s_mov_b32 s74, 0
	s_or_b64 s[70:71], s[70:71], s[4:5]
	s_or_b64 exec, exec, s[72:73]
	v_mov_b32_e32 v50, s74
	s_and_saveexec_b64 s[4:5], s[70:71]
	s_cbranch_execnz .LBB94_6809
	s_branch .LBB94_6810
.LBB94_7645:
	v_bfe_u32 v5, v4, 20, 1
	s_mov_b32 s74, 0x487ffff
	v_add3_u32 v5, v4, v5, s74
	s_mov_b64 s[72:73], exec
	v_lshrrev_b32_e32 v5, 20, v5
                                        ; implicit-def: $vgpr39
	s_or_saveexec_b64 s[74:75], s[4:5]
                                        ; implicit-def: $sgpr76
	s_xor_b64 exec, exec, s[74:75]
	s_cbranch_execz .LBB94_6921
.LBB94_7646:
	v_add_f32_e32 v5, 0x46000000, v39
	v_and_b32_e32 v5, 0xff, v5
	v_cmp_ne_u32_e64 s[4:5], 0, v5
	s_andn2_b64 s[72:73], s[72:73], exec
	s_and_b64 s[4:5], s[4:5], exec
	s_mov_b32 s76, 0
	s_or_b64 s[72:73], s[72:73], s[4:5]
	s_or_b64 exec, exec, s[74:75]
	v_mov_b32_e32 v48, s76
	s_and_saveexec_b64 s[4:5], s[72:73]
	s_cbranch_execnz .LBB94_6922
	s_branch .LBB94_6923
.LBB94_7647:
	v_mov_b32_e32 v5, 25
	v_readlane_b32 s86, v43, 18
	v_cmp_gt_i16_sdwa s[4:5], v11, v5 src0_sel:BYTE_0 src1_sel:DWORD
	v_readlane_b32 s87, v43, 19
	s_and_saveexec_b64 s[76:77], s[4:5]
	s_xor_b64 s[88:89], exec, s[76:77]
	s_cbranch_execz .LBB94_7683
; %bb.7648:
	v_mov_b32_e32 v5, 28
	v_readlane_b32 s90, v43, 18
	v_cmp_gt_i16_sdwa s[4:5], v11, v5 src0_sel:BYTE_0 src1_sel:DWORD
	v_readlane_b32 s91, v43, 19
	s_and_saveexec_b64 s[76:77], s[4:5]
	s_xor_b64 s[86:87], exec, s[76:77]
	s_cbranch_execz .LBB94_7666
; %bb.7649:
	v_mov_b32_e32 v5, 43
	v_readlane_b32 s6, v43, 18
	v_cmp_gt_i16_sdwa s[76:77], v11, v5 src0_sel:BYTE_0 src1_sel:DWORD
	s_mov_b64 s[4:5], 0
	v_readlane_b32 s7, v43, 19
	s_and_saveexec_b64 s[78:79], s[76:77]
	s_xor_b64 s[90:91], exec, s[78:79]
	s_cbranch_execz .LBB94_7661
; %bb.7650:
	v_mov_b32_e32 v5, 45
	v_readlane_b32 s94, v43, 18
	v_cmp_gt_i16_sdwa s[4:5], v11, v5 src0_sel:BYTE_0 src1_sel:DWORD
	s_mov_b64 s[92:93], 0
	v_readlane_b32 s95, v43, 19
	s_and_saveexec_b64 s[6:7], s[4:5]
	s_xor_b64 s[6:7], exec, s[6:7]
	s_cbranch_execz .LBB94_7654
; %bb.7651:
	v_mov_b32_e32 v5, 46
	v_cmp_eq_u16_sdwa s[76:77], v11, v5 src0_sel:BYTE_0 src1_sel:DWORD
	s_mov_b64 s[80:81], 0
	s_mov_b64 s[4:5], -1
	s_and_saveexec_b64 s[92:93], s[76:77]
	s_cbranch_execz .LBB94_7653
; %bb.7652:
	v_bfe_u32 v5, v4, 16, 1
	s_movk_i32 s4, 0x7fff
	v_add3_u32 v5, v4, v5, s4
	v_lshrrev_b32_e32 v5, 16, v5
	v_mov_b32_e32 v27, 0x7fc0
	v_cmp_o_f32_e64 s[4:5], v4, v4
	v_cndmask_b32_e64 v4, v27, v5, s[4:5]
	s_mov_b64 s[80:81], exec
	flat_store_dword v[2:3], v4
	s_xor_b64 s[4:5], exec, -1
.LBB94_7653:
	s_or_b64 exec, exec, s[92:93]
	v_readlane_b32 s76, v43, 18
	v_readlane_b32 s77, v43, 19
	s_andn2_b64 s[76:77], s[76:77], exec
	s_and_b64 s[4:5], s[4:5], exec
	s_or_b64 s[94:95], s[76:77], s[4:5]
	s_and_b64 s[92:93], s[80:81], exec
                                        ; implicit-def: $vgpr2_vgpr3
                                        ; implicit-def: $vgpr4
.LBB94_7654:
	s_andn2_saveexec_b64 s[96:97], s[6:7]
	s_cbranch_execz .LBB94_7660
; %bb.7655:
	v_mov_b32_e32 v5, 44
	v_cmp_eq_u16_sdwa s[76:77], v11, v5 src0_sel:BYTE_0 src1_sel:DWORD
	s_mov_b64 s[6:7], -1
	s_mov_b64 s[4:5], s[92:93]
	s_and_saveexec_b64 s[80:81], s[76:77]
	s_cbranch_execz .LBB94_7659
; %bb.7656:
	v_bfe_u32 v5, v4, 23, 8
	s_movk_i32 s4, 0xff
	v_cmp_ne_u32_e64 s[4:5], s4, v5
	v_mov_b32_e32 v27, 0xff
	s_and_saveexec_b64 s[76:77], s[4:5]
; %bb.7657:
	s_mov_b32 s6, 0x3fffff
	v_lshrrev_b32_e32 v27, 23, v4
	v_and_b32_e32 v28, 0x400000, v4
	v_and_or_b32 v4, v4, s6, v5
	v_cmp_ne_u32_e64 s[4:5], 0, v28
	v_cmp_ne_u32_e64 s[6:7], 0, v4
	s_and_b64 s[4:5], s[4:5], s[6:7]
	v_cndmask_b32_e64 v4, 0, 1, s[4:5]
	v_add_u32_e32 v27, v27, v4
; %bb.7658:
	s_or_b64 exec, exec, s[76:77]
	s_xor_b64 s[6:7], exec, -1
	s_or_b64 s[4:5], s[92:93], exec
	flat_store_byte v[2:3], v27
.LBB94_7659:
	s_or_b64 exec, exec, s[80:81]
	s_andn2_b64 s[76:77], s[94:95], exec
	s_and_b64 s[6:7], s[6:7], exec
	s_or_b64 s[94:95], s[76:77], s[6:7]
	s_andn2_b64 s[6:7], s[92:93], exec
	s_and_b64 s[4:5], s[4:5], exec
	s_or_b64 s[92:93], s[6:7], s[4:5]
.LBB94_7660:
	s_or_b64 exec, exec, s[96:97]
	v_readlane_b32 s4, v43, 18
	v_readlane_b32 s5, v43, 19
	s_andn2_b64 s[4:5], s[4:5], exec
	s_and_b64 s[6:7], s[94:95], exec
	s_or_b64 s[6:7], s[4:5], s[6:7]
	s_and_b64 s[4:5], s[92:93], exec
                                        ; implicit-def: $vgpr4
                                        ; implicit-def: $vgpr2_vgpr3
.LBB94_7661:
	s_andn2_saveexec_b64 s[90:91], s[90:91]
	s_cbranch_execz .LBB94_7665
; %bb.7662:
	v_mov_b32_e32 v5, 29
	v_cmp_eq_u16_sdwa s[76:77], v11, v5 src0_sel:BYTE_0 src1_sel:DWORD
	s_mov_b64 s[94:95], -1
	s_mov_b64 s[92:93], s[4:5]
	s_and_saveexec_b64 s[80:81], s[76:77]
	s_cbranch_execz .LBB94_7664
; %bb.7663:
	v_trunc_f32_e32 v4, v4
	v_mul_f32_e32 v5, 0x2f800000, v4
	v_floor_f32_e32 v27, v5
	v_fmac_f32_e32 v4, 0xcf800000, v27
	v_cvt_u32_f32_e32 v5, v27
	v_cvt_u32_f32_e32 v4, v4
	s_xor_b64 s[94:95], exec, -1
	s_or_b64 s[92:93], s[4:5], exec
	flat_store_dwordx2 v[2:3], v[4:5]
.LBB94_7664:
	s_or_b64 exec, exec, s[80:81]
	s_andn2_b64 s[6:7], s[6:7], exec
	s_and_b64 s[76:77], s[94:95], exec
	s_or_b64 s[6:7], s[6:7], s[76:77]
	s_andn2_b64 s[4:5], s[4:5], exec
	s_and_b64 s[76:77], s[92:93], exec
	s_or_b64 s[4:5], s[4:5], s[76:77]
.LBB94_7665:
	s_or_b64 exec, exec, s[90:91]
	v_readlane_b32 s76, v43, 18
	v_readlane_b32 s77, v43, 19
	s_andn2_b64 s[76:77], s[76:77], exec
	s_and_b64 s[6:7], s[6:7], exec
	s_or_b64 s[90:91], s[76:77], s[6:7]
	s_and_b64 s[6:7], s[4:5], exec
                                        ; implicit-def: $vgpr2_vgpr3
                                        ; implicit-def: $vgpr27
                                        ; implicit-def: $vgpr4
.LBB94_7666:
	s_andn2_saveexec_b64 s[86:87], s[86:87]
	s_cbranch_execz .LBB94_7682
; %bb.7667:
	v_mov_b32_e32 v5, 26
	v_cmp_gt_i16_sdwa s[4:5], v11, v5 src0_sel:BYTE_0 src1_sel:DWORD
	s_and_saveexec_b64 s[76:77], s[4:5]
	s_xor_b64 s[4:5], exec, s[76:77]
	s_cbranch_execz .LBB94_7673
; %bb.7668:
	v_cvt_u32_f32_e32 v4, v4
	v_mov_b32_e32 v5, 27
	v_cmp_gt_i16_sdwa s[76:77], v11, v5 src0_sel:BYTE_0 src1_sel:DWORD
	s_and_saveexec_b64 s[78:79], s[76:77]
	s_xor_b64 s[78:79], exec, s[78:79]
	s_cbranch_execz .LBB94_7670
; %bb.7669:
	flat_store_dword v[2:3], v4
                                        ; implicit-def: $vgpr2_vgpr3
                                        ; implicit-def: $vgpr4
.LBB94_7670:
	s_andn2_saveexec_b64 s[78:79], s[78:79]
	s_cbranch_execz .LBB94_7672
; %bb.7671:
	flat_store_short v[2:3], v4
.LBB94_7672:
	s_or_b64 exec, exec, s[78:79]
                                        ; implicit-def: $vgpr2_vgpr3
                                        ; implicit-def: $vgpr27
                                        ; implicit-def: $vgpr4
.LBB94_7673:
	s_andn2_saveexec_b64 s[92:93], s[4:5]
	s_cbranch_execz .LBB94_7681
; %bb.7674:
	v_cndmask_b32_e64 v27, |v0|, |v27|, vcc
	s_mov_b32 s4, 0x43800000
	v_cmp_gt_u32_e64 s[4:5], s4, v27
	v_mov_b32_e32 v28, 0x80
	s_and_saveexec_b64 s[94:95], s[4:5]
	s_cbranch_execz .LBB94_7680
; %bb.7675:
	s_mov_b32 s4, 0x3bffffff
	v_cmp_lt_u32_e64 s[4:5], s4, v27
	s_mov_b64 s[96:97], 0
                                        ; implicit-def: $vgpr5
	s_and_saveexec_b64 s[76:77], s[4:5]
	s_xor_b64 s[4:5], exec, s[76:77]
	s_cbranch_execnz .LBB94_7913
; %bb.7676:
	s_or_saveexec_b64 s[80:81], s[4:5]
                                        ; implicit-def: $sgpr78
	s_xor_b64 exec, exec, s[80:81]
	s_cbranch_execnz .LBB94_7914
.LBB94_7677:
	s_or_b64 exec, exec, s[80:81]
	v_mov_b32_e32 v28, s78
	s_and_saveexec_b64 s[4:5], s[96:97]
.LBB94_7678:
	v_lshrrev_b32_e32 v4, 24, v4
	s_movk_i32 s76, 0x80
	v_and_or_b32 v28, v4, s76, v5
.LBB94_7679:
	s_or_b64 exec, exec, s[4:5]
.LBB94_7680:
	s_or_b64 exec, exec, s[94:95]
	flat_store_byte v[2:3], v28
.LBB94_7681:
	s_or_b64 exec, exec, s[92:93]
	s_or_b64 s[6:7], s[6:7], exec
.LBB94_7682:
	s_or_b64 exec, exec, s[86:87]
	v_readlane_b32 s4, v43, 18
	v_readlane_b32 s5, v43, 19
	s_andn2_b64 s[4:5], s[4:5], exec
	s_and_b64 s[76:77], s[90:91], exec
	s_or_b64 s[86:87], s[4:5], s[76:77]
	s_and_b64 s[6:7], s[6:7], exec
                                        ; implicit-def: $vgpr4
                                        ; implicit-def: $vgpr2_vgpr3
                                        ; implicit-def: $vgpr27
.LBB94_7683:
	s_andn2_saveexec_b64 s[88:89], s[88:89]
	s_cbranch_execz .LBB94_7729
; %bb.7684:
	v_mov_b32_e32 v5, 22
	v_cmp_gt_i16_sdwa s[76:77], v11, v5 src0_sel:BYTE_0 src1_sel:DWORD
	s_mov_b64 s[4:5], s[6:7]
	s_and_saveexec_b64 s[78:79], s[76:77]
	s_xor_b64 s[90:91], exec, s[78:79]
	s_cbranch_execz .LBB94_7718
; %bb.7685:
	v_mov_b32_e32 v5, 23
	v_cmp_gt_i16_sdwa s[4:5], v11, v5 src0_sel:BYTE_0 src1_sel:DWORD
	s_and_saveexec_b64 s[76:77], s[4:5]
	s_xor_b64 s[92:93], exec, s[76:77]
	s_cbranch_execz .LBB94_7707
; %bb.7686:
	v_mov_b32_e32 v5, 24
	v_cmp_gt_i16_sdwa s[4:5], v11, v5 src0_sel:BYTE_0 src1_sel:DWORD
	s_and_saveexec_b64 s[76:77], s[4:5]
	s_xor_b64 s[94:95], exec, s[76:77]
	s_cbranch_execz .LBB94_7696
; %bb.7687:
	v_cndmask_b32_e64 v27, |v0|, |v27|, vcc
	s_mov_b32 s4, 0x47800000
	v_cmp_gt_u32_e64 s[4:5], s4, v27
	v_mov_b32_e32 v28, 0x80
	s_and_saveexec_b64 s[96:97], s[4:5]
	s_cbranch_execz .LBB94_7695
; %bb.7688:
	s_mov_b32 s4, 0x37ffffff
	s_mov_b64 s[76:77], 0
	v_cmp_lt_u32_e64 s[4:5], s4, v27
	v_writelane_b32 v43, s76, 27
	v_writelane_b32 v43, s77, 28
                                        ; implicit-def: $vgpr5
	s_and_saveexec_b64 s[76:77], s[4:5]
	s_xor_b64 s[4:5], exec, s[76:77]
	s_cbranch_execz .LBB94_7690
; %bb.7689:
	s_mov_b64 s[76:77], exec
	v_writelane_b32 v43, s76, 27
	v_writelane_b32 v43, s77, 28
	v_bfe_u32 v5, v4, 21, 1
	s_mov_b32 s76, 0x88fffff
	v_add3_u32 v5, v4, v5, s76
	v_lshrrev_b32_e32 v5, 21, v5
                                        ; implicit-def: $vgpr27
.LBB94_7690:
	s_or_saveexec_b64 s[80:81], s[4:5]
                                        ; implicit-def: $sgpr78
	s_xor_b64 exec, exec, s[80:81]
	s_cbranch_execz .LBB94_7692
; %bb.7691:
	v_add_f32_e32 v5, 0x42800000, v27
	v_and_b32_e32 v5, 0xff, v5
	v_readlane_b32 s76, v43, 27
	v_cmp_ne_u32_e64 s[4:5], 0, v5
	v_readlane_b32 s77, v43, 28
	s_andn2_b64 s[76:77], s[76:77], exec
	s_and_b64 s[4:5], s[4:5], exec
	s_or_b64 s[4:5], s[76:77], s[4:5]
	s_mov_b32 s78, 0
	v_writelane_b32 v43, s4, 27
	v_writelane_b32 v43, s5, 28
.LBB94_7692:
	s_or_b64 exec, exec, s[80:81]
	v_mov_b32_e32 v28, s78
	s_mov_b64 s[4:5], exec
	v_readlane_b32 s76, v43, 27
	v_readlane_b32 s77, v43, 28
	s_and_b64 s[76:77], s[4:5], s[76:77]
	s_mov_b64 exec, s[76:77]
; %bb.7693:
	v_lshrrev_b32_e32 v4, 24, v4
	s_movk_i32 s76, 0x80
	v_and_or_b32 v28, v4, s76, v5
; %bb.7694:
	s_or_b64 exec, exec, s[4:5]
.LBB94_7695:
	s_or_b64 exec, exec, s[96:97]
	flat_store_byte v[2:3], v28
                                        ; implicit-def: $vgpr4
                                        ; implicit-def: $vgpr2_vgpr3
                                        ; implicit-def: $vgpr27
.LBB94_7696:
	s_andn2_saveexec_b64 s[94:95], s[94:95]
	s_cbranch_execz .LBB94_7706
; %bb.7697:
	v_cndmask_b32_e64 v27, |v0|, |v27|, vcc
	s_mov_b32 s4, 0x43f00000
	v_cmp_gt_u32_e64 s[4:5], s4, v27
                                        ; implicit-def: $vgpr5
	s_and_saveexec_b64 s[76:77], s[4:5]
	s_xor_b64 s[96:97], exec, s[76:77]
	s_cbranch_execz .LBB94_7703
; %bb.7698:
	s_mov_b32 s4, 0x3c7fffff
	v_cmp_lt_u32_e64 s[4:5], s4, v27
                                        ; implicit-def: $vgpr5
	s_and_saveexec_b64 s[76:77], s[4:5]
	s_xor_b64 s[80:81], exec, s[76:77]
; %bb.7699:
	v_bfe_u32 v5, v4, 20, 1
	s_mov_b32 s4, 0x407ffff
	v_add3_u32 v5, v4, v5, s4
	v_lshrrev_b32_e32 v27, 20, v5
	v_and_b32_e32 v5, 0xff00000, v5
	s_mov_b32 s4, 0x7f00000
	v_mov_b32_e32 v28, 0x7e
	v_cmp_ne_u32_e64 s[4:5], s4, v5
	v_cndmask_b32_e64 v5, v28, v27, s[4:5]
                                        ; implicit-def: $vgpr27
; %bb.7700:
	s_andn2_saveexec_b64 s[4:5], s[80:81]
; %bb.7701:
	v_add_f32_e32 v5, 0x46800000, v27
; %bb.7702:
	s_or_b64 exec, exec, s[4:5]
                                        ; implicit-def: $vgpr27
.LBB94_7703:
	s_andn2_saveexec_b64 s[80:81], s[96:97]
; %bb.7704:
	s_mov_b32 s4, 0x7f800000
	v_mov_b32_e32 v5, 0x7e
	v_mov_b32_e32 v28, 0x7f
	v_cmp_lt_u32_e64 s[4:5], s4, v27
	v_cndmask_b32_e64 v5, v5, v28, s[4:5]
; %bb.7705:
	s_or_b64 exec, exec, s[80:81]
	v_lshrrev_b32_e32 v4, 24, v4
	s_movk_i32 s4, 0x80
	v_and_or_b32 v4, v4, s4, v5
	flat_store_byte v[2:3], v4
.LBB94_7706:
	s_or_b64 exec, exec, s[94:95]
                                        ; implicit-def: $vgpr4
                                        ; implicit-def: $vgpr2_vgpr3
                                        ; implicit-def: $vgpr27
.LBB94_7707:
	s_andn2_saveexec_b64 s[4:5], s[92:93]
	s_cbranch_execz .LBB94_7717
; %bb.7708:
	v_cndmask_b32_e64 v27, |v0|, |v27|, vcc
	s_mov_b32 vcc_lo, 0x47800000
	v_cmp_gt_u32_e32 vcc, vcc_lo, v27
                                        ; implicit-def: $vgpr5
	s_and_saveexec_b64 s[76:77], vcc
	s_xor_b64 s[92:93], exec, s[76:77]
	s_cbranch_execz .LBB94_7714
; %bb.7709:
	s_mov_b32 vcc_lo, 0x387fffff
	v_cmp_lt_u32_e32 vcc, vcc_lo, v27
                                        ; implicit-def: $vgpr5
	s_and_saveexec_b64 s[76:77], vcc
	s_xor_b64 vcc, exec, s[76:77]
; %bb.7710:
	v_bfe_u32 v5, v4, 21, 1
	s_mov_b32 s76, 0x80fffff
	v_add3_u32 v5, v4, v5, s76
	v_lshrrev_b32_e32 v5, 21, v5
                                        ; implicit-def: $vgpr27
; %bb.7711:
	s_andn2_saveexec_b64 vcc, vcc
; %bb.7712:
	v_add_f32_e32 v5, 0x43000000, v27
; %bb.7713:
	s_or_b64 exec, exec, vcc
                                        ; implicit-def: $vgpr27
.LBB94_7714:
	s_andn2_saveexec_b64 s[80:81], s[92:93]
; %bb.7715:
	s_mov_b32 vcc_lo, 0x7f800000
	v_mov_b32_e32 v5, 0x7c
	v_mov_b32_e32 v28, 0x7f
	v_cmp_lt_u32_e32 vcc, vcc_lo, v27
	v_cndmask_b32_e32 v5, v5, v28, vcc
; %bb.7716:
	s_or_b64 exec, exec, s[80:81]
	v_lshrrev_b32_e32 v4, 24, v4
	s_movk_i32 vcc_lo, 0x80
	v_and_or_b32 v4, v4, vcc_lo, v5
	flat_store_byte v[2:3], v4
.LBB94_7717:
	s_or_b64 exec, exec, s[4:5]
	s_or_b64 s[4:5], s[6:7], exec
                                        ; implicit-def: $vgpr4
                                        ; implicit-def: $vgpr2_vgpr3
.LBB94_7718:
	s_or_saveexec_b64 s[90:91], s[90:91]
	s_mov_b64 vcc, s[86:87]
	s_xor_b64 exec, exec, s[90:91]
	s_cbranch_execz .LBB94_7728
; %bb.7719:
	v_mov_b32_e32 v5, 14
	v_cmp_gt_i16_sdwa vcc, v11, v5 src0_sel:BYTE_0 src1_sel:DWORD
	s_mov_b64 s[92:93], s[4:5]
	s_mov_b64 s[94:95], s[86:87]
	s_and_saveexec_b64 s[76:77], vcc
	s_xor_b64 s[96:97], exec, s[76:77]
	s_cbranch_execz .LBB94_7723
; %bb.7720:
	v_mov_b32_e32 v5, 15
	v_cmp_eq_u16_sdwa s[76:77], v11, v5 src0_sel:BYTE_0 src1_sel:DWORD
	s_mov_b64 s[92:93], -1
	s_mov_b64 vcc, s[4:5]
	s_and_saveexec_b64 s[80:81], s[76:77]
	s_cbranch_execz .LBB94_7722
; %bb.7721:
	v_bfe_u32 v5, v4, 16, 1
	s_movk_i32 vcc_lo, 0x7fff
	v_add3_u32 v5, v4, v5, vcc_lo
	v_lshrrev_b32_e32 v5, 16, v5
	v_mov_b32_e32 v27, 0x7fc0
	v_cmp_o_f32_e32 vcc, v4, v4
	v_cndmask_b32_e32 v4, v27, v5, vcc
	flat_store_short v[2:3], v4
	s_xor_b64 s[92:93], exec, -1
	s_or_b64 vcc, s[4:5], exec
.LBB94_7722:
	s_or_b64 exec, exec, s[80:81]
	s_andn2_b64 s[76:77], s[86:87], exec
	s_and_b64 s[78:79], s[92:93], exec
	s_or_b64 s[94:95], s[76:77], s[78:79]
	s_andn2_b64 s[76:77], s[4:5], exec
	s_and_b64 vcc, vcc, exec
	s_or_b64 s[92:93], s[76:77], vcc
                                        ; implicit-def: $vgpr4
                                        ; implicit-def: $vgpr2_vgpr3
.LBB94_7723:
	s_andn2_saveexec_b64 s[96:97], s[96:97]
	s_cbranch_execz .LBB94_7727
; %bb.7724:
	v_mov_b32_e32 v5, 11
	v_cmp_eq_u16_sdwa s[76:77], v11, v5 src0_sel:BYTE_0 src1_sel:DWORD
	s_mov_b64 s[80:81], -1
	s_mov_b64 vcc, s[92:93]
	s_and_saveexec_b64 s[78:79], s[76:77]
	s_cbranch_execz .LBB94_7726
; %bb.7725:
	v_cmp_neq_f32_e32 vcc, 0, v4
	v_cndmask_b32_e64 v4, 0, 1, vcc
	flat_store_byte v[2:3], v4
	s_xor_b64 s[80:81], exec, -1
	s_or_b64 vcc, s[92:93], exec
.LBB94_7726:
	s_or_b64 exec, exec, s[78:79]
	s_andn2_b64 s[76:77], s[94:95], exec
	s_and_b64 s[78:79], s[80:81], exec
	s_or_b64 s[94:95], s[76:77], s[78:79]
	s_andn2_b64 s[76:77], s[92:93], exec
	s_and_b64 vcc, vcc, exec
	s_or_b64 s[92:93], s[76:77], vcc
.LBB94_7727:
	s_or_b64 exec, exec, s[96:97]
	s_andn2_b64 vcc, s[86:87], exec
	s_and_b64 s[76:77], s[94:95], exec
	s_or_b64 vcc, vcc, s[76:77]
	s_andn2_b64 s[4:5], s[4:5], exec
	s_and_b64 s[76:77], s[92:93], exec
	s_or_b64 s[4:5], s[4:5], s[76:77]
.LBB94_7728:
	s_or_b64 exec, exec, s[90:91]
	s_andn2_b64 s[76:77], s[86:87], exec
	s_and_b64 vcc, vcc, exec
	s_andn2_b64 s[6:7], s[6:7], exec
	s_and_b64 s[4:5], s[4:5], exec
	s_or_b64 s[86:87], s[76:77], vcc
	s_or_b64 s[6:7], s[6:7], s[4:5]
.LBB94_7729:
	s_or_b64 exec, exec, s[88:89]
	v_readlane_b32 s4, v43, 18
	v_readlane_b32 s5, v43, 19
	s_andn2_b64 s[4:5], s[4:5], exec
	s_and_b64 vcc, s[86:87], exec
	s_or_b64 s[4:5], s[4:5], vcc
	s_and_b64 s[6:7], s[6:7], exec
                                        ; implicit-def: $vgpr4
                                        ; implicit-def: $vgpr2_vgpr3
	s_andn2_saveexec_b64 s[82:83], s[82:83]
	s_cbranch_execz .LBB94_4062
.LBB94_7730:
	v_mov_b32_e32 v5, 4
	v_cmp_gt_i16_sdwa vcc, v11, v5 src0_sel:BYTE_0 src1_sel:DWORD
	s_and_saveexec_b64 s[76:77], vcc
	s_xor_b64 vcc, exec, s[76:77]
	s_cbranch_execz .LBB94_7752
; %bb.7731:
	v_mov_b32_e32 v5, 7
	v_cmp_gt_i16_sdwa s[76:77], v11, v5 src0_sel:BYTE_0 src1_sel:DWORD
	s_and_saveexec_b64 s[78:79], s[76:77]
	s_xor_b64 s[86:87], exec, s[78:79]
	s_cbranch_execz .LBB94_7741
; %bb.7732:
	v_mov_b32_e32 v5, 8
	v_cmp_gt_i16_sdwa s[76:77], v11, v5 src0_sel:BYTE_0 src1_sel:DWORD
	s_and_saveexec_b64 s[78:79], s[76:77]
	s_xor_b64 s[88:89], exec, s[78:79]
	;; [unrolled: 6-line block ×3, first 2 shown]
	s_cbranch_execz .LBB94_7735
; %bb.7734:
	v_mov_b32_e32 v30, 0
	v_cvt_f64_f32_e32 v[28:29], v4
	v_mov_b32_e32 v31, v30
	flat_store_dwordx4 v[2:3], v[28:31]
                                        ; implicit-def: $vgpr4
                                        ; implicit-def: $vgpr2_vgpr3
.LBB94_7735:
	s_andn2_saveexec_b64 s[78:79], s[80:81]
	s_cbranch_execz .LBB94_7737
; %bb.7736:
	v_mov_b32_e32 v5, 0
	flat_store_dwordx2 v[2:3], v[4:5]
.LBB94_7737:
	s_or_b64 exec, exec, s[78:79]
                                        ; implicit-def: $vgpr4
                                        ; implicit-def: $vgpr2_vgpr3
.LBB94_7738:
	s_andn2_saveexec_b64 s[78:79], s[88:89]
	s_cbranch_execz .LBB94_7740
; %bb.7739:
	v_cvt_f16_f32_e32 v4, v4
	flat_store_dword v[2:3], v4
.LBB94_7740:
	s_or_b64 exec, exec, s[78:79]
                                        ; implicit-def: $vgpr4
                                        ; implicit-def: $vgpr2_vgpr3
.LBB94_7741:
	s_andn2_saveexec_b64 s[86:87], s[86:87]
	s_cbranch_execz .LBB94_7751
; %bb.7742:
	v_mov_b32_e32 v5, 5
	v_cmp_gt_i16_sdwa s[76:77], v11, v5 src0_sel:BYTE_0 src1_sel:DWORD
	s_and_saveexec_b64 s[78:79], s[76:77]
	s_xor_b64 s[80:81], exec, s[78:79]
	s_cbranch_execz .LBB94_7748
; %bb.7743:
	v_mov_b32_e32 v5, 6
	v_cmp_gt_i16_sdwa s[76:77], v11, v5 src0_sel:BYTE_0 src1_sel:DWORD
	s_and_saveexec_b64 s[78:79], s[76:77]
	s_xor_b64 s[78:79], exec, s[78:79]
	s_cbranch_execz .LBB94_7745
; %bb.7744:
	v_cvt_f64_f32_e32 v[4:5], v4
	flat_store_dwordx2 v[2:3], v[4:5]
                                        ; implicit-def: $vgpr2_vgpr3
                                        ; implicit-def: $vgpr4
.LBB94_7745:
	s_andn2_saveexec_b64 s[78:79], s[78:79]
	s_cbranch_execz .LBB94_7747
; %bb.7746:
	flat_store_dword v[2:3], v4
.LBB94_7747:
	s_or_b64 exec, exec, s[78:79]
                                        ; implicit-def: $vgpr4
                                        ; implicit-def: $vgpr2_vgpr3
.LBB94_7748:
	s_andn2_saveexec_b64 s[78:79], s[80:81]
	s_cbranch_execz .LBB94_7750
; %bb.7749:
	v_cvt_f16_f32_e32 v4, v4
	flat_store_short v[2:3], v4
.LBB94_7750:
	s_or_b64 exec, exec, s[78:79]
.LBB94_7751:
	s_or_b64 exec, exec, s[86:87]
                                        ; implicit-def: $vgpr4
                                        ; implicit-def: $vgpr2_vgpr3
.LBB94_7752:
	s_andn2_saveexec_b64 s[86:87], vcc
	s_cbranch_execz .LBB94_7770
; %bb.7753:
	v_mov_b32_e32 v5, 1
	v_cmp_gt_i16_sdwa vcc, v11, v5 src0_sel:BYTE_0 src1_sel:DWORD
	s_and_saveexec_b64 s[76:77], vcc
	s_xor_b64 s[88:89], exec, s[76:77]
	s_cbranch_execz .LBB94_7763
; %bb.7754:
	v_mov_b32_e32 v5, 2
	v_cmp_gt_i16_sdwa vcc, v11, v5 src0_sel:BYTE_0 src1_sel:DWORD
	s_and_saveexec_b64 s[76:77], vcc
	s_xor_b64 s[90:91], exec, s[76:77]
	;; [unrolled: 6-line block ×3, first 2 shown]
	s_cbranch_execz .LBB94_7757
; %bb.7756:
	v_trunc_f32_e32 v4, v4
	s_mov_b32 s76, 0x2f800000
	v_mul_f32_e64 v5, |v4|, s76
	v_floor_f32_e32 v5, v5
	s_mov_b32 s76, 0xcf800000
	v_cvt_u32_f32_e32 v27, v5
	v_fma_f32 v5, v5, s76, |v4|
	v_cvt_u32_f32_e32 v5, v5
	v_ashrrev_i32_e32 v28, 31, v4
	v_xor_b32_e32 v27, v27, v28
	v_xor_b32_e32 v4, v5, v28
	v_sub_co_u32_e32 v4, vcc, v4, v28
	v_subb_co_u32_e32 v5, vcc, v27, v28, vcc
	flat_store_dwordx2 v[2:3], v[4:5]
                                        ; implicit-def: $vgpr4
                                        ; implicit-def: $vgpr2_vgpr3
.LBB94_7757:
	s_andn2_saveexec_b64 vcc, s[80:81]
	s_cbranch_execz .LBB94_7759
; %bb.7758:
	v_cvt_i32_f32_e32 v4, v4
	flat_store_dword v[2:3], v4
.LBB94_7759:
	s_or_b64 exec, exec, vcc
                                        ; implicit-def: $vgpr4
                                        ; implicit-def: $vgpr2_vgpr3
.LBB94_7760:
	s_andn2_saveexec_b64 vcc, s[90:91]
	s_cbranch_execz .LBB94_7762
; %bb.7761:
	v_cvt_i32_f32_e32 v4, v4
	flat_store_short v[2:3], v4
.LBB94_7762:
	s_or_b64 exec, exec, vcc
                                        ; implicit-def: $vgpr4
                                        ; implicit-def: $vgpr2_vgpr3
.LBB94_7763:
	s_andn2_saveexec_b64 vcc, s[88:89]
	s_cbranch_execz .LBB94_7769
; %bb.7764:
	v_mov_b32_e32 v5, 0
	v_cmp_gt_i16_sdwa s[76:77], v11, v5 src0_sel:BYTE_0 src1_sel:DWORD
	s_and_saveexec_b64 s[78:79], s[76:77]
	s_xor_b64 s[78:79], exec, s[78:79]
	s_cbranch_execz .LBB94_7766
; %bb.7765:
	v_cvt_i32_f32_e32 v4, v4
	flat_store_byte v[2:3], v4
                                        ; implicit-def: $vgpr4
                                        ; implicit-def: $vgpr2_vgpr3
.LBB94_7766:
	s_andn2_saveexec_b64 s[80:81], s[78:79]
	s_cbranch_execz .LBB94_7768
; %bb.7767:
	v_trunc_f32_e32 v4, v4
	s_mov_b32 s76, 0x2f800000
	v_mul_f32_e64 v5, |v4|, s76
	v_floor_f32_e32 v5, v5
	s_mov_b32 s76, 0xcf800000
	v_fma_f32 v5, v5, s76, |v4|
	v_cvt_u32_f32_e32 v5, v5
	v_ashrrev_i32_e32 v4, 31, v4
	v_xor_b32_e32 v5, v5, v4
	v_sub_u32_e32 v4, v5, v4
	flat_store_byte v[2:3], v4
.LBB94_7768:
	s_or_b64 exec, exec, s[80:81]
.LBB94_7769:
	s_or_b64 exec, exec, vcc
.LBB94_7770:
	s_or_b64 exec, exec, s[86:87]
	s_or_b64 s[6:7], s[6:7], exec
	s_or_b64 exec, exec, s[82:83]
	s_mov_b64 vcc, 0
	s_and_saveexec_b64 s[78:79], s[6:7]
	s_cbranch_execnz .LBB94_4063
	s_branch .LBB94_4064
.LBB94_7771:
	v_bfe_u32 v5, v4, 21, 1
	s_mov_b32 s76, 0x88fffff
	v_add3_u32 v5, v4, v5, s76
	s_mov_b64 s[74:75], exec
	v_lshrrev_b32_e32 v5, 21, v5
                                        ; implicit-def: $vgpr39
	s_or_saveexec_b64 s[76:77], s[4:5]
                                        ; implicit-def: $sgpr78
	s_xor_b64 exec, exec, s[76:77]
	s_cbranch_execz .LBB94_6934
.LBB94_7772:
	v_add_f32_e32 v5, 0x42800000, v39
	v_and_b32_e32 v5, 0xff, v5
	v_cmp_ne_u32_e64 s[4:5], 0, v5
	s_andn2_b64 s[74:75], s[74:75], exec
	s_and_b64 s[4:5], s[4:5], exec
	s_mov_b32 s78, 0
	s_or_b64 s[74:75], s[74:75], s[4:5]
	s_or_b64 exec, exec, s[76:77]
	v_mov_b32_e32 v48, s78
	s_and_saveexec_b64 s[4:5], s[74:75]
	s_cbranch_execnz .LBB94_6935
	s_branch .LBB94_6936
.LBB94_7773:
	v_bfe_u32 v5, v4, 20, 1
	s_mov_b32 s78, 0x487ffff
	v_add3_u32 v5, v4, v5, s78
	s_mov_b64 s[76:77], exec
	v_lshrrev_b32_e32 v5, 20, v5
                                        ; implicit-def: $vgpr37
	s_or_saveexec_b64 s[78:79], s[4:5]
                                        ; implicit-def: $sgpr80
	s_xor_b64 exec, exec, s[78:79]
	s_cbranch_execz .LBB94_7045
.LBB94_7774:
	v_add_f32_e32 v5, 0x46000000, v37
	v_and_b32_e32 v5, 0xff, v5
	v_cmp_ne_u32_e64 s[4:5], 0, v5
	s_andn2_b64 s[76:77], s[76:77], exec
	s_and_b64 s[4:5], s[4:5], exec
	s_mov_b32 s80, 0
	s_or_b64 s[76:77], s[76:77], s[4:5]
	s_or_b64 exec, exec, s[78:79]
	v_mov_b32_e32 v38, s80
	s_and_saveexec_b64 s[4:5], s[76:77]
	s_cbranch_execnz .LBB94_7046
	s_branch .LBB94_7047
.LBB94_7775:
	v_mov_b32_e32 v5, 25
	v_readlane_b32 s90, v43, 23
	v_cmp_gt_i16_sdwa s[4:5], v11, v5 src0_sel:BYTE_0 src1_sel:DWORD
	v_readlane_b32 s91, v43, 24
	s_and_saveexec_b64 s[76:77], s[4:5]
	s_xor_b64 s[92:93], exec, s[76:77]
	s_cbranch_execz .LBB94_7811
; %bb.7776:
	v_mov_b32_e32 v5, 28
	v_readlane_b32 s94, v43, 23
	v_cmp_gt_i16_sdwa s[4:5], v11, v5 src0_sel:BYTE_0 src1_sel:DWORD
	v_readlane_b32 s95, v43, 24
	s_and_saveexec_b64 s[76:77], s[4:5]
	s_xor_b64 s[90:91], exec, s[76:77]
	s_cbranch_execz .LBB94_7794
; %bb.7777:
	v_mov_b32_e32 v5, 43
	v_readlane_b32 s6, v43, 23
	v_cmp_gt_i16_sdwa s[76:77], v11, v5 src0_sel:BYTE_0 src1_sel:DWORD
	s_mov_b64 s[4:5], 0
	v_readlane_b32 s7, v43, 24
	s_and_saveexec_b64 s[78:79], s[76:77]
	s_xor_b64 s[94:95], exec, s[78:79]
	s_cbranch_execz .LBB94_7789
; %bb.7778:
	v_mov_b32_e32 v5, 45
	v_readlane_b32 s4, v43, 23
	v_cmp_gt_i16_sdwa s[6:7], v11, v5 src0_sel:BYTE_0 src1_sel:DWORD
	s_mov_b64 s[96:97], 0
	v_readlane_b32 s5, v43, 24
	s_and_saveexec_b64 s[76:77], s[6:7]
	s_xor_b64 s[6:7], exec, s[76:77]
	s_cbranch_execz .LBB94_7782
; %bb.7779:
	v_mov_b32_e32 v5, 46
	v_cmp_eq_u16_sdwa s[76:77], v11, v5 src0_sel:BYTE_0 src1_sel:DWORD
	s_mov_b64 s[80:81], 0
	s_mov_b64 s[4:5], -1
	s_and_saveexec_b64 s[82:83], s[76:77]
	s_cbranch_execz .LBB94_7781
; %bb.7780:
	v_bfe_u32 v5, v4, 16, 1
	s_movk_i32 s4, 0x7fff
	v_add3_u32 v5, v4, v5, s4
	v_lshrrev_b32_e32 v5, 16, v5
	v_mov_b32_e32 v25, 0x7fc0
	v_cmp_o_f32_e64 s[4:5], v4, v4
	v_cndmask_b32_e64 v4, v25, v5, s[4:5]
	s_mov_b64 s[80:81], exec
	flat_store_dword v[2:3], v4
	s_xor_b64 s[4:5], exec, -1
.LBB94_7781:
	s_or_b64 exec, exec, s[82:83]
	v_readlane_b32 s76, v43, 23
	v_readlane_b32 s77, v43, 24
	s_andn2_b64 s[76:77], s[76:77], exec
	s_and_b64 s[4:5], s[4:5], exec
	s_or_b64 s[4:5], s[76:77], s[4:5]
	s_and_b64 s[96:97], s[80:81], exec
                                        ; implicit-def: $vgpr2_vgpr3
                                        ; implicit-def: $vgpr4
.LBB94_7782:
	s_andn2_saveexec_b64 s[84:85], s[6:7]
	s_cbranch_execz .LBB94_7788
; %bb.7783:
	v_mov_b32_e32 v5, 44
	v_cmp_eq_u16_sdwa s[76:77], v11, v5 src0_sel:BYTE_0 src1_sel:DWORD
	s_mov_b64 s[82:83], -1
	s_mov_b64 s[6:7], s[96:97]
	s_and_saveexec_b64 s[80:81], s[76:77]
	s_cbranch_execz .LBB94_7787
; %bb.7784:
	v_bfe_u32 v5, v4, 23, 8
	s_movk_i32 s6, 0xff
	v_cmp_ne_u32_e64 s[6:7], s6, v5
	v_mov_b32_e32 v25, 0xff
	s_and_saveexec_b64 s[82:83], s[6:7]
; %bb.7785:
	s_mov_b32 s6, 0x3fffff
	v_lshrrev_b32_e32 v25, 23, v4
	v_and_b32_e32 v26, 0x400000, v4
	v_and_or_b32 v4, v4, s6, v5
	v_cmp_ne_u32_e64 s[76:77], 0, v26
	v_cmp_ne_u32_e64 s[6:7], 0, v4
	s_and_b64 s[6:7], s[76:77], s[6:7]
	v_cndmask_b32_e64 v4, 0, 1, s[6:7]
	v_add_u32_e32 v25, v25, v4
; %bb.7786:
	s_or_b64 exec, exec, s[82:83]
	s_xor_b64 s[82:83], exec, -1
	s_or_b64 s[6:7], s[96:97], exec
	flat_store_byte v[2:3], v25
.LBB94_7787:
	s_or_b64 exec, exec, s[80:81]
	s_andn2_b64 s[4:5], s[4:5], exec
	s_and_b64 s[76:77], s[82:83], exec
	s_or_b64 s[4:5], s[4:5], s[76:77]
	s_andn2_b64 s[76:77], s[96:97], exec
	s_and_b64 s[6:7], s[6:7], exec
	s_or_b64 s[96:97], s[76:77], s[6:7]
.LBB94_7788:
	s_or_b64 exec, exec, s[84:85]
	v_readlane_b32 s6, v43, 23
	v_readlane_b32 s7, v43, 24
	s_andn2_b64 s[6:7], s[6:7], exec
	s_and_b64 s[4:5], s[4:5], exec
	s_or_b64 s[6:7], s[6:7], s[4:5]
	s_and_b64 s[4:5], s[96:97], exec
                                        ; implicit-def: $vgpr4
                                        ; implicit-def: $vgpr2_vgpr3
.LBB94_7789:
	s_andn2_saveexec_b64 s[84:85], s[94:95]
	s_cbranch_execz .LBB94_7793
; %bb.7790:
	v_mov_b32_e32 v5, 29
	v_cmp_eq_u16_sdwa s[76:77], v11, v5 src0_sel:BYTE_0 src1_sel:DWORD
	s_mov_b64 s[94:95], -1
	s_mov_b64 s[82:83], s[4:5]
	s_and_saveexec_b64 s[80:81], s[76:77]
	s_cbranch_execz .LBB94_7792
; %bb.7791:
	v_trunc_f32_e32 v4, v4
	v_mul_f32_e32 v5, 0x2f800000, v4
	v_floor_f32_e32 v25, v5
	v_fmac_f32_e32 v4, 0xcf800000, v25
	v_cvt_u32_f32_e32 v5, v25
	v_cvt_u32_f32_e32 v4, v4
	s_xor_b64 s[94:95], exec, -1
	s_or_b64 s[82:83], s[4:5], exec
	flat_store_dwordx2 v[2:3], v[4:5]
.LBB94_7792:
	s_or_b64 exec, exec, s[80:81]
	s_andn2_b64 s[6:7], s[6:7], exec
	s_and_b64 s[76:77], s[94:95], exec
	s_or_b64 s[6:7], s[6:7], s[76:77]
	s_andn2_b64 s[4:5], s[4:5], exec
	s_and_b64 s[76:77], s[82:83], exec
	s_or_b64 s[4:5], s[4:5], s[76:77]
.LBB94_7793:
	s_or_b64 exec, exec, s[84:85]
	v_readlane_b32 s76, v43, 23
	v_readlane_b32 s77, v43, 24
	s_andn2_b64 s[76:77], s[76:77], exec
	s_and_b64 s[6:7], s[6:7], exec
	s_or_b64 s[94:95], s[76:77], s[6:7]
	s_and_b64 s[6:7], s[4:5], exec
                                        ; implicit-def: $vgpr2_vgpr3
                                        ; implicit-def: $vgpr25
                                        ; implicit-def: $vgpr4
.LBB94_7794:
	s_andn2_saveexec_b64 s[90:91], s[90:91]
	s_cbranch_execz .LBB94_7810
; %bb.7795:
	v_mov_b32_e32 v5, 26
	v_cmp_gt_i16_sdwa s[4:5], v11, v5 src0_sel:BYTE_0 src1_sel:DWORD
	s_and_saveexec_b64 s[76:77], s[4:5]
	s_xor_b64 s[4:5], exec, s[76:77]
	s_cbranch_execz .LBB94_7801
; %bb.7796:
	v_cvt_u32_f32_e32 v4, v4
	v_mov_b32_e32 v5, 27
	v_cmp_gt_i16_sdwa s[76:77], v11, v5 src0_sel:BYTE_0 src1_sel:DWORD
	s_and_saveexec_b64 s[78:79], s[76:77]
	s_xor_b64 s[78:79], exec, s[78:79]
	s_cbranch_execz .LBB94_7798
; %bb.7797:
	flat_store_dword v[2:3], v4
                                        ; implicit-def: $vgpr2_vgpr3
                                        ; implicit-def: $vgpr4
.LBB94_7798:
	s_andn2_saveexec_b64 s[78:79], s[78:79]
	s_cbranch_execz .LBB94_7800
; %bb.7799:
	flat_store_short v[2:3], v4
.LBB94_7800:
	s_or_b64 exec, exec, s[78:79]
                                        ; implicit-def: $vgpr2_vgpr3
                                        ; implicit-def: $vgpr25
                                        ; implicit-def: $vgpr4
.LBB94_7801:
	s_andn2_saveexec_b64 s[96:97], s[4:5]
	s_cbranch_execz .LBB94_7809
; %bb.7802:
	v_cndmask_b32_e64 v25, |v0|, |v25|, vcc
	s_mov_b32 s4, 0x43800000
	v_cmp_gt_u32_e64 s[4:5], s4, v25
	v_mov_b32_e32 v26, 0x80
	s_and_saveexec_b64 s[84:85], s[4:5]
	s_cbranch_execz .LBB94_7808
; %bb.7803:
	s_mov_b32 s4, 0x3bffffff
	v_cmp_lt_u32_e64 s[4:5], s4, v25
	s_mov_b64 s[82:83], 0
                                        ; implicit-def: $vgpr5
	s_and_saveexec_b64 s[76:77], s[4:5]
	s_xor_b64 s[4:5], exec, s[76:77]
	s_cbranch_execnz .LBB94_7915
; %bb.7804:
	s_or_saveexec_b64 s[80:81], s[4:5]
                                        ; implicit-def: $sgpr78
	s_xor_b64 exec, exec, s[80:81]
	s_cbranch_execnz .LBB94_7916
.LBB94_7805:
	s_or_b64 exec, exec, s[80:81]
	v_mov_b32_e32 v26, s78
	s_and_saveexec_b64 s[4:5], s[82:83]
.LBB94_7806:
	v_lshrrev_b32_e32 v4, 24, v4
	s_movk_i32 s76, 0x80
	v_and_or_b32 v26, v4, s76, v5
.LBB94_7807:
	s_or_b64 exec, exec, s[4:5]
.LBB94_7808:
	s_or_b64 exec, exec, s[84:85]
	flat_store_byte v[2:3], v26
.LBB94_7809:
	s_or_b64 exec, exec, s[96:97]
	s_or_b64 s[6:7], s[6:7], exec
.LBB94_7810:
	s_or_b64 exec, exec, s[90:91]
	v_readlane_b32 s4, v43, 23
	v_readlane_b32 s5, v43, 24
	s_andn2_b64 s[4:5], s[4:5], exec
	s_and_b64 s[76:77], s[94:95], exec
	s_or_b64 s[90:91], s[4:5], s[76:77]
	s_and_b64 s[6:7], s[6:7], exec
                                        ; implicit-def: $vgpr4
                                        ; implicit-def: $vgpr2_vgpr3
                                        ; implicit-def: $vgpr25
.LBB94_7811:
	s_andn2_saveexec_b64 s[92:93], s[92:93]
	s_cbranch_execz .LBB94_7855
; %bb.7812:
	v_mov_b32_e32 v5, 22
	v_cmp_gt_i16_sdwa s[76:77], v11, v5 src0_sel:BYTE_0 src1_sel:DWORD
	s_mov_b64 s[4:5], s[6:7]
	s_and_saveexec_b64 s[78:79], s[76:77]
	s_xor_b64 s[94:95], exec, s[78:79]
	s_cbranch_execz .LBB94_7844
; %bb.7813:
	v_mov_b32_e32 v5, 23
	v_cmp_gt_i16_sdwa s[4:5], v11, v5 src0_sel:BYTE_0 src1_sel:DWORD
	s_and_saveexec_b64 s[76:77], s[4:5]
	s_xor_b64 s[82:83], exec, s[76:77]
	s_cbranch_execz .LBB94_7833
; %bb.7814:
	v_mov_b32_e32 v5, 24
	v_cmp_gt_i16_sdwa s[4:5], v11, v5 src0_sel:BYTE_0 src1_sel:DWORD
	s_and_saveexec_b64 s[76:77], s[4:5]
	s_xor_b64 s[76:77], exec, s[76:77]
	v_writelane_b32 v43, s76, 31
	v_writelane_b32 v43, s77, 32
	s_cbranch_execz .LBB94_7822
; %bb.7815:
	v_cndmask_b32_e64 v25, |v0|, |v25|, vcc
	s_mov_b32 s4, 0x47800000
	v_cmp_gt_u32_e64 s[4:5], s4, v25
	v_mov_b32_e32 v26, 0x80
	s_and_saveexec_b64 s[84:85], s[4:5]
	s_cbranch_execz .LBB94_7821
; %bb.7816:
	s_mov_b32 s4, 0x37ffffff
	v_cmp_lt_u32_e64 s[4:5], s4, v25
	s_mov_b64 s[96:97], 0
                                        ; implicit-def: $vgpr5
	s_and_saveexec_b64 s[76:77], s[4:5]
	s_xor_b64 s[4:5], exec, s[76:77]
	s_cbranch_execnz .LBB94_7919
; %bb.7817:
	s_or_saveexec_b64 s[80:81], s[4:5]
                                        ; implicit-def: $sgpr78
	s_xor_b64 exec, exec, s[80:81]
	s_cbranch_execnz .LBB94_7920
.LBB94_7818:
	s_or_b64 exec, exec, s[80:81]
	v_mov_b32_e32 v26, s78
	s_and_saveexec_b64 s[4:5], s[96:97]
.LBB94_7819:
	v_lshrrev_b32_e32 v4, 24, v4
	s_movk_i32 s76, 0x80
	v_and_or_b32 v26, v4, s76, v5
.LBB94_7820:
	s_or_b64 exec, exec, s[4:5]
.LBB94_7821:
	s_or_b64 exec, exec, s[84:85]
	flat_store_byte v[2:3], v26
                                        ; implicit-def: $vgpr4
                                        ; implicit-def: $vgpr2_vgpr3
                                        ; implicit-def: $vgpr25
.LBB94_7822:
	v_readlane_b32 s4, v43, 31
	v_readlane_b32 s5, v43, 32
	s_andn2_saveexec_b64 s[96:97], s[4:5]
	s_cbranch_execz .LBB94_7832
; %bb.7823:
	v_cndmask_b32_e64 v25, |v0|, |v25|, vcc
	s_mov_b32 s4, 0x43f00000
	v_cmp_gt_u32_e64 s[4:5], s4, v25
                                        ; implicit-def: $vgpr5
	s_and_saveexec_b64 s[76:77], s[4:5]
	s_xor_b64 s[84:85], exec, s[76:77]
	s_cbranch_execz .LBB94_7829
; %bb.7824:
	s_mov_b32 s4, 0x3c7fffff
	v_cmp_lt_u32_e64 s[4:5], s4, v25
                                        ; implicit-def: $vgpr5
	s_and_saveexec_b64 s[76:77], s[4:5]
	s_xor_b64 s[80:81], exec, s[76:77]
; %bb.7825:
	v_bfe_u32 v5, v4, 20, 1
	s_mov_b32 s4, 0x407ffff
	v_add3_u32 v5, v4, v5, s4
	v_lshrrev_b32_e32 v25, 20, v5
	v_and_b32_e32 v5, 0xff00000, v5
	s_mov_b32 s4, 0x7f00000
	v_mov_b32_e32 v26, 0x7e
	v_cmp_ne_u32_e64 s[4:5], s4, v5
	v_cndmask_b32_e64 v5, v26, v25, s[4:5]
                                        ; implicit-def: $vgpr25
; %bb.7826:
	s_andn2_saveexec_b64 s[4:5], s[80:81]
; %bb.7827:
	v_add_f32_e32 v5, 0x46800000, v25
; %bb.7828:
	s_or_b64 exec, exec, s[4:5]
                                        ; implicit-def: $vgpr25
.LBB94_7829:
	s_andn2_saveexec_b64 s[80:81], s[84:85]
; %bb.7830:
	s_mov_b32 s4, 0x7f800000
	v_mov_b32_e32 v5, 0x7e
	v_mov_b32_e32 v26, 0x7f
	v_cmp_lt_u32_e64 s[4:5], s4, v25
	v_cndmask_b32_e64 v5, v5, v26, s[4:5]
; %bb.7831:
	s_or_b64 exec, exec, s[80:81]
	v_lshrrev_b32_e32 v4, 24, v4
	s_movk_i32 s4, 0x80
	v_and_or_b32 v4, v4, s4, v5
	flat_store_byte v[2:3], v4
.LBB94_7832:
	s_or_b64 exec, exec, s[96:97]
                                        ; implicit-def: $vgpr4
                                        ; implicit-def: $vgpr2_vgpr3
                                        ; implicit-def: $vgpr25
.LBB94_7833:
	s_andn2_saveexec_b64 s[4:5], s[82:83]
	s_cbranch_execz .LBB94_7843
; %bb.7834:
	v_cndmask_b32_e64 v25, |v0|, |v25|, vcc
	s_mov_b32 vcc_lo, 0x47800000
	v_cmp_gt_u32_e32 vcc, vcc_lo, v25
                                        ; implicit-def: $vgpr5
	s_and_saveexec_b64 s[76:77], vcc
	s_xor_b64 s[82:83], exec, s[76:77]
	s_cbranch_execz .LBB94_7840
; %bb.7835:
	s_mov_b32 vcc_lo, 0x387fffff
	v_cmp_lt_u32_e32 vcc, vcc_lo, v25
                                        ; implicit-def: $vgpr5
	s_and_saveexec_b64 s[76:77], vcc
	s_xor_b64 vcc, exec, s[76:77]
; %bb.7836:
	v_bfe_u32 v5, v4, 21, 1
	s_mov_b32 s76, 0x80fffff
	v_add3_u32 v5, v4, v5, s76
	v_lshrrev_b32_e32 v5, 21, v5
                                        ; implicit-def: $vgpr25
; %bb.7837:
	s_andn2_saveexec_b64 vcc, vcc
; %bb.7838:
	v_add_f32_e32 v5, 0x43000000, v25
; %bb.7839:
	s_or_b64 exec, exec, vcc
                                        ; implicit-def: $vgpr25
.LBB94_7840:
	s_andn2_saveexec_b64 s[80:81], s[82:83]
; %bb.7841:
	s_mov_b32 vcc_lo, 0x7f800000
	v_mov_b32_e32 v5, 0x7c
	v_mov_b32_e32 v26, 0x7f
	v_cmp_lt_u32_e32 vcc, vcc_lo, v25
	v_cndmask_b32_e32 v5, v5, v26, vcc
; %bb.7842:
	s_or_b64 exec, exec, s[80:81]
	v_lshrrev_b32_e32 v4, 24, v4
	s_movk_i32 vcc_lo, 0x80
	v_and_or_b32 v4, v4, vcc_lo, v5
	flat_store_byte v[2:3], v4
.LBB94_7843:
	s_or_b64 exec, exec, s[4:5]
	s_or_b64 s[4:5], s[6:7], exec
                                        ; implicit-def: $vgpr4
                                        ; implicit-def: $vgpr2_vgpr3
.LBB94_7844:
	s_or_saveexec_b64 s[94:95], s[94:95]
	s_mov_b64 vcc, s[90:91]
	s_xor_b64 exec, exec, s[94:95]
	s_cbranch_execz .LBB94_7854
; %bb.7845:
	v_mov_b32_e32 v5, 14
	v_cmp_gt_i16_sdwa vcc, v11, v5 src0_sel:BYTE_0 src1_sel:DWORD
	s_mov_b64 s[84:85], s[4:5]
	s_mov_b64 s[96:97], s[90:91]
	s_and_saveexec_b64 s[76:77], vcc
	s_xor_b64 s[82:83], exec, s[76:77]
	s_cbranch_execz .LBB94_7849
; %bb.7846:
	v_mov_b32_e32 v5, 15
	v_cmp_eq_u16_sdwa s[76:77], v11, v5 src0_sel:BYTE_0 src1_sel:DWORD
	s_mov_b64 s[84:85], -1
	s_mov_b64 vcc, s[4:5]
	s_and_saveexec_b64 s[80:81], s[76:77]
	s_cbranch_execz .LBB94_7848
; %bb.7847:
	v_bfe_u32 v5, v4, 16, 1
	s_movk_i32 vcc_lo, 0x7fff
	v_add3_u32 v5, v4, v5, vcc_lo
	v_lshrrev_b32_e32 v5, 16, v5
	v_mov_b32_e32 v25, 0x7fc0
	v_cmp_o_f32_e32 vcc, v4, v4
	v_cndmask_b32_e32 v4, v25, v5, vcc
	flat_store_short v[2:3], v4
	s_xor_b64 s[84:85], exec, -1
	s_or_b64 vcc, s[4:5], exec
.LBB94_7848:
	s_or_b64 exec, exec, s[80:81]
	s_andn2_b64 s[76:77], s[90:91], exec
	s_and_b64 s[78:79], s[84:85], exec
	s_or_b64 s[96:97], s[76:77], s[78:79]
	s_andn2_b64 s[76:77], s[4:5], exec
	s_and_b64 vcc, vcc, exec
	s_or_b64 s[84:85], s[76:77], vcc
                                        ; implicit-def: $vgpr4
                                        ; implicit-def: $vgpr2_vgpr3
.LBB94_7849:
	s_andn2_saveexec_b64 s[82:83], s[82:83]
	s_cbranch_execz .LBB94_7853
; %bb.7850:
	v_mov_b32_e32 v5, 11
	v_cmp_eq_u16_sdwa s[76:77], v11, v5 src0_sel:BYTE_0 src1_sel:DWORD
	s_mov_b64 s[80:81], -1
	s_mov_b64 vcc, s[84:85]
	s_and_saveexec_b64 s[78:79], s[76:77]
	s_cbranch_execz .LBB94_7852
; %bb.7851:
	v_cmp_neq_f32_e32 vcc, 0, v4
	v_cndmask_b32_e64 v4, 0, 1, vcc
	flat_store_byte v[2:3], v4
	s_xor_b64 s[80:81], exec, -1
	s_or_b64 vcc, s[84:85], exec
.LBB94_7852:
	s_or_b64 exec, exec, s[78:79]
	s_andn2_b64 s[76:77], s[96:97], exec
	s_and_b64 s[78:79], s[80:81], exec
	s_or_b64 s[96:97], s[76:77], s[78:79]
	s_andn2_b64 s[76:77], s[84:85], exec
	s_and_b64 vcc, vcc, exec
	s_or_b64 s[84:85], s[76:77], vcc
.LBB94_7853:
	s_or_b64 exec, exec, s[82:83]
	s_andn2_b64 vcc, s[90:91], exec
	s_and_b64 s[76:77], s[96:97], exec
	s_or_b64 vcc, vcc, s[76:77]
	s_andn2_b64 s[4:5], s[4:5], exec
	s_and_b64 s[76:77], s[84:85], exec
	s_or_b64 s[4:5], s[4:5], s[76:77]
.LBB94_7854:
	s_or_b64 exec, exec, s[94:95]
	s_andn2_b64 s[76:77], s[90:91], exec
	s_and_b64 vcc, vcc, exec
	s_andn2_b64 s[6:7], s[6:7], exec
	s_and_b64 s[4:5], s[4:5], exec
	s_or_b64 s[90:91], s[76:77], vcc
	s_or_b64 s[6:7], s[6:7], s[4:5]
.LBB94_7855:
	s_or_b64 exec, exec, s[92:93]
	v_readlane_b32 s4, v43, 23
	v_readlane_b32 s5, v43, 24
	s_andn2_b64 s[4:5], s[4:5], exec
	s_and_b64 vcc, s[90:91], exec
	s_or_b64 s[4:5], s[4:5], vcc
	s_and_b64 s[6:7], s[6:7], exec
                                        ; implicit-def: $vgpr4
                                        ; implicit-def: $vgpr2_vgpr3
	s_andn2_saveexec_b64 s[86:87], s[86:87]
	s_cbranch_execz .LBB94_4069
.LBB94_7856:
	v_mov_b32_e32 v5, 4
	v_cmp_gt_i16_sdwa vcc, v11, v5 src0_sel:BYTE_0 src1_sel:DWORD
	s_and_saveexec_b64 s[76:77], vcc
	s_xor_b64 vcc, exec, s[76:77]
	s_cbranch_execz .LBB94_7878
; %bb.7857:
	v_mov_b32_e32 v5, 7
	v_cmp_gt_i16_sdwa s[76:77], v11, v5 src0_sel:BYTE_0 src1_sel:DWORD
	s_and_saveexec_b64 s[78:79], s[76:77]
	s_xor_b64 s[84:85], exec, s[78:79]
	s_cbranch_execz .LBB94_7867
; %bb.7858:
	v_mov_b32_e32 v5, 8
	v_cmp_gt_i16_sdwa s[76:77], v11, v5 src0_sel:BYTE_0 src1_sel:DWORD
	s_and_saveexec_b64 s[78:79], s[76:77]
	s_xor_b64 s[90:91], exec, s[78:79]
	s_cbranch_execz .LBB94_7864
; %bb.7859:
	v_mov_b32_e32 v5, 9
	v_cmp_gt_i16_sdwa s[76:77], v11, v5 src0_sel:BYTE_0 src1_sel:DWORD
	s_and_saveexec_b64 s[78:79], s[76:77]
	s_xor_b64 s[80:81], exec, s[78:79]
	s_cbranch_execz .LBB94_7861
; %bb.7860:
	v_mov_b32_e32 v28, 0
	v_cvt_f64_f32_e32 v[26:27], v4
	v_mov_b32_e32 v29, v28
	flat_store_dwordx4 v[2:3], v[26:29]
                                        ; implicit-def: $vgpr4
                                        ; implicit-def: $vgpr2_vgpr3
.LBB94_7861:
	s_andn2_saveexec_b64 s[78:79], s[80:81]
	s_cbranch_execz .LBB94_7863
; %bb.7862:
	v_mov_b32_e32 v5, 0
	flat_store_dwordx2 v[2:3], v[4:5]
.LBB94_7863:
	s_or_b64 exec, exec, s[78:79]
                                        ; implicit-def: $vgpr4
                                        ; implicit-def: $vgpr2_vgpr3
.LBB94_7864:
	s_andn2_saveexec_b64 s[78:79], s[90:91]
	s_cbranch_execz .LBB94_7866
; %bb.7865:
	v_cvt_f16_f32_e32 v4, v4
	flat_store_dword v[2:3], v4
.LBB94_7866:
	s_or_b64 exec, exec, s[78:79]
                                        ; implicit-def: $vgpr4
                                        ; implicit-def: $vgpr2_vgpr3
.LBB94_7867:
	s_andn2_saveexec_b64 s[84:85], s[84:85]
	s_cbranch_execz .LBB94_7877
; %bb.7868:
	v_mov_b32_e32 v5, 5
	v_cmp_gt_i16_sdwa s[76:77], v11, v5 src0_sel:BYTE_0 src1_sel:DWORD
	s_and_saveexec_b64 s[78:79], s[76:77]
	s_xor_b64 s[80:81], exec, s[78:79]
	s_cbranch_execz .LBB94_7874
; %bb.7869:
	v_mov_b32_e32 v5, 6
	v_cmp_gt_i16_sdwa s[76:77], v11, v5 src0_sel:BYTE_0 src1_sel:DWORD
	s_and_saveexec_b64 s[78:79], s[76:77]
	s_xor_b64 s[78:79], exec, s[78:79]
	s_cbranch_execz .LBB94_7871
; %bb.7870:
	v_cvt_f64_f32_e32 v[4:5], v4
	flat_store_dwordx2 v[2:3], v[4:5]
                                        ; implicit-def: $vgpr2_vgpr3
                                        ; implicit-def: $vgpr4
.LBB94_7871:
	s_andn2_saveexec_b64 s[78:79], s[78:79]
	s_cbranch_execz .LBB94_7873
; %bb.7872:
	flat_store_dword v[2:3], v4
.LBB94_7873:
	s_or_b64 exec, exec, s[78:79]
                                        ; implicit-def: $vgpr4
                                        ; implicit-def: $vgpr2_vgpr3
.LBB94_7874:
	s_andn2_saveexec_b64 s[78:79], s[80:81]
	s_cbranch_execz .LBB94_7876
; %bb.7875:
	v_cvt_f16_f32_e32 v4, v4
	flat_store_short v[2:3], v4
.LBB94_7876:
	s_or_b64 exec, exec, s[78:79]
.LBB94_7877:
	s_or_b64 exec, exec, s[84:85]
                                        ; implicit-def: $vgpr4
                                        ; implicit-def: $vgpr2_vgpr3
.LBB94_7878:
	s_andn2_saveexec_b64 s[90:91], vcc
	s_cbranch_execz .LBB94_7896
; %bb.7879:
	v_mov_b32_e32 v5, 1
	v_cmp_gt_i16_sdwa vcc, v11, v5 src0_sel:BYTE_0 src1_sel:DWORD
	s_and_saveexec_b64 s[76:77], vcc
	s_xor_b64 s[92:93], exec, s[76:77]
	s_cbranch_execz .LBB94_7889
; %bb.7880:
	v_mov_b32_e32 v5, 2
	v_cmp_gt_i16_sdwa vcc, v11, v5 src0_sel:BYTE_0 src1_sel:DWORD
	s_and_saveexec_b64 s[76:77], vcc
	s_xor_b64 s[84:85], exec, s[76:77]
	;; [unrolled: 6-line block ×3, first 2 shown]
	s_cbranch_execz .LBB94_7883
; %bb.7882:
	v_trunc_f32_e32 v4, v4
	s_mov_b32 s76, 0x2f800000
	v_mul_f32_e64 v5, |v4|, s76
	v_floor_f32_e32 v5, v5
	s_mov_b32 s76, 0xcf800000
	v_cvt_u32_f32_e32 v25, v5
	v_fma_f32 v5, v5, s76, |v4|
	v_cvt_u32_f32_e32 v5, v5
	v_ashrrev_i32_e32 v26, 31, v4
	v_xor_b32_e32 v25, v25, v26
	v_xor_b32_e32 v4, v5, v26
	v_sub_co_u32_e32 v4, vcc, v4, v26
	v_subb_co_u32_e32 v5, vcc, v25, v26, vcc
	flat_store_dwordx2 v[2:3], v[4:5]
                                        ; implicit-def: $vgpr4
                                        ; implicit-def: $vgpr2_vgpr3
.LBB94_7883:
	s_andn2_saveexec_b64 vcc, s[80:81]
	s_cbranch_execz .LBB94_7885
; %bb.7884:
	v_cvt_i32_f32_e32 v4, v4
	flat_store_dword v[2:3], v4
.LBB94_7885:
	s_or_b64 exec, exec, vcc
                                        ; implicit-def: $vgpr4
                                        ; implicit-def: $vgpr2_vgpr3
.LBB94_7886:
	s_andn2_saveexec_b64 vcc, s[84:85]
	s_cbranch_execz .LBB94_7888
; %bb.7887:
	v_cvt_i32_f32_e32 v4, v4
	flat_store_short v[2:3], v4
.LBB94_7888:
	s_or_b64 exec, exec, vcc
                                        ; implicit-def: $vgpr4
                                        ; implicit-def: $vgpr2_vgpr3
.LBB94_7889:
	s_andn2_saveexec_b64 vcc, s[92:93]
	s_cbranch_execz .LBB94_7895
; %bb.7890:
	v_mov_b32_e32 v5, 0
	v_cmp_gt_i16_sdwa s[76:77], v11, v5 src0_sel:BYTE_0 src1_sel:DWORD
	s_and_saveexec_b64 s[78:79], s[76:77]
	s_xor_b64 s[78:79], exec, s[78:79]
	s_cbranch_execz .LBB94_7892
; %bb.7891:
	v_cvt_i32_f32_e32 v4, v4
	flat_store_byte v[2:3], v4
                                        ; implicit-def: $vgpr4
                                        ; implicit-def: $vgpr2_vgpr3
.LBB94_7892:
	s_andn2_saveexec_b64 s[80:81], s[78:79]
	s_cbranch_execz .LBB94_7894
; %bb.7893:
	v_trunc_f32_e32 v4, v4
	s_mov_b32 s76, 0x2f800000
	v_mul_f32_e64 v5, |v4|, s76
	v_floor_f32_e32 v5, v5
	s_mov_b32 s76, 0xcf800000
	v_fma_f32 v5, v5, s76, |v4|
	v_cvt_u32_f32_e32 v5, v5
	v_ashrrev_i32_e32 v4, 31, v4
	v_xor_b32_e32 v5, v5, v4
	v_sub_u32_e32 v4, v5, v4
	flat_store_byte v[2:3], v4
.LBB94_7894:
	s_or_b64 exec, exec, s[80:81]
.LBB94_7895:
	s_or_b64 exec, exec, vcc
.LBB94_7896:
	s_or_b64 exec, exec, s[90:91]
	s_or_b64 s[6:7], s[6:7], exec
	s_or_b64 exec, exec, s[86:87]
	s_mov_b64 vcc, 0
	s_and_saveexec_b64 s[78:79], s[6:7]
	s_cbranch_execnz .LBB94_4070
	s_branch .LBB94_4071
.LBB94_7897:
	v_bfe_u32 v5, v4, 21, 1
	s_mov_b32 s80, 0x88fffff
	v_add3_u32 v5, v4, v5, s80
	s_mov_b64 s[78:79], exec
	v_lshrrev_b32_e32 v5, 21, v5
                                        ; implicit-def: $vgpr37
	s_or_saveexec_b64 s[80:81], s[4:5]
                                        ; implicit-def: $sgpr82
	s_xor_b64 exec, exec, s[80:81]
	s_cbranch_execz .LBB94_7058
.LBB94_7898:
	v_add_f32_e32 v5, 0x42800000, v37
	v_and_b32_e32 v5, 0xff, v5
	v_cmp_ne_u32_e64 s[4:5], 0, v5
	s_andn2_b64 s[78:79], s[78:79], exec
	s_and_b64 s[4:5], s[4:5], exec
	s_mov_b32 s82, 0
	s_or_b64 s[78:79], s[78:79], s[4:5]
	s_or_b64 exec, exec, s[80:81]
	v_mov_b32_e32 v38, s82
	s_and_saveexec_b64 s[4:5], s[78:79]
	s_cbranch_execnz .LBB94_7059
	s_branch .LBB94_7060
.LBB94_7899:
	v_bfe_u32 v5, v4, 20, 1
	s_mov_b32 s82, 0x487ffff
	v_add3_u32 v5, v4, v5, s82
	s_mov_b64 s[80:81], exec
	v_lshrrev_b32_e32 v5, 20, v5
                                        ; implicit-def: $vgpr35
	s_or_saveexec_b64 s[82:83], s[4:5]
                                        ; implicit-def: $sgpr84
	s_xor_b64 exec, exec, s[82:83]
	s_cbranch_execz .LBB94_7171
.LBB94_7900:
	v_add_f32_e32 v5, 0x46000000, v35
	v_and_b32_e32 v5, 0xff, v5
	v_cmp_ne_u32_e64 s[4:5], 0, v5
	s_andn2_b64 s[80:81], s[80:81], exec
	s_and_b64 s[4:5], s[4:5], exec
	s_mov_b32 s84, 0
	s_or_b64 s[80:81], s[80:81], s[4:5]
	s_or_b64 exec, exec, s[82:83]
	v_mov_b32_e32 v36, s84
	s_and_saveexec_b64 s[4:5], s[80:81]
	s_cbranch_execnz .LBB94_7172
	s_branch .LBB94_7173
.LBB94_7901:
	v_bfe_u32 v5, v4, 21, 1
	s_mov_b32 s84, 0x88fffff
	v_add3_u32 v5, v4, v5, s84
	s_mov_b64 s[82:83], exec
	v_lshrrev_b32_e32 v5, 21, v5
                                        ; implicit-def: $vgpr35
	s_or_saveexec_b64 s[84:85], s[4:5]
                                        ; implicit-def: $sgpr86
	s_xor_b64 exec, exec, s[84:85]
	s_cbranch_execz .LBB94_7184
.LBB94_7902:
	v_add_f32_e32 v5, 0x42800000, v35
	v_and_b32_e32 v5, 0xff, v5
	v_cmp_ne_u32_e64 s[4:5], 0, v5
	s_andn2_b64 s[82:83], s[82:83], exec
	s_and_b64 s[4:5], s[4:5], exec
	s_mov_b32 s86, 0
	s_or_b64 s[82:83], s[82:83], s[4:5]
	s_or_b64 exec, exec, s[84:85]
	v_mov_b32_e32 v36, s86
	s_and_saveexec_b64 s[4:5], s[82:83]
	s_cbranch_execnz .LBB94_7185
	s_branch .LBB94_7186
.LBB94_7903:
	v_bfe_u32 v5, v4, 20, 1
	s_mov_b32 s86, 0x487ffff
	v_add3_u32 v5, v4, v5, s86
	s_mov_b64 s[84:85], exec
	v_lshrrev_b32_e32 v5, 20, v5
                                        ; implicit-def: $vgpr33
	s_or_saveexec_b64 s[86:87], s[4:5]
                                        ; implicit-def: $sgpr88
	s_xor_b64 exec, exec, s[86:87]
	s_cbranch_execz .LBB94_7297
.LBB94_7904:
	v_add_f32_e32 v5, 0x46000000, v33
	v_and_b32_e32 v5, 0xff, v5
	v_cmp_ne_u32_e64 s[4:5], 0, v5
	s_andn2_b64 s[84:85], s[84:85], exec
	s_and_b64 s[4:5], s[4:5], exec
	s_mov_b32 s88, 0
	s_or_b64 s[84:85], s[84:85], s[4:5]
	s_or_b64 exec, exec, s[86:87]
	v_mov_b32_e32 v34, s88
	s_and_saveexec_b64 s[4:5], s[84:85]
	s_cbranch_execnz .LBB94_7298
	s_branch .LBB94_7299
.LBB94_7905:
	v_bfe_u32 v5, v4, 21, 1
	s_mov_b32 s88, 0x88fffff
	v_add3_u32 v5, v4, v5, s88
	s_mov_b64 s[86:87], exec
	v_lshrrev_b32_e32 v5, 21, v5
                                        ; implicit-def: $vgpr33
	s_or_saveexec_b64 s[88:89], s[4:5]
                                        ; implicit-def: $sgpr90
	s_xor_b64 exec, exec, s[88:89]
	s_cbranch_execz .LBB94_7310
.LBB94_7906:
	v_add_f32_e32 v5, 0x42800000, v33
	v_and_b32_e32 v5, 0xff, v5
	v_cmp_ne_u32_e64 s[4:5], 0, v5
	s_andn2_b64 s[86:87], s[86:87], exec
	s_and_b64 s[4:5], s[4:5], exec
	s_mov_b32 s90, 0
	s_or_b64 s[86:87], s[86:87], s[4:5]
	s_or_b64 exec, exec, s[88:89]
	v_mov_b32_e32 v34, s90
	s_and_saveexec_b64 s[4:5], s[86:87]
	s_cbranch_execnz .LBB94_7311
	s_branch .LBB94_7312
.LBB94_7907:
	v_bfe_u32 v5, v4, 20, 1
	s_mov_b32 s90, 0x487ffff
	v_add3_u32 v5, v4, v5, s90
	s_mov_b64 s[88:89], exec
	v_lshrrev_b32_e32 v5, 20, v5
                                        ; implicit-def: $vgpr31
	s_or_saveexec_b64 s[90:91], s[4:5]
                                        ; implicit-def: $sgpr92
	s_xor_b64 exec, exec, s[90:91]
	s_cbranch_execz .LBB94_7423
.LBB94_7908:
	v_add_f32_e32 v5, 0x46000000, v31
	v_and_b32_e32 v5, 0xff, v5
	v_cmp_ne_u32_e64 s[4:5], 0, v5
	s_andn2_b64 s[88:89], s[88:89], exec
	s_and_b64 s[4:5], s[4:5], exec
	s_mov_b32 s92, 0
	s_or_b64 s[88:89], s[88:89], s[4:5]
	s_or_b64 exec, exec, s[90:91]
	v_mov_b32_e32 v32, s92
	s_and_saveexec_b64 s[4:5], s[88:89]
	s_cbranch_execnz .LBB94_7424
	s_branch .LBB94_7425
.LBB94_7909:
	v_bfe_u32 v5, v4, 21, 1
	s_mov_b32 s92, 0x88fffff
	v_add3_u32 v5, v4, v5, s92
	s_mov_b64 s[90:91], exec
	v_lshrrev_b32_e32 v5, 21, v5
                                        ; implicit-def: $vgpr31
	s_or_saveexec_b64 s[92:93], s[4:5]
                                        ; implicit-def: $sgpr94
	s_xor_b64 exec, exec, s[92:93]
	s_cbranch_execz .LBB94_7436
.LBB94_7910:
	v_add_f32_e32 v5, 0x42800000, v31
	v_and_b32_e32 v5, 0xff, v5
	v_cmp_ne_u32_e64 s[4:5], 0, v5
	s_andn2_b64 s[90:91], s[90:91], exec
	s_and_b64 s[4:5], s[4:5], exec
	s_mov_b32 s94, 0
	s_or_b64 s[90:91], s[90:91], s[4:5]
	s_or_b64 exec, exec, s[92:93]
	v_mov_b32_e32 v32, s94
	s_and_saveexec_b64 s[4:5], s[90:91]
	s_cbranch_execnz .LBB94_7437
	s_branch .LBB94_7438
.LBB94_7911:
	v_bfe_u32 v5, v4, 20, 1
	s_mov_b32 s76, 0x487ffff
	v_add3_u32 v5, v4, v5, s76
	s_mov_b64 s[92:93], exec
	v_lshrrev_b32_e32 v5, 20, v5
                                        ; implicit-def: $vgpr29
	s_or_saveexec_b64 s[94:95], s[4:5]
                                        ; implicit-def: $sgpr96
	s_xor_b64 exec, exec, s[94:95]
	s_cbranch_execz .LBB94_7549
.LBB94_7912:
	v_add_f32_e32 v5, 0x46000000, v29
	v_and_b32_e32 v5, 0xff, v5
	v_cmp_ne_u32_e64 s[4:5], 0, v5
	s_andn2_b64 s[76:77], s[92:93], exec
	s_and_b64 s[4:5], s[4:5], exec
	s_mov_b32 s96, 0
	s_or_b64 s[92:93], s[76:77], s[4:5]
	s_or_b64 exec, exec, s[94:95]
	v_mov_b32_e32 v30, s96
	s_and_saveexec_b64 s[4:5], s[92:93]
	s_cbranch_execnz .LBB94_7550
	s_branch .LBB94_7551
.LBB94_7913:
	v_bfe_u32 v5, v4, 20, 1
	s_mov_b32 s76, 0x487ffff
	v_add3_u32 v5, v4, v5, s76
	s_mov_b64 s[96:97], exec
	v_lshrrev_b32_e32 v5, 20, v5
                                        ; implicit-def: $vgpr27
	s_or_saveexec_b64 s[80:81], s[4:5]
                                        ; implicit-def: $sgpr78
	s_xor_b64 exec, exec, s[80:81]
	s_cbranch_execz .LBB94_7677
.LBB94_7914:
	v_add_f32_e32 v5, 0x46000000, v27
	v_and_b32_e32 v5, 0xff, v5
	v_cmp_ne_u32_e64 s[4:5], 0, v5
	s_andn2_b64 s[76:77], s[96:97], exec
	s_and_b64 s[4:5], s[4:5], exec
	s_mov_b32 s78, 0
	s_or_b64 s[96:97], s[76:77], s[4:5]
	s_or_b64 exec, exec, s[80:81]
	v_mov_b32_e32 v28, s78
	s_and_saveexec_b64 s[4:5], s[96:97]
	s_cbranch_execnz .LBB94_7678
	s_branch .LBB94_7679
.LBB94_7915:
	v_bfe_u32 v5, v4, 20, 1
	s_mov_b32 s76, 0x487ffff
	v_add3_u32 v5, v4, v5, s76
	s_mov_b64 s[82:83], exec
	v_lshrrev_b32_e32 v5, 20, v5
                                        ; implicit-def: $vgpr25
	s_or_saveexec_b64 s[80:81], s[4:5]
                                        ; implicit-def: $sgpr78
	s_xor_b64 exec, exec, s[80:81]
	s_cbranch_execz .LBB94_7805
.LBB94_7916:
	v_add_f32_e32 v5, 0x46000000, v25
	v_and_b32_e32 v5, 0xff, v5
	v_cmp_ne_u32_e64 s[4:5], 0, v5
	s_andn2_b64 s[76:77], s[82:83], exec
	s_and_b64 s[4:5], s[4:5], exec
	s_mov_b32 s78, 0
	s_or_b64 s[82:83], s[76:77], s[4:5]
	s_or_b64 exec, exec, s[80:81]
	v_mov_b32_e32 v26, s78
	s_and_saveexec_b64 s[4:5], s[82:83]
	s_cbranch_execnz .LBB94_7806
	s_branch .LBB94_7807
.LBB94_7917:
	v_bfe_u32 v5, v4, 20, 1
	s_mov_b32 s76, 0x487ffff
	v_add3_u32 v5, v4, v5, s76
	s_mov_b64 s[82:83], exec
	v_lshrrev_b32_e32 v5, 20, v5
                                        ; implicit-def: $vgpr23
	s_or_saveexec_b64 s[80:81], s[4:5]
                                        ; implicit-def: $sgpr78
	s_xor_b64 exec, exec, s[80:81]
	s_cbranch_execz .LBB94_4105
.LBB94_7918:
	v_add_f32_e32 v5, 0x46000000, v23
	v_and_b32_e32 v5, 0xff, v5
	v_cmp_ne_u32_e64 s[4:5], 0, v5
	s_andn2_b64 s[76:77], s[82:83], exec
	s_and_b64 s[4:5], s[4:5], exec
	s_mov_b32 s78, 0
	s_or_b64 s[82:83], s[76:77], s[4:5]
	s_or_b64 exec, exec, s[80:81]
	v_mov_b32_e32 v24, s78
	s_and_saveexec_b64 s[4:5], s[82:83]
	s_cbranch_execnz .LBB94_4106
	s_branch .LBB94_4107
.LBB94_7919:
	v_bfe_u32 v5, v4, 21, 1
	s_mov_b32 s76, 0x88fffff
	v_add3_u32 v5, v4, v5, s76
	s_mov_b64 s[96:97], exec
	v_lshrrev_b32_e32 v5, 21, v5
                                        ; implicit-def: $vgpr25
	s_or_saveexec_b64 s[80:81], s[4:5]
                                        ; implicit-def: $sgpr78
	s_xor_b64 exec, exec, s[80:81]
	s_cbranch_execz .LBB94_7818
.LBB94_7920:
	v_add_f32_e32 v5, 0x42800000, v25
	v_and_b32_e32 v5, 0xff, v5
	v_cmp_ne_u32_e64 s[4:5], 0, v5
	s_andn2_b64 s[76:77], s[96:97], exec
	s_and_b64 s[4:5], s[4:5], exec
	s_mov_b32 s78, 0
	s_or_b64 s[96:97], s[76:77], s[4:5]
	s_or_b64 exec, exec, s[80:81]
	v_mov_b32_e32 v26, s78
	s_and_saveexec_b64 s[4:5], s[96:97]
	s_cbranch_execnz .LBB94_7819
	s_branch .LBB94_7820
.LBB94_7921:
	v_bfe_u32 v5, v4, 20, 1
	s_mov_b32 s76, 0x487ffff
	v_add3_u32 v5, v4, v5, s76
	s_mov_b64 s[84:85], exec
	v_lshrrev_b32_e32 v5, 20, v5
                                        ; implicit-def: $vgpr21
	s_or_saveexec_b64 s[80:81], s[4:5]
                                        ; implicit-def: $sgpr78
	s_xor_b64 exec, exec, s[80:81]
	s_cbranch_execz .LBB94_4236
.LBB94_7922:
	v_add_f32_e32 v5, 0x46000000, v21
	v_and_b32_e32 v5, 0xff, v5
	v_cmp_ne_u32_e64 s[4:5], 0, v5
	s_andn2_b64 s[76:77], s[84:85], exec
	s_and_b64 s[4:5], s[4:5], exec
	s_mov_b32 s78, 0
	s_or_b64 s[84:85], s[76:77], s[4:5]
	s_or_b64 exec, exec, s[80:81]
	v_mov_b32_e32 v22, s78
	s_and_saveexec_b64 s[4:5], s[84:85]
	s_cbranch_execnz .LBB94_4237
	s_branch .LBB94_4238
.LBB94_7923:
	v_bfe_u32 v5, v4, 21, 1
	s_mov_b32 s76, 0x88fffff
	v_add3_u32 v5, v4, v5, s76
	s_mov_b64 s[90:91], exec
	v_lshrrev_b32_e32 v5, 21, v5
                                        ; implicit-def: $vgpr21
	s_or_saveexec_b64 s[80:81], s[4:5]
                                        ; implicit-def: $sgpr78
	s_xor_b64 exec, exec, s[80:81]
	s_cbranch_execz .LBB94_4249
.LBB94_7924:
	v_add_f32_e32 v5, 0x42800000, v21
	v_and_b32_e32 v5, 0xff, v5
	v_cmp_ne_u32_e64 s[4:5], 0, v5
	s_andn2_b64 s[76:77], s[90:91], exec
	s_and_b64 s[4:5], s[4:5], exec
	s_mov_b32 s78, 0
	s_or_b64 s[90:91], s[76:77], s[4:5]
	s_or_b64 exec, exec, s[80:81]
	v_mov_b32_e32 v22, s78
	s_and_saveexec_b64 s[4:5], s[90:91]
	s_cbranch_execnz .LBB94_4250
	s_branch .LBB94_4251
.LBB94_7925:
	v_bfe_u32 v5, v4, 20, 1
	s_mov_b32 s76, 0x487ffff
	v_add3_u32 v5, v4, v5, s76
	s_mov_b64 s[90:91], exec
	v_lshrrev_b32_e32 v5, 20, v5
                                        ; implicit-def: $vgpr19
	s_or_saveexec_b64 s[80:81], s[4:5]
                                        ; implicit-def: $sgpr78
	s_xor_b64 exec, exec, s[80:81]
	s_cbranch_execz .LBB94_4365
.LBB94_7926:
	v_add_f32_e32 v5, 0x46000000, v19
	v_and_b32_e32 v5, 0xff, v5
	v_cmp_ne_u32_e64 s[4:5], 0, v5
	s_andn2_b64 s[76:77], s[90:91], exec
	s_and_b64 s[4:5], s[4:5], exec
	s_mov_b32 s78, 0
	s_or_b64 s[90:91], s[76:77], s[4:5]
	s_or_b64 exec, exec, s[80:81]
	v_mov_b32_e32 v20, s78
	s_and_saveexec_b64 s[4:5], s[90:91]
	s_cbranch_execnz .LBB94_4366
	s_branch .LBB94_4367
.LBB94_7927:
	v_bfe_u32 v5, v4, 21, 1
	s_mov_b32 s76, 0x88fffff
	v_add3_u32 v5, v4, v5, s76
	s_mov_b64 s[84:85], exec
	v_lshrrev_b32_e32 v5, 21, v5
                                        ; implicit-def: $vgpr19
	s_or_saveexec_b64 s[80:81], s[4:5]
                                        ; implicit-def: $sgpr78
	s_xor_b64 exec, exec, s[80:81]
	s_cbranch_execz .LBB94_4378
.LBB94_7928:
	v_add_f32_e32 v5, 0x42800000, v19
	v_and_b32_e32 v5, 0xff, v5
	v_cmp_ne_u32_e64 s[4:5], 0, v5
	s_andn2_b64 s[76:77], s[84:85], exec
	s_and_b64 s[4:5], s[4:5], exec
	s_mov_b32 s78, 0
	s_or_b64 s[84:85], s[76:77], s[4:5]
	s_or_b64 exec, exec, s[80:81]
	v_mov_b32_e32 v20, s78
	s_and_saveexec_b64 s[4:5], s[84:85]
	s_cbranch_execnz .LBB94_4379
	s_branch .LBB94_4380
.LBB94_7929:
	v_bfe_u32 v5, v4, 20, 1
	s_mov_b32 s76, 0x487ffff
	v_add3_u32 v5, v4, v5, s76
	s_mov_b64 s[90:91], exec
	v_lshrrev_b32_e32 v5, 20, v5
                                        ; implicit-def: $vgpr17
	s_or_saveexec_b64 s[80:81], s[4:5]
                                        ; implicit-def: $sgpr78
	s_xor_b64 exec, exec, s[80:81]
	s_cbranch_execz .LBB94_4494
.LBB94_7930:
	v_add_f32_e32 v5, 0x46000000, v17
	v_and_b32_e32 v5, 0xff, v5
	v_cmp_ne_u32_e64 s[4:5], 0, v5
	s_andn2_b64 s[76:77], s[90:91], exec
	s_and_b64 s[4:5], s[4:5], exec
	s_mov_b32 s78, 0
	s_or_b64 s[90:91], s[76:77], s[4:5]
	s_or_b64 exec, exec, s[80:81]
	v_mov_b32_e32 v18, s78
	s_and_saveexec_b64 s[4:5], s[90:91]
	s_cbranch_execnz .LBB94_4495
	s_branch .LBB94_4496
.LBB94_7931:
	v_bfe_u32 v5, v4, 21, 1
	s_mov_b32 s76, 0x88fffff
	v_add3_u32 v5, v4, v5, s76
	s_mov_b64 s[84:85], exec
	v_lshrrev_b32_e32 v5, 21, v5
                                        ; implicit-def: $vgpr17
	s_or_saveexec_b64 s[80:81], s[4:5]
                                        ; implicit-def: $sgpr78
	s_xor_b64 exec, exec, s[80:81]
	s_cbranch_execz .LBB94_4507
.LBB94_7932:
	v_add_f32_e32 v5, 0x42800000, v17
	v_and_b32_e32 v5, 0xff, v5
	v_cmp_ne_u32_e64 s[4:5], 0, v5
	s_andn2_b64 s[76:77], s[84:85], exec
	s_and_b64 s[4:5], s[4:5], exec
	s_mov_b32 s78, 0
	s_or_b64 s[84:85], s[76:77], s[4:5]
	s_or_b64 exec, exec, s[80:81]
	v_mov_b32_e32 v18, s78
	s_and_saveexec_b64 s[4:5], s[84:85]
	s_cbranch_execnz .LBB94_4508
	s_branch .LBB94_4509
.LBB94_7933:
	v_bfe_u32 v5, v4, 20, 1
	s_mov_b32 s76, 0x487ffff
	v_add3_u32 v5, v4, v5, s76
	s_mov_b64 s[90:91], exec
	v_lshrrev_b32_e32 v5, 20, v5
                                        ; implicit-def: $vgpr15
	s_or_saveexec_b64 s[80:81], s[4:5]
                                        ; implicit-def: $sgpr78
	s_xor_b64 exec, exec, s[80:81]
	s_cbranch_execz .LBB94_4623
.LBB94_7934:
	v_add_f32_e32 v5, 0x46000000, v15
	v_and_b32_e32 v5, 0xff, v5
	v_cmp_ne_u32_e64 s[4:5], 0, v5
	s_andn2_b64 s[76:77], s[90:91], exec
	s_and_b64 s[4:5], s[4:5], exec
	s_mov_b32 s78, 0
	s_or_b64 s[90:91], s[76:77], s[4:5]
	s_or_b64 exec, exec, s[80:81]
	v_mov_b32_e32 v16, s78
	s_and_saveexec_b64 s[4:5], s[90:91]
	s_cbranch_execnz .LBB94_4624
	s_branch .LBB94_4625
.LBB94_7935:
	v_bfe_u32 v5, v4, 21, 1
	s_mov_b32 s76, 0x88fffff
	v_add3_u32 v5, v4, v5, s76
	s_mov_b64 s[84:85], exec
	v_lshrrev_b32_e32 v5, 21, v5
                                        ; implicit-def: $vgpr15
	s_or_saveexec_b64 s[80:81], s[4:5]
                                        ; implicit-def: $sgpr78
	s_xor_b64 exec, exec, s[80:81]
	s_cbranch_execz .LBB94_4636
.LBB94_7936:
	v_add_f32_e32 v5, 0x42800000, v15
	v_and_b32_e32 v5, 0xff, v5
	v_cmp_ne_u32_e64 s[4:5], 0, v5
	s_andn2_b64 s[76:77], s[84:85], exec
	s_and_b64 s[4:5], s[4:5], exec
	s_mov_b32 s78, 0
	s_or_b64 s[84:85], s[76:77], s[4:5]
	s_or_b64 exec, exec, s[80:81]
	v_mov_b32_e32 v16, s78
	s_and_saveexec_b64 s[4:5], s[84:85]
	s_cbranch_execnz .LBB94_4637
	s_branch .LBB94_4638
.LBB94_7937:
	v_bfe_u32 v5, v4, 20, 1
	s_mov_b32 s76, 0x487ffff
	v_add3_u32 v5, v4, v5, s76
	s_mov_b64 s[84:85], exec
	v_lshrrev_b32_e32 v5, 20, v5
                                        ; implicit-def: $vgpr9
	s_or_saveexec_b64 s[80:81], s[4:5]
                                        ; implicit-def: $sgpr78
	s_xor_b64 exec, exec, s[80:81]
	s_cbranch_execz .LBB94_4752
.LBB94_7938:
	v_add_f32_e32 v5, 0x46000000, v9
	v_and_b32_e32 v5, 0xff, v5
	v_cmp_ne_u32_e64 s[4:5], 0, v5
	s_andn2_b64 s[76:77], s[84:85], exec
	s_and_b64 s[4:5], s[4:5], exec
	s_mov_b32 s78, 0
	s_or_b64 s[84:85], s[76:77], s[4:5]
	s_or_b64 exec, exec, s[80:81]
	v_mov_b32_e32 v10, s78
	s_and_saveexec_b64 s[4:5], s[84:85]
	s_cbranch_execnz .LBB94_4753
	s_branch .LBB94_4754
.LBB94_7939:
	v_bfe_u32 v5, v4, 21, 1
	s_mov_b32 s76, 0x88fffff
	v_add3_u32 v5, v4, v5, s76
	s_mov_b64 s[90:91], exec
	v_lshrrev_b32_e32 v5, 21, v5
                                        ; implicit-def: $vgpr9
	s_or_saveexec_b64 s[80:81], s[4:5]
                                        ; implicit-def: $sgpr78
	s_xor_b64 exec, exec, s[80:81]
	s_cbranch_execz .LBB94_4765
.LBB94_7940:
	v_add_f32_e32 v5, 0x42800000, v9
	v_and_b32_e32 v5, 0xff, v5
	v_cmp_ne_u32_e64 s[4:5], 0, v5
	s_andn2_b64 s[76:77], s[90:91], exec
	s_and_b64 s[4:5], s[4:5], exec
	s_mov_b32 s78, 0
	s_or_b64 s[90:91], s[76:77], s[4:5]
	s_or_b64 exec, exec, s[80:81]
	v_mov_b32_e32 v10, s78
	s_and_saveexec_b64 s[4:5], s[90:91]
	s_cbranch_execnz .LBB94_4766
	s_branch .LBB94_4767
.LBB94_7941:
	v_bfe_u32 v0, v2, 20, 1
	s_mov_b32 s76, 0x487ffff
	v_add3_u32 v0, v2, v0, s76
	s_mov_b64 s[90:91], exec
	v_lshrrev_b32_e32 v0, 20, v0
                                        ; implicit-def: $vgpr1
	s_or_saveexec_b64 s[80:81], s[4:5]
                                        ; implicit-def: $sgpr78
	s_xor_b64 exec, exec, s[80:81]
	s_cbranch_execz .LBB94_4881
.LBB94_7942:
	v_add_f32_e32 v0, 0x46000000, v1
	v_and_b32_e32 v0, 0xff, v0
	v_cmp_ne_u32_e64 s[4:5], 0, v0
	s_andn2_b64 s[76:77], s[90:91], exec
	s_and_b64 s[4:5], s[4:5], exec
	s_mov_b32 s78, 0
	s_or_b64 s[90:91], s[76:77], s[4:5]
	s_or_b64 exec, exec, s[80:81]
	v_mov_b32_e32 v3, s78
	s_and_saveexec_b64 s[4:5], s[90:91]
	s_cbranch_execnz .LBB94_4882
	s_branch .LBB94_4883
.LBB94_7943:
	v_bfe_u32 v0, v2, 21, 1
	s_mov_b32 s76, 0x88fffff
	v_add3_u32 v0, v2, v0, s76
	s_mov_b64 s[90:91], exec
	v_lshrrev_b32_e32 v0, 21, v0
                                        ; implicit-def: $vgpr1
	s_or_saveexec_b64 s[80:81], s[4:5]
                                        ; implicit-def: $sgpr78
	s_xor_b64 exec, exec, s[80:81]
	s_cbranch_execz .LBB94_4894
.LBB94_7944:
	v_add_f32_e32 v0, 0x42800000, v1
	v_and_b32_e32 v0, 0xff, v0
	v_cmp_ne_u32_e64 s[4:5], 0, v0
	s_andn2_b64 s[76:77], s[90:91], exec
	s_and_b64 s[4:5], s[4:5], exec
	s_mov_b32 s78, 0
	s_or_b64 s[90:91], s[76:77], s[4:5]
	s_or_b64 exec, exec, s[80:81]
	v_mov_b32_e32 v3, s78
	s_and_saveexec_b64 s[4:5], s[90:91]
	s_cbranch_execnz .LBB94_4895
	s_branch .LBB94_4896
.Lfunc_end94:
	.size	_ZN2at6native25elementwise_kernel_helperILb1ENS0_13BinaryFunctorIfffZZZNS0_20copysign_kernel_cudaERNS_18TensorIteratorBaseEENKUlvE_clEvENKUlvE0_clEvEUlffE_EENS0_6memory8policies11unroll_baseILi512ESt5arrayIPcLm3EE23TrivialOffsetCalculatorILi2EjESF_ILi1EjENS9_12LoadWithCastILi2EEENS9_13StoreWithCastILi1EEELi32ELi1EEEEEvT0_T1_, .Lfunc_end94-_ZN2at6native25elementwise_kernel_helperILb1ENS0_13BinaryFunctorIfffZZZNS0_20copysign_kernel_cudaERNS_18TensorIteratorBaseEENKUlvE_clEvENKUlvE0_clEvEUlffE_EENS0_6memory8policies11unroll_baseILi512ESt5arrayIPcLm3EE23TrivialOffsetCalculatorILi2EjESF_ILi1EjENS9_12LoadWithCastILi2EEENS9_13StoreWithCastILi1EEELi32ELi1EEEEEvT0_T1_
                                        ; -- End function
	.section	.AMDGPU.csdata,"",@progbits
; Function info:
; codeLenInByte = 170840
; NumSgprs: 102
; NumVgprs: 120
; NumAgprs: 0
; TotalNumVgprs: 120
; ScratchSize: 288
; MemoryBound: 1
	.section	.text._ZN2at6native39vectorized_templated_elementwise_kernelILi8ENS0_13BinaryFunctorIfffZZZNS0_20copysign_kernel_cudaERNS_18TensorIteratorBaseEENKUlvE_clEvENKUlvE0_clEvEUlffE_EESt5arrayIPcLm3EE23TrivialOffsetCalculatorILi2EjESC_ILi1EjENS0_6memory12LoadWithCastILi2EEENSF_13StoreWithCastILi1EEEfJfN3c108BFloat16EEEEviT0_T1_T2_T3_T4_T5_,"axG",@progbits,_ZN2at6native39vectorized_templated_elementwise_kernelILi8ENS0_13BinaryFunctorIfffZZZNS0_20copysign_kernel_cudaERNS_18TensorIteratorBaseEENKUlvE_clEvENKUlvE0_clEvEUlffE_EESt5arrayIPcLm3EE23TrivialOffsetCalculatorILi2EjESC_ILi1EjENS0_6memory12LoadWithCastILi2EEENSF_13StoreWithCastILi1EEEfJfN3c108BFloat16EEEEviT0_T1_T2_T3_T4_T5_,comdat
	.globl	_ZN2at6native39vectorized_templated_elementwise_kernelILi8ENS0_13BinaryFunctorIfffZZZNS0_20copysign_kernel_cudaERNS_18TensorIteratorBaseEENKUlvE_clEvENKUlvE0_clEvEUlffE_EESt5arrayIPcLm3EE23TrivialOffsetCalculatorILi2EjESC_ILi1EjENS0_6memory12LoadWithCastILi2EEENSF_13StoreWithCastILi1EEEfJfN3c108BFloat16EEEEviT0_T1_T2_T3_T4_T5_ ; -- Begin function _ZN2at6native39vectorized_templated_elementwise_kernelILi8ENS0_13BinaryFunctorIfffZZZNS0_20copysign_kernel_cudaERNS_18TensorIteratorBaseEENKUlvE_clEvENKUlvE0_clEvEUlffE_EESt5arrayIPcLm3EE23TrivialOffsetCalculatorILi2EjESC_ILi1EjENS0_6memory12LoadWithCastILi2EEENSF_13StoreWithCastILi1EEEfJfN3c108BFloat16EEEEviT0_T1_T2_T3_T4_T5_
	.p2align	8
	.type	_ZN2at6native39vectorized_templated_elementwise_kernelILi8ENS0_13BinaryFunctorIfffZZZNS0_20copysign_kernel_cudaERNS_18TensorIteratorBaseEENKUlvE_clEvENKUlvE0_clEvEUlffE_EESt5arrayIPcLm3EE23TrivialOffsetCalculatorILi2EjESC_ILi1EjENS0_6memory12LoadWithCastILi2EEENSF_13StoreWithCastILi1EEEfJfN3c108BFloat16EEEEviT0_T1_T2_T3_T4_T5_,@function
_ZN2at6native39vectorized_templated_elementwise_kernelILi8ENS0_13BinaryFunctorIfffZZZNS0_20copysign_kernel_cudaERNS_18TensorIteratorBaseEENKUlvE_clEvENKUlvE0_clEvEUlffE_EESt5arrayIPcLm3EE23TrivialOffsetCalculatorILi2EjESC_ILi1EjENS0_6memory12LoadWithCastILi2EEENSF_13StoreWithCastILi1EEEfJfN3c108BFloat16EEEEviT0_T1_T2_T3_T4_T5_: ; @_ZN2at6native39vectorized_templated_elementwise_kernelILi8ENS0_13BinaryFunctorIfffZZZNS0_20copysign_kernel_cudaERNS_18TensorIteratorBaseEENKUlvE_clEvENKUlvE0_clEvEUlffE_EESt5arrayIPcLm3EE23TrivialOffsetCalculatorILi2EjESC_ILi1EjENS0_6memory12LoadWithCastILi2EEENSF_13StoreWithCastILi1EEEfJfN3c108BFloat16EEEEviT0_T1_T2_T3_T4_T5_
; %bb.0:
	s_add_u32 flat_scratch_lo, s6, s9
	s_addc_u32 flat_scratch_hi, s7, 0
	s_add_u32 s0, s0, s9
	s_load_dword s6, s[4:5], 0x38
	s_load_dwordx2 s[10:11], s[4:5], 0x18
	s_load_dword s7, s[4:5], 0x0
	s_load_dwordx4 s[16:19], s[4:5], 0x8
	s_addc_u32 s1, s1, 0
	s_mov_b32 s12, s8
	s_not_b32 s8, s8
	s_waitcnt lgkmcnt(0)
	s_add_i32 s6, s6, s8
	s_lshl_b32 s6, s6, 14
	s_sub_i32 s13, s7, s6
	s_cmpk_gt_i32 s13, 0x3fff
	s_mov_b64 s[8:9], -1
	s_mov_b32 s32, 0
	s_cbranch_scc1 .LBB95_3
; %bb.1:
	s_andn2_b64 vcc, exec, s[8:9]
	s_cbranch_vccz .LBB95_4
.LBB95_2:
	s_endpgm
.LBB95_3:
	s_ashr_i32 s7, s6, 31
	s_lshl_b64 s[8:9], s[6:7], 2
	s_add_u32 s14, s18, s8
	s_addc_u32 s15, s19, s9
	s_lshl_b64 s[6:7], s[6:7], 1
	s_add_u32 s20, s10, s6
	s_addc_u32 s21, s11, s7
	v_lshlrev_b32_e32 v18, 4, v0
	v_lshlrev_b32_e32 v1, 5, v0
	global_load_dwordx4 v[2:5], v18, s[20:21]
	global_load_dwordx4 v[6:9], v1, s[14:15]
	global_load_dwordx4 v[10:13], v1, s[14:15] offset:16
	s_movk_i32 s22, 0x4000
	v_mov_b32_e32 v19, s15
	v_add_co_u32_e32 v37, vcc, s14, v1
	v_addc_co_u32_e32 v40, vcc, 0, v19, vcc
	v_add_co_u32_e64 v26, s[6:7], s22, v37
	v_addc_co_u32_e64 v27, s[6:7], 0, v40, s[6:7]
	v_mov_b32_e32 v19, s21
	v_add_co_u32_e64 v42, s[6:7], s20, v18
	s_movk_i32 s25, 0x2000
	v_add_co_u32_e32 v34, vcc, 0x4000, v37
	v_addc_co_u32_e64 v43, s[6:7], 0, v19, s[6:7]
	v_or_b32_e32 v14, 0x400, v0
	v_add_co_u32_e64 v28, s[6:7], s25, v42
	v_addc_co_u32_e32 v35, vcc, 0, v40, vcc
	v_lshlrev_b32_e32 v48, 5, v14
	v_addc_co_u32_e64 v29, s[6:7], 0, v43, s[6:7]
	v_add_co_u32_e32 v46, vcc, 0xc000, v37
	s_mov_b32 s23, 0xc000
	s_movk_i32 s26, 0x6000
	v_lshlrev_b32_e32 v36, 4, v14
	global_load_dwordx4 v[14:17], v48, s[14:15] offset:16
	global_load_dwordx4 v[18:21], v[28:29], off
	global_load_dwordx4 v[22:25], v[26:27], off
	v_addc_co_u32_e32 v47, vcc, 0, v40, vcc
	global_load_dwordx4 v[26:29], v[34:35], off offset:16
	global_load_dwordx4 v[30:33], v36, s[20:21]
	v_add_co_u32_e64 v38, s[6:7], s23, v37
	global_load_dwordx4 v[34:37], v48, s[14:15]
	v_add_co_u32_e32 v42, vcc, s26, v42
	v_addc_co_u32_e32 v43, vcc, 0, v43, vcc
	s_brev_b32 s24, -2
	v_addc_co_u32_e64 v39, s[6:7], 0, v40, s[6:7]
	global_load_dwordx4 v[38:41], v[38:39], off
	s_add_u32 s6, s16, s8
	global_load_dwordx4 v[42:45], v[42:43], off
	s_addc_u32 s7, s17, s9
	s_waitcnt vmcnt(10)
	v_lshlrev_b32_e32 v49, 16, v2
	s_waitcnt vmcnt(9)
	v_bfi_b32 v7, s24, v7, v2
	v_lshlrev_b32_e32 v50, 16, v3
	v_bfi_b32 v9, s24, v9, v3
	v_lshlrev_b32_e32 v51, 16, v4
	s_waitcnt vmcnt(8)
	v_bfi_b32 v11, s24, v11, v4
	v_bfi_b32 v13, s24, v13, v5
	v_lshlrev_b32_e32 v52, 16, v5
	global_load_dwordx4 v[2:5], v[46:47], off offset:16
	v_mov_b32_e32 v46, s7
	v_add_co_u32_e32 v47, vcc, s6, v1
	v_bfi_b32 v6, s24, v6, v49
	v_addc_co_u32_e32 v46, vcc, 0, v46, vcc
	v_bfi_b32 v8, s24, v8, v50
	v_bfi_b32 v10, s24, v10, v51
	;; [unrolled: 1-line block ×3, first 2 shown]
	global_store_dwordx4 v1, v[6:9], s[6:7]
	global_store_dwordx4 v1, v[10:13], s[6:7] offset:16
	v_add_co_u32_e32 v6, vcc, s22, v47
	v_addc_co_u32_e32 v7, vcc, 0, v46, vcc
	s_waitcnt vmcnt(9)
	v_lshlrev_b32_e32 v49, 16, v18
	s_waitcnt vmcnt(8)
	v_bfi_b32 v23, s24, v23, v18
	v_lshlrev_b32_e32 v18, 16, v19
	v_lshlrev_b32_e32 v50, 16, v20
	v_bfi_b32 v25, s24, v25, v19
	v_bfi_b32 v24, s24, v24, v18
	s_waitcnt vmcnt(7)
	v_bfi_b32 v19, s24, v27, v20
	v_bfi_b32 v18, s24, v26, v50
	v_lshlrev_b32_e32 v20, 16, v21
	s_waitcnt vmcnt(6)
	v_lshlrev_b32_e32 v26, 16, v30
	s_waitcnt vmcnt(5)
	v_bfi_b32 v27, s24, v35, v30
	v_lshlrev_b32_e32 v30, 16, v32
	v_bfi_b32 v22, s24, v22, v49
	v_bfi_b32 v20, s24, v28, v20
	v_lshlrev_b32_e32 v28, 16, v31
	v_bfi_b32 v14, s24, v14, v30
	v_lshlrev_b32_e32 v30, 16, v33
	v_bfi_b32 v21, s24, v29, v21
	v_bfi_b32 v26, s24, v34, v26
	;; [unrolled: 1-line block ×7, first 2 shown]
	s_waitcnt vmcnt(3)
	v_lshlrev_b32_e32 v30, 16, v42
	v_lshlrev_b32_e32 v32, 16, v43
	;; [unrolled: 1-line block ×3, first 2 shown]
	global_store_dwordx4 v[6:7], v[22:25], off
	global_store_dwordx4 v[6:7], v[18:21], off offset:16
	global_store_dwordx4 v48, v[26:29], s[6:7]
	global_store_dwordx4 v48, v[14:17], s[6:7] offset:16
	v_add_co_u32_e32 v6, vcc, 0xc000, v47
	v_bfi_b32 v31, s24, v39, v42
	v_bfi_b32 v30, s24, v38, v30
	;; [unrolled: 1-line block ×4, first 2 shown]
	v_addc_co_u32_e32 v7, vcc, 0, v46, vcc
	s_waitcnt vmcnt(6)
	v_bfi_b32 v2, s24, v2, v34
	v_lshlrev_b32_e32 v34, 16, v45
	v_bfi_b32 v3, s24, v3, v44
	v_bfi_b32 v5, s24, v5, v45
	;; [unrolled: 1-line block ×3, first 2 shown]
	global_store_dwordx4 v[6:7], v[30:33], off
	global_store_dwordx4 v[6:7], v[2:5], off offset:16
	s_cbranch_execnz .LBB95_2
.LBB95_4:
	s_load_dword s6, s[4:5], 0x24
	s_load_dwordx4 s[20:23], s[4:5], 0x28
	s_add_u32 s8, s4, 56
	s_addc_u32 s9, s5, 0
	v_mov_b32_e32 v31, v0
	s_waitcnt lgkmcnt(0)
	v_lshrrev_b16_e64 v8, 8, s6
	v_mov_b32_e32 v0, s16
	v_mov_b32_e32 v1, s17
	;; [unrolled: 1-line block ×12, first 2 shown]
	s_getpc_b64 s[4:5]
	s_add_u32 s4, s4, _ZN2at6native25elementwise_kernel_helperILb1ENS0_13BinaryFunctorIfffZZZNS0_20copysign_kernel_cudaERNS_18TensorIteratorBaseEENKUlvE_clEvENKUlvE0_clEvEUlffE_EENS0_6memory8policies11unroll_baseILi512ESt5arrayIPcLm3EE23TrivialOffsetCalculatorILi2EjESF_ILi1EjENS9_12LoadWithCastILi2EEENS9_13StoreWithCastILi1EEELi32ELi1EEEEEvT0_T1_@rel32@lo+4
	s_addc_u32 s5, s5, _ZN2at6native25elementwise_kernel_helperILb1ENS0_13BinaryFunctorIfffZZZNS0_20copysign_kernel_cudaERNS_18TensorIteratorBaseEENKUlvE_clEvENKUlvE0_clEvEUlffE_EENS0_6memory8policies11unroll_baseILi512ESt5arrayIPcLm3EE23TrivialOffsetCalculatorILi2EjESF_ILi1EjENS9_12LoadWithCastILi2EEENS9_13StoreWithCastILi1EEELi32ELi1EEEEEvT0_T1_@rel32@hi+12
	s_swappc_b64 s[30:31], s[4:5]
	s_endpgm
	.section	.rodata,"a",@progbits
	.p2align	6, 0x0
	.amdhsa_kernel _ZN2at6native39vectorized_templated_elementwise_kernelILi8ENS0_13BinaryFunctorIfffZZZNS0_20copysign_kernel_cudaERNS_18TensorIteratorBaseEENKUlvE_clEvENKUlvE0_clEvEUlffE_EESt5arrayIPcLm3EE23TrivialOffsetCalculatorILi2EjESC_ILi1EjENS0_6memory12LoadWithCastILi2EEENSF_13StoreWithCastILi1EEEfJfN3c108BFloat16EEEEviT0_T1_T2_T3_T4_T5_
		.amdhsa_group_segment_fixed_size 0
		.amdhsa_private_segment_fixed_size 288
		.amdhsa_kernarg_size 312
		.amdhsa_user_sgpr_count 8
		.amdhsa_user_sgpr_private_segment_buffer 1
		.amdhsa_user_sgpr_dispatch_ptr 0
		.amdhsa_user_sgpr_queue_ptr 0
		.amdhsa_user_sgpr_kernarg_segment_ptr 1
		.amdhsa_user_sgpr_dispatch_id 0
		.amdhsa_user_sgpr_flat_scratch_init 1
		.amdhsa_user_sgpr_kernarg_preload_length 0
		.amdhsa_user_sgpr_kernarg_preload_offset 0
		.amdhsa_user_sgpr_private_segment_size 0
		.amdhsa_uses_dynamic_stack 0
		.amdhsa_system_sgpr_private_segment_wavefront_offset 1
		.amdhsa_system_sgpr_workgroup_id_x 1
		.amdhsa_system_sgpr_workgroup_id_y 0
		.amdhsa_system_sgpr_workgroup_id_z 0
		.amdhsa_system_sgpr_workgroup_info 0
		.amdhsa_system_vgpr_workitem_id 0
		.amdhsa_next_free_vgpr 120
		.amdhsa_next_free_sgpr 98
		.amdhsa_accum_offset 120
		.amdhsa_reserve_vcc 1
		.amdhsa_reserve_flat_scratch 1
		.amdhsa_float_round_mode_32 0
		.amdhsa_float_round_mode_16_64 0
		.amdhsa_float_denorm_mode_32 3
		.amdhsa_float_denorm_mode_16_64 3
		.amdhsa_dx10_clamp 1
		.amdhsa_ieee_mode 1
		.amdhsa_fp16_overflow 0
		.amdhsa_tg_split 0
		.amdhsa_exception_fp_ieee_invalid_op 0
		.amdhsa_exception_fp_denorm_src 0
		.amdhsa_exception_fp_ieee_div_zero 0
		.amdhsa_exception_fp_ieee_overflow 0
		.amdhsa_exception_fp_ieee_underflow 0
		.amdhsa_exception_fp_ieee_inexact 0
		.amdhsa_exception_int_div_zero 0
	.end_amdhsa_kernel
	.section	.text._ZN2at6native39vectorized_templated_elementwise_kernelILi8ENS0_13BinaryFunctorIfffZZZNS0_20copysign_kernel_cudaERNS_18TensorIteratorBaseEENKUlvE_clEvENKUlvE0_clEvEUlffE_EESt5arrayIPcLm3EE23TrivialOffsetCalculatorILi2EjESC_ILi1EjENS0_6memory12LoadWithCastILi2EEENSF_13StoreWithCastILi1EEEfJfN3c108BFloat16EEEEviT0_T1_T2_T3_T4_T5_,"axG",@progbits,_ZN2at6native39vectorized_templated_elementwise_kernelILi8ENS0_13BinaryFunctorIfffZZZNS0_20copysign_kernel_cudaERNS_18TensorIteratorBaseEENKUlvE_clEvENKUlvE0_clEvEUlffE_EESt5arrayIPcLm3EE23TrivialOffsetCalculatorILi2EjESC_ILi1EjENS0_6memory12LoadWithCastILi2EEENSF_13StoreWithCastILi1EEEfJfN3c108BFloat16EEEEviT0_T1_T2_T3_T4_T5_,comdat
.Lfunc_end95:
	.size	_ZN2at6native39vectorized_templated_elementwise_kernelILi8ENS0_13BinaryFunctorIfffZZZNS0_20copysign_kernel_cudaERNS_18TensorIteratorBaseEENKUlvE_clEvENKUlvE0_clEvEUlffE_EESt5arrayIPcLm3EE23TrivialOffsetCalculatorILi2EjESC_ILi1EjENS0_6memory12LoadWithCastILi2EEENSF_13StoreWithCastILi1EEEfJfN3c108BFloat16EEEEviT0_T1_T2_T3_T4_T5_, .Lfunc_end95-_ZN2at6native39vectorized_templated_elementwise_kernelILi8ENS0_13BinaryFunctorIfffZZZNS0_20copysign_kernel_cudaERNS_18TensorIteratorBaseEENKUlvE_clEvENKUlvE0_clEvEUlffE_EESt5arrayIPcLm3EE23TrivialOffsetCalculatorILi2EjESC_ILi1EjENS0_6memory12LoadWithCastILi2EEENSF_13StoreWithCastILi1EEEfJfN3c108BFloat16EEEEviT0_T1_T2_T3_T4_T5_
                                        ; -- End function
	.section	.AMDGPU.csdata,"",@progbits
; Kernel info:
; codeLenInByte = 968
; NumSgprs: 104
; NumVgprs: 120
; NumAgprs: 0
; TotalNumVgprs: 120
; ScratchSize: 288
; MemoryBound: 0
; FloatMode: 240
; IeeeMode: 1
; LDSByteSize: 0 bytes/workgroup (compile time only)
; SGPRBlocks: 12
; VGPRBlocks: 14
; NumSGPRsForWavesPerEU: 104
; NumVGPRsForWavesPerEU: 120
; AccumOffset: 120
; Occupancy: 4
; WaveLimiterHint : 0
; COMPUTE_PGM_RSRC2:SCRATCH_EN: 1
; COMPUTE_PGM_RSRC2:USER_SGPR: 8
; COMPUTE_PGM_RSRC2:TRAP_HANDLER: 0
; COMPUTE_PGM_RSRC2:TGID_X_EN: 1
; COMPUTE_PGM_RSRC2:TGID_Y_EN: 0
; COMPUTE_PGM_RSRC2:TGID_Z_EN: 0
; COMPUTE_PGM_RSRC2:TIDIG_COMP_CNT: 0
; COMPUTE_PGM_RSRC3_GFX90A:ACCUM_OFFSET: 29
; COMPUTE_PGM_RSRC3_GFX90A:TG_SPLIT: 0
	.section	.text._ZN2at6native39vectorized_templated_elementwise_kernelILi4ENS0_13BinaryFunctorIfffZZZNS0_20copysign_kernel_cudaERNS_18TensorIteratorBaseEENKUlvE_clEvENKUlvE0_clEvEUlffE_EESt5arrayIPcLm3EE23TrivialOffsetCalculatorILi2EjESC_ILi1EjENS0_6memory12LoadWithCastILi2EEENSF_13StoreWithCastILi1EEEfJfN3c108BFloat16EEEEviT0_T1_T2_T3_T4_T5_,"axG",@progbits,_ZN2at6native39vectorized_templated_elementwise_kernelILi4ENS0_13BinaryFunctorIfffZZZNS0_20copysign_kernel_cudaERNS_18TensorIteratorBaseEENKUlvE_clEvENKUlvE0_clEvEUlffE_EESt5arrayIPcLm3EE23TrivialOffsetCalculatorILi2EjESC_ILi1EjENS0_6memory12LoadWithCastILi2EEENSF_13StoreWithCastILi1EEEfJfN3c108BFloat16EEEEviT0_T1_T2_T3_T4_T5_,comdat
	.globl	_ZN2at6native39vectorized_templated_elementwise_kernelILi4ENS0_13BinaryFunctorIfffZZZNS0_20copysign_kernel_cudaERNS_18TensorIteratorBaseEENKUlvE_clEvENKUlvE0_clEvEUlffE_EESt5arrayIPcLm3EE23TrivialOffsetCalculatorILi2EjESC_ILi1EjENS0_6memory12LoadWithCastILi2EEENSF_13StoreWithCastILi1EEEfJfN3c108BFloat16EEEEviT0_T1_T2_T3_T4_T5_ ; -- Begin function _ZN2at6native39vectorized_templated_elementwise_kernelILi4ENS0_13BinaryFunctorIfffZZZNS0_20copysign_kernel_cudaERNS_18TensorIteratorBaseEENKUlvE_clEvENKUlvE0_clEvEUlffE_EESt5arrayIPcLm3EE23TrivialOffsetCalculatorILi2EjESC_ILi1EjENS0_6memory12LoadWithCastILi2EEENSF_13StoreWithCastILi1EEEfJfN3c108BFloat16EEEEviT0_T1_T2_T3_T4_T5_
	.p2align	8
	.type	_ZN2at6native39vectorized_templated_elementwise_kernelILi4ENS0_13BinaryFunctorIfffZZZNS0_20copysign_kernel_cudaERNS_18TensorIteratorBaseEENKUlvE_clEvENKUlvE0_clEvEUlffE_EESt5arrayIPcLm3EE23TrivialOffsetCalculatorILi2EjESC_ILi1EjENS0_6memory12LoadWithCastILi2EEENSF_13StoreWithCastILi1EEEfJfN3c108BFloat16EEEEviT0_T1_T2_T3_T4_T5_,@function
_ZN2at6native39vectorized_templated_elementwise_kernelILi4ENS0_13BinaryFunctorIfffZZZNS0_20copysign_kernel_cudaERNS_18TensorIteratorBaseEENKUlvE_clEvENKUlvE0_clEvEUlffE_EESt5arrayIPcLm3EE23TrivialOffsetCalculatorILi2EjESC_ILi1EjENS0_6memory12LoadWithCastILi2EEENSF_13StoreWithCastILi1EEEfJfN3c108BFloat16EEEEviT0_T1_T2_T3_T4_T5_: ; @_ZN2at6native39vectorized_templated_elementwise_kernelILi4ENS0_13BinaryFunctorIfffZZZNS0_20copysign_kernel_cudaERNS_18TensorIteratorBaseEENKUlvE_clEvENKUlvE0_clEvEUlffE_EESt5arrayIPcLm3EE23TrivialOffsetCalculatorILi2EjESC_ILi1EjENS0_6memory12LoadWithCastILi2EEENSF_13StoreWithCastILi1EEEfJfN3c108BFloat16EEEEviT0_T1_T2_T3_T4_T5_
; %bb.0:
	s_add_u32 flat_scratch_lo, s6, s9
	s_addc_u32 flat_scratch_hi, s7, 0
	s_add_u32 s0, s0, s9
	s_mov_b32 s12, s8
	s_load_dword s8, s[4:5], 0x38
	s_load_dwordx2 s[6:7], s[4:5], 0x18
	s_load_dword s9, s[4:5], 0x0
	s_load_dwordx4 s[16:19], s[4:5], 0x8
	s_addc_u32 s1, s1, 0
	s_not_b32 s10, s12
	s_waitcnt lgkmcnt(0)
	s_add_i32 s8, s8, s10
	s_lshl_b32 s14, s8, 14
	s_sub_i32 s13, s9, s14
	s_cmpk_gt_i32 s13, 0x3fff
	s_mov_b64 s[8:9], -1
	s_mov_b32 s32, 0
	s_cbranch_scc1 .LBB96_3
; %bb.1:
	s_andn2_b64 vcc, exec, s[8:9]
	s_cbranch_vccz .LBB96_4
.LBB96_2:
	s_endpgm
.LBB96_3:
	s_ashr_i32 s15, s14, 31
	s_lshl_b64 s[8:9], s[14:15], 2
	s_add_u32 s10, s18, s8
	s_addc_u32 s11, s19, s9
	v_lshlrev_b32_e32 v1, 4, v0
	s_lshl_b64 s[14:15], s[14:15], 1
	v_mov_b32_e32 v2, s11
	v_add_co_u32_e32 v32, vcc, s10, v1
	s_add_u32 s14, s6, s14
	v_addc_co_u32_e32 v33, vcc, 0, v2, vcc
	s_addc_u32 s15, s7, s15
	v_lshlrev_b32_e32 v6, 3, v0
	v_mov_b32_e32 v2, s15
	v_add_co_u32_e32 v14, vcc, s14, v6
	v_addc_co_u32_e32 v15, vcc, 0, v2, vcc
	s_movk_i32 s20, 0x1000
	v_add_co_u32_e32 v2, vcc, s20, v14
	v_or_b32_e32 v4, 0x400, v0
	v_addc_co_u32_e32 v3, vcc, 0, v15, vcc
	s_movk_i32 s20, 0x3000
	v_lshlrev_b32_e32 v50, 4, v4
	v_lshlrev_b32_e32 v7, 3, v4
	v_add_co_u32_e32 v4, vcc, s20, v14
	v_addc_co_u32_e32 v5, vcc, 0, v15, vcc
	s_movk_i32 s20, 0x5000
	v_add_co_u32_e32 v10, vcc, s20, v14
	v_addc_co_u32_e32 v11, vcc, 0, v15, vcc
	s_movk_i32 s20, 0x2000
	v_add_co_u32_e32 v12, vcc, s20, v32
	v_or_b32_e32 v18, 0x800, v0
	v_addc_co_u32_e32 v13, vcc, 0, v33, vcc
	s_movk_i32 s21, 0x7000
	v_or_b32_e32 v19, 0xc00, v0
	v_lshlrev_b32_e32 v16, 3, v18
	v_add_co_u32_e32 v14, vcc, s21, v14
	global_load_dwordx2 v[34:35], v6, s[14:15]
	global_load_dwordx2 v[36:37], v[2:3], off
	global_load_dwordx2 v[38:39], v7, s[14:15]
	global_load_dwordx2 v[40:41], v[4:5], off
	v_addc_co_u32_e32 v15, vcc, 0, v15, vcc
	global_load_dwordx4 v[2:5], v1, s[10:11]
	global_load_dwordx4 v[6:9], v[12:13], off
	global_load_dwordx2 v[42:43], v16, s[14:15]
	global_load_dwordx2 v[44:45], v[10:11], off
	v_lshlrev_b32_e32 v16, 3, v19
	global_load_dwordx4 v[10:13], v50, s[10:11]
	global_load_dwordx2 v[46:47], v16, s[14:15]
	global_load_dwordx2 v[48:49], v[14:15], off
	s_movk_i32 s14, 0x6000
	v_add_co_u32_e32 v14, vcc, s14, v32
	v_addc_co_u32_e32 v15, vcc, 0, v33, vcc
	global_load_dwordx4 v[14:17], v[14:15], off
	s_mov_b32 s15, 0xa000
	v_add_co_u32_e32 v30, vcc, s15, v32
	v_lshlrev_b32_e32 v51, 4, v18
	v_addc_co_u32_e32 v31, vcc, 0, v33, vcc
	v_lshlrev_b32_e32 v52, 4, v19
	global_load_dwordx4 v[18:21], v51, s[10:11]
	global_load_dwordx4 v[22:25], v[30:31], off
	global_load_dwordx4 v[26:29], v52, s[10:11]
	s_mov_b32 s10, 0xe000
	v_add_co_u32_e32 v30, vcc, s10, v32
	v_addc_co_u32_e32 v31, vcc, 0, v33, vcc
	global_load_dwordx4 v[30:33], v[30:31], off
	s_brev_b32 s10, -2
	s_add_u32 s8, s16, s8
	s_addc_u32 s9, s17, s9
	s_waitcnt vmcnt(15)
	v_lshlrev_b32_e32 v54, 16, v35
	v_lshlrev_b32_e32 v53, 16, v34
	s_waitcnt vmcnt(13)
	v_lshlrev_b32_e32 v55, 16, v38
	s_waitcnt vmcnt(10)
	v_bfi_b32 v7, s10, v7, v36
	v_bfi_b32 v4, s10, v4, v54
	v_lshlrev_b32_e32 v54, 16, v40
	v_bfi_b32 v3, s10, v3, v34
	v_lshlrev_b32_e32 v34, 16, v36
	v_lshlrev_b32_e32 v36, 16, v41
	v_bfi_b32 v5, s10, v5, v35
	v_bfi_b32 v2, s10, v2, v53
	v_lshlrev_b32_e32 v35, 16, v37
	global_store_dwordx4 v1, v[2:5], s[8:9]
	s_waitcnt vmcnt(5)
	v_bfi_b32 v17, s10, v17, v41
	v_mov_b32_e32 v41, s9
	v_bfi_b32 v14, s10, v14, v54
	v_add_co_u32_e32 v54, vcc, s8, v1
	v_addc_co_u32_e32 v41, vcc, 0, v41, vcc
	v_add_co_u32_e32 v2, vcc, s20, v54
	v_lshlrev_b32_e32 v53, 16, v39
	v_bfi_b32 v9, s10, v9, v37
	v_bfi_b32 v6, s10, v6, v34
	;; [unrolled: 1-line block ×3, first 2 shown]
	v_addc_co_u32_e32 v3, vcc, 0, v41, vcc
	v_bfi_b32 v11, s10, v11, v38
	v_bfi_b32 v13, s10, v13, v39
	;; [unrolled: 1-line block ×4, first 2 shown]
	global_store_dwordx4 v[2:3], v[6:9], off
	global_store_dwordx4 v50, v[10:13], s[8:9]
	v_add_co_u32_e32 v2, vcc, s14, v54
	v_lshlrev_b32_e32 v37, 16, v42
	v_lshlrev_b32_e32 v34, 16, v43
	v_bfi_b32 v15, s10, v15, v40
	v_bfi_b32 v16, s10, v16, v36
	v_addc_co_u32_e32 v3, vcc, 0, v41, vcc
	v_lshlrev_b32_e32 v35, 16, v44
	v_lshlrev_b32_e32 v38, 16, v45
	s_waitcnt vmcnt(6)
	v_bfi_b32 v19, s10, v19, v42
	v_bfi_b32 v18, s10, v18, v37
	;; [unrolled: 1-line block ×4, first 2 shown]
	global_store_dwordx4 v[2:3], v[14:17], off
	global_store_dwordx4 v51, v[18:21], s[8:9]
	v_add_co_u32_e32 v2, vcc, 0xa000, v54
	v_lshlrev_b32_e32 v39, 16, v46
	v_lshlrev_b32_e32 v55, 16, v47
	s_waitcnt vmcnt(7)
	v_bfi_b32 v23, s10, v23, v44
	v_bfi_b32 v22, s10, v22, v35
	;; [unrolled: 1-line block ×4, first 2 shown]
	v_addc_co_u32_e32 v3, vcc, 0, v41, vcc
	v_lshlrev_b32_e32 v53, 16, v48
	v_lshlrev_b32_e32 v40, 16, v49
	s_waitcnt vmcnt(6)
	v_bfi_b32 v27, s10, v27, v46
	v_bfi_b32 v26, s10, v26, v39
	v_bfi_b32 v29, s10, v29, v47
	v_bfi_b32 v28, s10, v28, v55
	global_store_dwordx4 v[2:3], v[22:25], off
	global_store_dwordx4 v52, v[26:29], s[8:9]
	v_add_co_u32_e32 v2, vcc, 0xe000, v54
	s_waitcnt vmcnt(7)
	v_bfi_b32 v31, s10, v31, v48
	v_bfi_b32 v30, s10, v30, v53
	;; [unrolled: 1-line block ×4, first 2 shown]
	v_addc_co_u32_e32 v3, vcc, 0, v41, vcc
	global_store_dwordx4 v[2:3], v[30:33], off
	s_cbranch_execnz .LBB96_2
.LBB96_4:
	s_load_dword s10, s[4:5], 0x24
	s_load_dwordx4 s[20:23], s[4:5], 0x28
	s_add_u32 s8, s4, 56
	s_addc_u32 s9, s5, 0
	v_mov_b32_e32 v31, v0
	s_waitcnt lgkmcnt(0)
	v_lshrrev_b16_e64 v8, 8, s10
	v_mov_b32_e32 v0, s16
	v_mov_b32_e32 v1, s17
	;; [unrolled: 1-line block ×12, first 2 shown]
	s_getpc_b64 s[4:5]
	s_add_u32 s4, s4, _ZN2at6native25elementwise_kernel_helperILb1ENS0_13BinaryFunctorIfffZZZNS0_20copysign_kernel_cudaERNS_18TensorIteratorBaseEENKUlvE_clEvENKUlvE0_clEvEUlffE_EENS0_6memory8policies11unroll_baseILi512ESt5arrayIPcLm3EE23TrivialOffsetCalculatorILi2EjESF_ILi1EjENS9_12LoadWithCastILi2EEENS9_13StoreWithCastILi1EEELi32ELi1EEEEEvT0_T1_@rel32@lo+4
	s_addc_u32 s5, s5, _ZN2at6native25elementwise_kernel_helperILb1ENS0_13BinaryFunctorIfffZZZNS0_20copysign_kernel_cudaERNS_18TensorIteratorBaseEENKUlvE_clEvENKUlvE0_clEvEUlffE_EENS0_6memory8policies11unroll_baseILi512ESt5arrayIPcLm3EE23TrivialOffsetCalculatorILi2EjESF_ILi1EjENS9_12LoadWithCastILi2EEENS9_13StoreWithCastILi1EEELi32ELi1EEEEEvT0_T1_@rel32@hi+12
	s_swappc_b64 s[30:31], s[4:5]
	s_endpgm
	.section	.rodata,"a",@progbits
	.p2align	6, 0x0
	.amdhsa_kernel _ZN2at6native39vectorized_templated_elementwise_kernelILi4ENS0_13BinaryFunctorIfffZZZNS0_20copysign_kernel_cudaERNS_18TensorIteratorBaseEENKUlvE_clEvENKUlvE0_clEvEUlffE_EESt5arrayIPcLm3EE23TrivialOffsetCalculatorILi2EjESC_ILi1EjENS0_6memory12LoadWithCastILi2EEENSF_13StoreWithCastILi1EEEfJfN3c108BFloat16EEEEviT0_T1_T2_T3_T4_T5_
		.amdhsa_group_segment_fixed_size 0
		.amdhsa_private_segment_fixed_size 288
		.amdhsa_kernarg_size 312
		.amdhsa_user_sgpr_count 8
		.amdhsa_user_sgpr_private_segment_buffer 1
		.amdhsa_user_sgpr_dispatch_ptr 0
		.amdhsa_user_sgpr_queue_ptr 0
		.amdhsa_user_sgpr_kernarg_segment_ptr 1
		.amdhsa_user_sgpr_dispatch_id 0
		.amdhsa_user_sgpr_flat_scratch_init 1
		.amdhsa_user_sgpr_kernarg_preload_length 0
		.amdhsa_user_sgpr_kernarg_preload_offset 0
		.amdhsa_user_sgpr_private_segment_size 0
		.amdhsa_uses_dynamic_stack 0
		.amdhsa_system_sgpr_private_segment_wavefront_offset 1
		.amdhsa_system_sgpr_workgroup_id_x 1
		.amdhsa_system_sgpr_workgroup_id_y 0
		.amdhsa_system_sgpr_workgroup_id_z 0
		.amdhsa_system_sgpr_workgroup_info 0
		.amdhsa_system_vgpr_workitem_id 0
		.amdhsa_next_free_vgpr 120
		.amdhsa_next_free_sgpr 98
		.amdhsa_accum_offset 120
		.amdhsa_reserve_vcc 1
		.amdhsa_reserve_flat_scratch 1
		.amdhsa_float_round_mode_32 0
		.amdhsa_float_round_mode_16_64 0
		.amdhsa_float_denorm_mode_32 3
		.amdhsa_float_denorm_mode_16_64 3
		.amdhsa_dx10_clamp 1
		.amdhsa_ieee_mode 1
		.amdhsa_fp16_overflow 0
		.amdhsa_tg_split 0
		.amdhsa_exception_fp_ieee_invalid_op 0
		.amdhsa_exception_fp_denorm_src 0
		.amdhsa_exception_fp_ieee_div_zero 0
		.amdhsa_exception_fp_ieee_overflow 0
		.amdhsa_exception_fp_ieee_underflow 0
		.amdhsa_exception_fp_ieee_inexact 0
		.amdhsa_exception_int_div_zero 0
	.end_amdhsa_kernel
	.section	.text._ZN2at6native39vectorized_templated_elementwise_kernelILi4ENS0_13BinaryFunctorIfffZZZNS0_20copysign_kernel_cudaERNS_18TensorIteratorBaseEENKUlvE_clEvENKUlvE0_clEvEUlffE_EESt5arrayIPcLm3EE23TrivialOffsetCalculatorILi2EjESC_ILi1EjENS0_6memory12LoadWithCastILi2EEENSF_13StoreWithCastILi1EEEfJfN3c108BFloat16EEEEviT0_T1_T2_T3_T4_T5_,"axG",@progbits,_ZN2at6native39vectorized_templated_elementwise_kernelILi4ENS0_13BinaryFunctorIfffZZZNS0_20copysign_kernel_cudaERNS_18TensorIteratorBaseEENKUlvE_clEvENKUlvE0_clEvEUlffE_EESt5arrayIPcLm3EE23TrivialOffsetCalculatorILi2EjESC_ILi1EjENS0_6memory12LoadWithCastILi2EEENSF_13StoreWithCastILi1EEEfJfN3c108BFloat16EEEEviT0_T1_T2_T3_T4_T5_,comdat
.Lfunc_end96:
	.size	_ZN2at6native39vectorized_templated_elementwise_kernelILi4ENS0_13BinaryFunctorIfffZZZNS0_20copysign_kernel_cudaERNS_18TensorIteratorBaseEENKUlvE_clEvENKUlvE0_clEvEUlffE_EESt5arrayIPcLm3EE23TrivialOffsetCalculatorILi2EjESC_ILi1EjENS0_6memory12LoadWithCastILi2EEENSF_13StoreWithCastILi1EEEfJfN3c108BFloat16EEEEviT0_T1_T2_T3_T4_T5_, .Lfunc_end96-_ZN2at6native39vectorized_templated_elementwise_kernelILi4ENS0_13BinaryFunctorIfffZZZNS0_20copysign_kernel_cudaERNS_18TensorIteratorBaseEENKUlvE_clEvENKUlvE0_clEvEUlffE_EESt5arrayIPcLm3EE23TrivialOffsetCalculatorILi2EjESC_ILi1EjENS0_6memory12LoadWithCastILi2EEENSF_13StoreWithCastILi1EEEfJfN3c108BFloat16EEEEviT0_T1_T2_T3_T4_T5_
                                        ; -- End function
	.section	.AMDGPU.csdata,"",@progbits
; Kernel info:
; codeLenInByte = 1040
; NumSgprs: 104
; NumVgprs: 120
; NumAgprs: 0
; TotalNumVgprs: 120
; ScratchSize: 288
; MemoryBound: 0
; FloatMode: 240
; IeeeMode: 1
; LDSByteSize: 0 bytes/workgroup (compile time only)
; SGPRBlocks: 12
; VGPRBlocks: 14
; NumSGPRsForWavesPerEU: 104
; NumVGPRsForWavesPerEU: 120
; AccumOffset: 120
; Occupancy: 4
; WaveLimiterHint : 0
; COMPUTE_PGM_RSRC2:SCRATCH_EN: 1
; COMPUTE_PGM_RSRC2:USER_SGPR: 8
; COMPUTE_PGM_RSRC2:TRAP_HANDLER: 0
; COMPUTE_PGM_RSRC2:TGID_X_EN: 1
; COMPUTE_PGM_RSRC2:TGID_Y_EN: 0
; COMPUTE_PGM_RSRC2:TGID_Z_EN: 0
; COMPUTE_PGM_RSRC2:TIDIG_COMP_CNT: 0
; COMPUTE_PGM_RSRC3_GFX90A:ACCUM_OFFSET: 29
; COMPUTE_PGM_RSRC3_GFX90A:TG_SPLIT: 0
	.section	.text._ZN2at6native39vectorized_templated_elementwise_kernelILi2ENS0_13BinaryFunctorIfffZZZNS0_20copysign_kernel_cudaERNS_18TensorIteratorBaseEENKUlvE_clEvENKUlvE0_clEvEUlffE_EESt5arrayIPcLm3EE23TrivialOffsetCalculatorILi2EjESC_ILi1EjENS0_6memory12LoadWithCastILi2EEENSF_13StoreWithCastILi1EEEfJfN3c108BFloat16EEEEviT0_T1_T2_T3_T4_T5_,"axG",@progbits,_ZN2at6native39vectorized_templated_elementwise_kernelILi2ENS0_13BinaryFunctorIfffZZZNS0_20copysign_kernel_cudaERNS_18TensorIteratorBaseEENKUlvE_clEvENKUlvE0_clEvEUlffE_EESt5arrayIPcLm3EE23TrivialOffsetCalculatorILi2EjESC_ILi1EjENS0_6memory12LoadWithCastILi2EEENSF_13StoreWithCastILi1EEEfJfN3c108BFloat16EEEEviT0_T1_T2_T3_T4_T5_,comdat
	.globl	_ZN2at6native39vectorized_templated_elementwise_kernelILi2ENS0_13BinaryFunctorIfffZZZNS0_20copysign_kernel_cudaERNS_18TensorIteratorBaseEENKUlvE_clEvENKUlvE0_clEvEUlffE_EESt5arrayIPcLm3EE23TrivialOffsetCalculatorILi2EjESC_ILi1EjENS0_6memory12LoadWithCastILi2EEENSF_13StoreWithCastILi1EEEfJfN3c108BFloat16EEEEviT0_T1_T2_T3_T4_T5_ ; -- Begin function _ZN2at6native39vectorized_templated_elementwise_kernelILi2ENS0_13BinaryFunctorIfffZZZNS0_20copysign_kernel_cudaERNS_18TensorIteratorBaseEENKUlvE_clEvENKUlvE0_clEvEUlffE_EESt5arrayIPcLm3EE23TrivialOffsetCalculatorILi2EjESC_ILi1EjENS0_6memory12LoadWithCastILi2EEENSF_13StoreWithCastILi1EEEfJfN3c108BFloat16EEEEviT0_T1_T2_T3_T4_T5_
	.p2align	8
	.type	_ZN2at6native39vectorized_templated_elementwise_kernelILi2ENS0_13BinaryFunctorIfffZZZNS0_20copysign_kernel_cudaERNS_18TensorIteratorBaseEENKUlvE_clEvENKUlvE0_clEvEUlffE_EESt5arrayIPcLm3EE23TrivialOffsetCalculatorILi2EjESC_ILi1EjENS0_6memory12LoadWithCastILi2EEENSF_13StoreWithCastILi1EEEfJfN3c108BFloat16EEEEviT0_T1_T2_T3_T4_T5_,@function
_ZN2at6native39vectorized_templated_elementwise_kernelILi2ENS0_13BinaryFunctorIfffZZZNS0_20copysign_kernel_cudaERNS_18TensorIteratorBaseEENKUlvE_clEvENKUlvE0_clEvEUlffE_EESt5arrayIPcLm3EE23TrivialOffsetCalculatorILi2EjESC_ILi1EjENS0_6memory12LoadWithCastILi2EEENSF_13StoreWithCastILi1EEEfJfN3c108BFloat16EEEEviT0_T1_T2_T3_T4_T5_: ; @_ZN2at6native39vectorized_templated_elementwise_kernelILi2ENS0_13BinaryFunctorIfffZZZNS0_20copysign_kernel_cudaERNS_18TensorIteratorBaseEENKUlvE_clEvENKUlvE0_clEvEUlffE_EESt5arrayIPcLm3EE23TrivialOffsetCalculatorILi2EjESC_ILi1EjENS0_6memory12LoadWithCastILi2EEENSF_13StoreWithCastILi1EEEfJfN3c108BFloat16EEEEviT0_T1_T2_T3_T4_T5_
; %bb.0:
	s_add_u32 flat_scratch_lo, s6, s9
	s_addc_u32 flat_scratch_hi, s7, 0
	s_add_u32 s0, s0, s9
	s_mov_b32 s12, s8
	s_load_dword s8, s[4:5], 0x38
	s_load_dwordx2 s[6:7], s[4:5], 0x18
	s_load_dword s9, s[4:5], 0x0
	s_load_dwordx4 s[16:19], s[4:5], 0x8
	s_addc_u32 s1, s1, 0
	s_not_b32 s10, s12
	s_waitcnt lgkmcnt(0)
	s_add_i32 s8, s8, s10
	s_lshl_b32 s14, s8, 14
	s_sub_i32 s13, s9, s14
	s_cmpk_gt_i32 s13, 0x3fff
	s_mov_b64 s[8:9], -1
	s_mov_b32 s32, 0
	s_cbranch_scc1 .LBB97_3
; %bb.1:
	s_andn2_b64 vcc, exec, s[8:9]
	s_cbranch_vccz .LBB97_4
.LBB97_2:
	s_endpgm
.LBB97_3:
	s_ashr_i32 s15, s14, 31
	s_lshl_b64 s[8:9], s[14:15], 2
	s_add_u32 s10, s18, s8
	s_addc_u32 s11, s19, s9
	v_lshlrev_b32_e32 v1, 3, v0
	s_lshl_b64 s[14:15], s[14:15], 1
	v_mov_b32_e32 v2, s11
	v_add_co_u32_e32 v36, vcc, s10, v1
	s_add_u32 s14, s6, s14
	v_addc_co_u32_e32 v37, vcc, 0, v2, vcc
	s_addc_u32 s15, s7, s15
	v_lshlrev_b32_e32 v12, 2, v0
	v_mov_b32_e32 v3, s15
	v_add_co_u32_e32 v13, vcc, s14, v12
	v_or_b32_e32 v2, 0x400, v0
	s_movk_i32 s20, 0x1000
	v_addc_co_u32_e32 v14, vcc, 0, v3, vcc
	v_lshlrev_b32_e32 v38, 3, v2
	v_lshlrev_b32_e32 v15, 2, v2
	v_add_co_u32_e32 v2, vcc, s20, v13
	v_or_b32_e32 v4, 0x800, v0
	v_addc_co_u32_e32 v3, vcc, 0, v14, vcc
	s_movk_i32 s21, 0x2000
	v_lshlrev_b32_e32 v39, 3, v4
	v_lshlrev_b32_e32 v16, 2, v4
	v_add_co_u32_e32 v4, vcc, s21, v13
	v_or_b32_e32 v6, 0xc00, v0
	v_addc_co_u32_e32 v5, vcc, 0, v14, vcc
	s_movk_i32 s21, 0x3000
	v_lshlrev_b32_e32 v40, 3, v6
	v_lshlrev_b32_e32 v17, 2, v6
	v_add_co_u32_e32 v6, vcc, s21, v13
	v_addc_co_u32_e32 v7, vcc, 0, v14, vcc
	s_movk_i32 s22, 0x4000
	global_load_dword v45, v12, s[14:15]
	global_load_dword v46, v12, s[14:15] offset:2048
	global_load_dword v47, v15, s[14:15]
	global_load_dword v48, v[2:3], off offset:2048
	global_load_dword v49, v16, s[14:15]
	global_load_dword v50, v[4:5], off offset:2048
	;; [unrolled: 2-line block ×3, first 2 shown]
	v_add_co_u32_e32 v2, vcc, s22, v13
	v_addc_co_u32_e32 v3, vcc, 0, v14, vcc
	s_movk_i32 s22, 0x5000
	v_add_co_u32_e32 v4, vcc, s22, v13
	v_addc_co_u32_e32 v5, vcc, 0, v14, vcc
	s_movk_i32 s23, 0x6000
	v_add_co_u32_e32 v6, vcc, s23, v13
	v_or_b32_e32 v8, 0x1000, v0
	v_addc_co_u32_e32 v7, vcc, 0, v14, vcc
	s_movk_i32 s23, 0x7000
	v_lshlrev_b32_e32 v41, 3, v8
	v_or_b32_e32 v9, 0x1400, v0
	v_lshlrev_b32_e32 v18, 2, v8
	v_add_co_u32_e32 v8, vcc, s23, v13
	v_lshlrev_b32_e32 v42, 3, v9
	v_lshlrev_b32_e32 v19, 2, v9
	v_addc_co_u32_e32 v9, vcc, 0, v14, vcc
	v_add_co_u32_e32 v12, vcc, s20, v36
	v_or_b32_e32 v10, 0x1800, v0
	v_or_b32_e32 v11, 0x1c00, v0
	v_addc_co_u32_e32 v13, vcc, 0, v37, vcc
	v_lshlrev_b32_e32 v43, 3, v10
	v_lshlrev_b32_e32 v44, 3, v11
	;; [unrolled: 1-line block ×4, first 2 shown]
	global_load_dwordx2 v[10:11], v1, s[10:11]
	global_load_dwordx2 v[14:15], v[12:13], off
	global_load_dword v53, v18, s[14:15]
	global_load_dword v54, v[2:3], off offset:2048
	global_load_dword v55, v19, s[14:15]
	global_load_dword v56, v[4:5], off offset:2048
	;; [unrolled: 2-line block ×4, first 2 shown]
	global_load_dwordx2 v[16:17], v38, s[10:11]
	v_add_co_u32_e32 v2, vcc, s21, v36
	v_addc_co_u32_e32 v3, vcc, 0, v37, vcc
	global_load_dwordx2 v[4:5], v[2:3], off
	global_load_dwordx2 v[6:7], v39, s[10:11]
	v_add_co_u32_e32 v2, vcc, s22, v36
	v_addc_co_u32_e32 v3, vcc, 0, v37, vcc
	global_load_dwordx2 v[8:9], v[2:3], off
	global_load_dwordx2 v[12:13], v40, s[10:11]
	v_add_co_u32_e32 v2, vcc, s23, v36
	v_addc_co_u32_e32 v3, vcc, 0, v37, vcc
	global_load_dwordx2 v[2:3], v[2:3], off
	s_mov_b32 s14, 0x9000
	v_add_co_u32_e32 v18, vcc, s14, v36
	v_addc_co_u32_e32 v19, vcc, 0, v37, vcc
	s_mov_b32 s15, 0xb000
	global_load_dwordx2 v[20:21], v[18:19], off
	global_load_dwordx2 v[22:23], v41, s[10:11]
	global_load_dwordx2 v[24:25], v42, s[10:11]
	v_add_co_u32_e32 v18, vcc, s15, v36
	v_addc_co_u32_e32 v19, vcc, 0, v37, vcc
	s_mov_b32 s24, 0xd000
	v_add_co_u32_e32 v26, vcc, s24, v36
	v_addc_co_u32_e32 v27, vcc, 0, v37, vcc
	global_load_dwordx2 v[28:29], v[18:19], off
	global_load_dwordx2 v[30:31], v[26:27], off
	global_load_dwordx2 v[32:33], v43, s[10:11]
	global_load_dwordx2 v[34:35], v44, s[10:11]
	s_mov_b32 s10, 0xf000
	v_add_co_u32_e32 v18, vcc, s10, v36
	v_addc_co_u32_e32 v19, vcc, 0, v37, vcc
	global_load_dwordx2 v[18:19], v[18:19], off
	s_waitcnt vmcnt(31)
	v_lshlrev_b32_e32 v26, 16, v45
	s_brev_b32 s10, -2
	s_add_u32 s8, s16, s8
	s_addc_u32 s9, s17, s9
	s_waitcnt vmcnt(30)
	v_lshlrev_b32_e32 v27, 16, v46
	s_waitcnt vmcnt(28)
	v_lshlrev_b32_e32 v36, 16, v48
	;; [unrolled: 2-line block ×3, first 2 shown]
	s_waitcnt vmcnt(22)
	v_bfi_b32 v15, s10, v15, v46
	v_bfi_b32 v14, s10, v14, v27
	v_lshlrev_b32_e32 v27, 16, v49
	s_waitcnt vmcnt(20)
	v_lshlrev_b32_e32 v46, 16, v54
	v_bfi_b32 v10, s10, v10, v26
	v_lshlrev_b32_e32 v26, 16, v47
	v_bfi_b32 v11, s10, v11, v45
	s_waitcnt vmcnt(13)
	v_bfi_b32 v16, s10, v16, v26
	v_lshlrev_b32_e32 v26, 16, v51
	v_lshlrev_b32_e32 v45, 16, v52
	global_store_dwordx2 v1, v[10:11], s[8:9]
	v_bfi_b32 v17, s10, v17, v47
	s_waitcnt vmcnt(13)
	v_bfi_b32 v5, s10, v5, v48
	v_bfi_b32 v4, s10, v4, v36
	s_waitcnt vmcnt(12)
	v_bfi_b32 v7, s10, v7, v49
	s_waitcnt vmcnt(10)
	v_bfi_b32 v12, s10, v12, v26
	v_mov_b32_e32 v26, s9
	v_bfi_b32 v13, s10, v13, v51
	v_bfi_b32 v6, s10, v6, v27
	;; [unrolled: 1-line block ×3, first 2 shown]
	s_waitcnt vmcnt(9)
	v_bfi_b32 v2, s10, v2, v45
	v_add_co_u32_e32 v45, vcc, s8, v1
	v_addc_co_u32_e32 v51, vcc, 0, v26, vcc
	v_add_co_u32_e32 v10, vcc, s20, v45
	v_addc_co_u32_e32 v11, vcc, 0, v51, vcc
	global_store_dwordx2 v[10:11], v[14:15], off
	global_store_dwordx2 v38, v[16:17], s[8:9]
	v_add_co_u32_e32 v10, vcc, s21, v45
	v_addc_co_u32_e32 v11, vcc, 0, v51, vcc
	global_store_dwordx2 v[10:11], v[4:5], off
	global_store_dwordx2 v39, v[6:7], s[8:9]
	v_add_co_u32_e32 v4, vcc, s22, v45
	v_bfi_b32 v8, s10, v8, v37
	v_addc_co_u32_e32 v5, vcc, 0, v51, vcc
	global_store_dwordx2 v[4:5], v[8:9], off
	global_store_dwordx2 v40, v[12:13], s[8:9]
	v_add_co_u32_e32 v4, vcc, s23, v45
	v_lshlrev_b32_e32 v36, 16, v53
	v_bfi_b32 v3, s10, v3, v52
	v_addc_co_u32_e32 v5, vcc, 0, v51, vcc
	s_waitcnt vmcnt(13)
	v_bfi_b32 v23, s10, v23, v53
	v_bfi_b32 v22, s10, v22, v36
	global_store_dwordx2 v[4:5], v[2:3], off
	global_store_dwordx2 v41, v[22:23], s[8:9]
	v_add_co_u32_e32 v2, vcc, s14, v45
	v_lshlrev_b32_e32 v27, 16, v55
	v_bfi_b32 v21, s10, v21, v54
	v_bfi_b32 v20, s10, v20, v46
	v_addc_co_u32_e32 v3, vcc, 0, v51, vcc
	v_lshlrev_b32_e32 v47, 16, v56
	s_waitcnt vmcnt(14)
	v_bfi_b32 v25, s10, v25, v55
	v_bfi_b32 v24, s10, v24, v27
	global_store_dwordx2 v[2:3], v[20:21], off
	global_store_dwordx2 v42, v[24:25], s[8:9]
	v_add_co_u32_e32 v2, vcc, s15, v45
	v_lshlrev_b32_e32 v37, 16, v57
	s_waitcnt vmcnt(15)
	v_bfi_b32 v27, s10, v29, v56
	v_bfi_b32 v26, s10, v28, v47
	v_addc_co_u32_e32 v3, vcc, 0, v51, vcc
	v_lshlrev_b32_e32 v48, 16, v58
	s_waitcnt vmcnt(13)
	v_bfi_b32 v29, s10, v33, v57
	v_bfi_b32 v28, s10, v32, v37
	global_store_dwordx2 v[2:3], v[26:27], off
	global_store_dwordx2 v43, v[28:29], s[8:9]
	v_add_co_u32_e32 v2, vcc, 0xd000, v45
	v_lshlrev_b32_e32 v49, 16, v59
	v_bfi_b32 v31, s10, v31, v58
	v_bfi_b32 v30, s10, v30, v48
	v_addc_co_u32_e32 v3, vcc, 0, v51, vcc
	v_lshlrev_b32_e32 v50, 16, v60
	s_waitcnt vmcnt(14)
	v_bfi_b32 v33, s10, v35, v59
	v_bfi_b32 v32, s10, v34, v49
	global_store_dwordx2 v[2:3], v[30:31], off
	global_store_dwordx2 v44, v[32:33], s[8:9]
	v_add_co_u32_e32 v2, vcc, 0xf000, v45
	s_waitcnt vmcnt(15)
	v_bfi_b32 v19, s10, v19, v60
	v_bfi_b32 v18, s10, v18, v50
	v_addc_co_u32_e32 v3, vcc, 0, v51, vcc
	global_store_dwordx2 v[2:3], v[18:19], off
	s_cbranch_execnz .LBB97_2
.LBB97_4:
	s_load_dword s10, s[4:5], 0x24
	s_load_dwordx4 s[20:23], s[4:5], 0x28
	s_add_u32 s8, s4, 56
	s_addc_u32 s9, s5, 0
	v_mov_b32_e32 v31, v0
	s_waitcnt lgkmcnt(0)
	v_lshrrev_b16_e64 v8, 8, s10
	v_mov_b32_e32 v0, s16
	v_mov_b32_e32 v1, s17
	;; [unrolled: 1-line block ×12, first 2 shown]
	s_getpc_b64 s[4:5]
	s_add_u32 s4, s4, _ZN2at6native25elementwise_kernel_helperILb1ENS0_13BinaryFunctorIfffZZZNS0_20copysign_kernel_cudaERNS_18TensorIteratorBaseEENKUlvE_clEvENKUlvE0_clEvEUlffE_EENS0_6memory8policies11unroll_baseILi512ESt5arrayIPcLm3EE23TrivialOffsetCalculatorILi2EjESF_ILi1EjENS9_12LoadWithCastILi2EEENS9_13StoreWithCastILi1EEELi32ELi1EEEEEvT0_T1_@rel32@lo+4
	s_addc_u32 s5, s5, _ZN2at6native25elementwise_kernel_helperILb1ENS0_13BinaryFunctorIfffZZZNS0_20copysign_kernel_cudaERNS_18TensorIteratorBaseEENKUlvE_clEvENKUlvE0_clEvEUlffE_EENS0_6memory8policies11unroll_baseILi512ESt5arrayIPcLm3EE23TrivialOffsetCalculatorILi2EjESF_ILi1EjENS9_12LoadWithCastILi2EEENS9_13StoreWithCastILi1EEELi32ELi1EEEEEvT0_T1_@rel32@hi+12
	s_swappc_b64 s[30:31], s[4:5]
	s_endpgm
	.section	.rodata,"a",@progbits
	.p2align	6, 0x0
	.amdhsa_kernel _ZN2at6native39vectorized_templated_elementwise_kernelILi2ENS0_13BinaryFunctorIfffZZZNS0_20copysign_kernel_cudaERNS_18TensorIteratorBaseEENKUlvE_clEvENKUlvE0_clEvEUlffE_EESt5arrayIPcLm3EE23TrivialOffsetCalculatorILi2EjESC_ILi1EjENS0_6memory12LoadWithCastILi2EEENSF_13StoreWithCastILi1EEEfJfN3c108BFloat16EEEEviT0_T1_T2_T3_T4_T5_
		.amdhsa_group_segment_fixed_size 0
		.amdhsa_private_segment_fixed_size 288
		.amdhsa_kernarg_size 312
		.amdhsa_user_sgpr_count 8
		.amdhsa_user_sgpr_private_segment_buffer 1
		.amdhsa_user_sgpr_dispatch_ptr 0
		.amdhsa_user_sgpr_queue_ptr 0
		.amdhsa_user_sgpr_kernarg_segment_ptr 1
		.amdhsa_user_sgpr_dispatch_id 0
		.amdhsa_user_sgpr_flat_scratch_init 1
		.amdhsa_user_sgpr_kernarg_preload_length 0
		.amdhsa_user_sgpr_kernarg_preload_offset 0
		.amdhsa_user_sgpr_private_segment_size 0
		.amdhsa_uses_dynamic_stack 0
		.amdhsa_system_sgpr_private_segment_wavefront_offset 1
		.amdhsa_system_sgpr_workgroup_id_x 1
		.amdhsa_system_sgpr_workgroup_id_y 0
		.amdhsa_system_sgpr_workgroup_id_z 0
		.amdhsa_system_sgpr_workgroup_info 0
		.amdhsa_system_vgpr_workitem_id 0
		.amdhsa_next_free_vgpr 120
		.amdhsa_next_free_sgpr 98
		.amdhsa_accum_offset 120
		.amdhsa_reserve_vcc 1
		.amdhsa_reserve_flat_scratch 1
		.amdhsa_float_round_mode_32 0
		.amdhsa_float_round_mode_16_64 0
		.amdhsa_float_denorm_mode_32 3
		.amdhsa_float_denorm_mode_16_64 3
		.amdhsa_dx10_clamp 1
		.amdhsa_ieee_mode 1
		.amdhsa_fp16_overflow 0
		.amdhsa_tg_split 0
		.amdhsa_exception_fp_ieee_invalid_op 0
		.amdhsa_exception_fp_denorm_src 0
		.amdhsa_exception_fp_ieee_div_zero 0
		.amdhsa_exception_fp_ieee_overflow 0
		.amdhsa_exception_fp_ieee_underflow 0
		.amdhsa_exception_fp_ieee_inexact 0
		.amdhsa_exception_int_div_zero 0
	.end_amdhsa_kernel
	.section	.text._ZN2at6native39vectorized_templated_elementwise_kernelILi2ENS0_13BinaryFunctorIfffZZZNS0_20copysign_kernel_cudaERNS_18TensorIteratorBaseEENKUlvE_clEvENKUlvE0_clEvEUlffE_EESt5arrayIPcLm3EE23TrivialOffsetCalculatorILi2EjESC_ILi1EjENS0_6memory12LoadWithCastILi2EEENSF_13StoreWithCastILi1EEEfJfN3c108BFloat16EEEEviT0_T1_T2_T3_T4_T5_,"axG",@progbits,_ZN2at6native39vectorized_templated_elementwise_kernelILi2ENS0_13BinaryFunctorIfffZZZNS0_20copysign_kernel_cudaERNS_18TensorIteratorBaseEENKUlvE_clEvENKUlvE0_clEvEUlffE_EESt5arrayIPcLm3EE23TrivialOffsetCalculatorILi2EjESC_ILi1EjENS0_6memory12LoadWithCastILi2EEENSF_13StoreWithCastILi1EEEfJfN3c108BFloat16EEEEviT0_T1_T2_T3_T4_T5_,comdat
.Lfunc_end97:
	.size	_ZN2at6native39vectorized_templated_elementwise_kernelILi2ENS0_13BinaryFunctorIfffZZZNS0_20copysign_kernel_cudaERNS_18TensorIteratorBaseEENKUlvE_clEvENKUlvE0_clEvEUlffE_EESt5arrayIPcLm3EE23TrivialOffsetCalculatorILi2EjESC_ILi1EjENS0_6memory12LoadWithCastILi2EEENSF_13StoreWithCastILi1EEEfJfN3c108BFloat16EEEEviT0_T1_T2_T3_T4_T5_, .Lfunc_end97-_ZN2at6native39vectorized_templated_elementwise_kernelILi2ENS0_13BinaryFunctorIfffZZZNS0_20copysign_kernel_cudaERNS_18TensorIteratorBaseEENKUlvE_clEvENKUlvE0_clEvEUlffE_EESt5arrayIPcLm3EE23TrivialOffsetCalculatorILi2EjESC_ILi1EjENS0_6memory12LoadWithCastILi2EEENSF_13StoreWithCastILi1EEEfJfN3c108BFloat16EEEEviT0_T1_T2_T3_T4_T5_
                                        ; -- End function
	.section	.AMDGPU.csdata,"",@progbits
; Kernel info:
; codeLenInByte = 1440
; NumSgprs: 104
; NumVgprs: 120
; NumAgprs: 0
; TotalNumVgprs: 120
; ScratchSize: 288
; MemoryBound: 0
; FloatMode: 240
; IeeeMode: 1
; LDSByteSize: 0 bytes/workgroup (compile time only)
; SGPRBlocks: 12
; VGPRBlocks: 14
; NumSGPRsForWavesPerEU: 104
; NumVGPRsForWavesPerEU: 120
; AccumOffset: 120
; Occupancy: 4
; WaveLimiterHint : 0
; COMPUTE_PGM_RSRC2:SCRATCH_EN: 1
; COMPUTE_PGM_RSRC2:USER_SGPR: 8
; COMPUTE_PGM_RSRC2:TRAP_HANDLER: 0
; COMPUTE_PGM_RSRC2:TGID_X_EN: 1
; COMPUTE_PGM_RSRC2:TGID_Y_EN: 0
; COMPUTE_PGM_RSRC2:TGID_Z_EN: 0
; COMPUTE_PGM_RSRC2:TIDIG_COMP_CNT: 0
; COMPUTE_PGM_RSRC3_GFX90A:ACCUM_OFFSET: 29
; COMPUTE_PGM_RSRC3_GFX90A:TG_SPLIT: 0
	.section	.text._ZN2at6native39vectorized_templated_elementwise_kernelILi8ENS0_13BinaryFunctorIfffZZZNS0_20copysign_kernel_cudaERNS_18TensorIteratorBaseEENKUlvE_clEvENKUlvE0_clEvEUlffE_EESt5arrayIPcLm3EE23TrivialOffsetCalculatorILi2EjESC_ILi1EjENS0_6memory12LoadWithCastILi2EEENSF_13StoreWithCastILi1EEEfJN3c108BFloat16EfEEEviT0_T1_T2_T3_T4_T5_,"axG",@progbits,_ZN2at6native39vectorized_templated_elementwise_kernelILi8ENS0_13BinaryFunctorIfffZZZNS0_20copysign_kernel_cudaERNS_18TensorIteratorBaseEENKUlvE_clEvENKUlvE0_clEvEUlffE_EESt5arrayIPcLm3EE23TrivialOffsetCalculatorILi2EjESC_ILi1EjENS0_6memory12LoadWithCastILi2EEENSF_13StoreWithCastILi1EEEfJN3c108BFloat16EfEEEviT0_T1_T2_T3_T4_T5_,comdat
	.globl	_ZN2at6native39vectorized_templated_elementwise_kernelILi8ENS0_13BinaryFunctorIfffZZZNS0_20copysign_kernel_cudaERNS_18TensorIteratorBaseEENKUlvE_clEvENKUlvE0_clEvEUlffE_EESt5arrayIPcLm3EE23TrivialOffsetCalculatorILi2EjESC_ILi1EjENS0_6memory12LoadWithCastILi2EEENSF_13StoreWithCastILi1EEEfJN3c108BFloat16EfEEEviT0_T1_T2_T3_T4_T5_ ; -- Begin function _ZN2at6native39vectorized_templated_elementwise_kernelILi8ENS0_13BinaryFunctorIfffZZZNS0_20copysign_kernel_cudaERNS_18TensorIteratorBaseEENKUlvE_clEvENKUlvE0_clEvEUlffE_EESt5arrayIPcLm3EE23TrivialOffsetCalculatorILi2EjESC_ILi1EjENS0_6memory12LoadWithCastILi2EEENSF_13StoreWithCastILi1EEEfJN3c108BFloat16EfEEEviT0_T1_T2_T3_T4_T5_
	.p2align	8
	.type	_ZN2at6native39vectorized_templated_elementwise_kernelILi8ENS0_13BinaryFunctorIfffZZZNS0_20copysign_kernel_cudaERNS_18TensorIteratorBaseEENKUlvE_clEvENKUlvE0_clEvEUlffE_EESt5arrayIPcLm3EE23TrivialOffsetCalculatorILi2EjESC_ILi1EjENS0_6memory12LoadWithCastILi2EEENSF_13StoreWithCastILi1EEEfJN3c108BFloat16EfEEEviT0_T1_T2_T3_T4_T5_,@function
_ZN2at6native39vectorized_templated_elementwise_kernelILi8ENS0_13BinaryFunctorIfffZZZNS0_20copysign_kernel_cudaERNS_18TensorIteratorBaseEENKUlvE_clEvENKUlvE0_clEvEUlffE_EESt5arrayIPcLm3EE23TrivialOffsetCalculatorILi2EjESC_ILi1EjENS0_6memory12LoadWithCastILi2EEENSF_13StoreWithCastILi1EEEfJN3c108BFloat16EfEEEviT0_T1_T2_T3_T4_T5_: ; @_ZN2at6native39vectorized_templated_elementwise_kernelILi8ENS0_13BinaryFunctorIfffZZZNS0_20copysign_kernel_cudaERNS_18TensorIteratorBaseEENKUlvE_clEvENKUlvE0_clEvEUlffE_EESt5arrayIPcLm3EE23TrivialOffsetCalculatorILi2EjESC_ILi1EjENS0_6memory12LoadWithCastILi2EEENSF_13StoreWithCastILi1EEEfJN3c108BFloat16EfEEEviT0_T1_T2_T3_T4_T5_
; %bb.0:
	s_add_u32 flat_scratch_lo, s6, s9
	s_addc_u32 flat_scratch_hi, s7, 0
	s_add_u32 s0, s0, s9
	s_mov_b32 s12, s8
	s_load_dword s8, s[4:5], 0x38
	s_load_dwordx2 s[6:7], s[4:5], 0x18
	s_load_dword s9, s[4:5], 0x0
	s_load_dwordx4 s[16:19], s[4:5], 0x8
	s_addc_u32 s1, s1, 0
	s_not_b32 s10, s12
	s_waitcnt lgkmcnt(0)
	s_add_i32 s8, s8, s10
	s_lshl_b32 s8, s8, 14
	s_sub_i32 s13, s9, s8
	s_cmpk_gt_i32 s13, 0x3fff
	s_mov_b64 s[10:11], -1
	s_mov_b32 s32, 0
	s_cbranch_scc1 .LBB98_3
; %bb.1:
	s_andn2_b64 vcc, exec, s[10:11]
	s_cbranch_vccz .LBB98_4
.LBB98_2:
	s_endpgm
.LBB98_3:
	s_ashr_i32 s9, s8, 31
	s_lshl_b64 s[10:11], s[8:9], 1
	s_add_u32 s10, s18, s10
	s_addc_u32 s11, s19, s11
	v_lshlrev_b32_e32 v1, 4, v0
	s_lshl_b64 s[8:9], s[8:9], 2
	v_mov_b32_e32 v2, s11
	v_add_co_u32_e32 v38, vcc, s10, v1
	s_add_u32 s14, s6, s8
	v_addc_co_u32_e32 v39, vcc, 0, v2, vcc
	global_load_dwordx4 v[2:5], v1, s[10:11]
	s_addc_u32 s15, s7, s9
	v_lshlrev_b32_e32 v1, 5, v0
	v_mov_b32_e32 v14, s15
	v_add_co_u32_e32 v42, vcc, s14, v1
	v_addc_co_u32_e32 v43, vcc, 0, v14, vcc
	s_movk_i32 s20, 0x2000
	v_add_co_u32_e32 v14, vcc, s20, v38
	v_addc_co_u32_e32 v15, vcc, 0, v39, vcc
	s_movk_i32 s20, 0x4000
	v_add_co_u32_e32 v26, vcc, s20, v42
	v_addc_co_u32_e32 v27, vcc, 0, v43, vcc
	v_or_b32_e32 v30, 0x400, v0
	global_load_dwordx4 v[6:9], v1, s[14:15] offset:16
	global_load_dwordx4 v[10:13], v1, s[14:15]
	v_lshlrev_b32_e32 v52, 5, v30
	global_load_dwordx4 v[14:17], v[14:15], off
	s_nop 0
	global_load_dwordx4 v[18:21], v[26:27], off
	global_load_dwordx4 v[22:25], v[26:27], off offset:16
	v_lshlrev_b32_e32 v26, 4, v30
	global_load_dwordx4 v[26:29], v26, s[10:11]
	s_movk_i32 s11, 0x6000
	v_add_co_u32_e32 v38, vcc, s11, v38
	s_mov_b32 s10, 0xc000
	v_addc_co_u32_e32 v39, vcc, 0, v39, vcc
	global_load_dwordx4 v[30:33], v52, s[14:15]
	global_load_dwordx4 v[34:37], v52, s[14:15] offset:16
	v_add_co_u32_e32 v50, vcc, s10, v42
	global_load_dwordx4 v[38:41], v[38:39], off
	v_addc_co_u32_e32 v51, vcc, 0, v43, vcc
	global_load_dwordx4 v[42:45], v[50:51], off
	global_load_dwordx4 v[46:49], v[50:51], off offset:16
	s_add_u32 s8, s16, s8
	s_addc_u32 s9, s17, s9
	s_brev_b32 s10, -2
	v_mov_b32_e32 v50, s9
	v_add_co_u32_e32 v51, vcc, s8, v1
	v_addc_co_u32_e32 v50, vcc, 0, v50, vcc
	s_waitcnt vmcnt(11)
	v_lshlrev_b32_e32 v53, 16, v2
	v_and_b32_e32 v2, 0xffff0000, v2
	v_lshlrev_b32_e32 v54, 16, v3
	v_and_b32_e32 v55, 0xffff0000, v3
	;; [unrolled: 2-line block ×4, first 2 shown]
	s_waitcnt vmcnt(10)
	v_bfi_b32 v7, s10, v57, v7
	s_waitcnt vmcnt(9)
	v_bfi_b32 v3, s10, v2, v11
	v_bfi_b32 v2, s10, v53, v10
	;; [unrolled: 1-line block ×7, first 2 shown]
	s_waitcnt vmcnt(8)
	v_lshlrev_b32_e32 v10, 16, v14
	v_and_b32_e32 v11, 0xffff0000, v14
	v_lshlrev_b32_e32 v12, 16, v15
	v_and_b32_e32 v13, 0xffff0000, v15
	;; [unrolled: 2-line block ×4, first 2 shown]
	global_store_dwordx4 v1, v[2:5], s[8:9]
	global_store_dwordx4 v1, v[6:9], s[8:9] offset:16
	v_add_co_u32_e32 v2, vcc, s20, v51
	s_waitcnt vmcnt(9)
	v_bfi_b32 v11, s10, v11, v19
	v_bfi_b32 v10, s10, v10, v18
	;; [unrolled: 1-line block ×4, first 2 shown]
	s_waitcnt vmcnt(8)
	v_bfi_b32 v15, s10, v15, v23
	v_bfi_b32 v14, s10, v14, v22
	;; [unrolled: 1-line block ×4, first 2 shown]
	s_waitcnt vmcnt(7)
	v_lshlrev_b32_e32 v18, 16, v26
	v_and_b32_e32 v19, 0xffff0000, v26
	v_lshlrev_b32_e32 v20, 16, v27
	v_and_b32_e32 v21, 0xffff0000, v27
	;; [unrolled: 2-line block ×4, first 2 shown]
	v_addc_co_u32_e32 v3, vcc, 0, v50, vcc
	s_waitcnt vmcnt(6)
	v_bfi_b32 v19, s10, v19, v31
	v_bfi_b32 v18, s10, v18, v30
	v_bfi_b32 v21, s10, v21, v33
	v_bfi_b32 v20, s10, v20, v32
	s_waitcnt vmcnt(5)
	v_bfi_b32 v23, s10, v23, v35
	v_bfi_b32 v22, s10, v22, v34
	;; [unrolled: 1-line block ×4, first 2 shown]
	s_waitcnt vmcnt(4)
	v_lshlrev_b32_e32 v26, 16, v38
	v_and_b32_e32 v27, 0xffff0000, v38
	v_lshlrev_b32_e32 v28, 16, v39
	v_and_b32_e32 v29, 0xffff0000, v39
	global_store_dwordx4 v[2:3], v[10:13], off
	global_store_dwordx4 v[2:3], v[14:17], off offset:16
	global_store_dwordx4 v52, v[18:21], s[8:9]
	global_store_dwordx4 v52, v[22:25], s[8:9] offset:16
	v_add_co_u32_e32 v2, vcc, 0xc000, v51
	s_waitcnt vmcnt(7)
	v_bfi_b32 v27, s10, v27, v43
	v_bfi_b32 v26, s10, v26, v42
	;; [unrolled: 1-line block ×4, first 2 shown]
	v_lshlrev_b32_e32 v30, 16, v40
	v_and_b32_e32 v31, 0xffff0000, v40
	v_lshlrev_b32_e32 v32, 16, v41
	v_and_b32_e32 v33, 0xffff0000, v41
	v_addc_co_u32_e32 v3, vcc, 0, v50, vcc
	s_waitcnt vmcnt(6)
	v_bfi_b32 v31, s10, v31, v47
	v_bfi_b32 v30, s10, v30, v46
	;; [unrolled: 1-line block ×4, first 2 shown]
	global_store_dwordx4 v[2:3], v[26:29], off
	global_store_dwordx4 v[2:3], v[30:33], off offset:16
	s_cbranch_execnz .LBB98_2
.LBB98_4:
	s_load_dword s10, s[4:5], 0x24
	s_load_dwordx4 s[20:23], s[4:5], 0x28
	s_add_u32 s8, s4, 56
	s_addc_u32 s9, s5, 0
	v_mov_b32_e32 v31, v0
	s_waitcnt lgkmcnt(0)
	v_lshrrev_b16_e64 v8, 8, s10
	v_mov_b32_e32 v0, s16
	v_mov_b32_e32 v1, s17
	;; [unrolled: 1-line block ×12, first 2 shown]
	s_getpc_b64 s[4:5]
	s_add_u32 s4, s4, _ZN2at6native25elementwise_kernel_helperILb1ENS0_13BinaryFunctorIfffZZZNS0_20copysign_kernel_cudaERNS_18TensorIteratorBaseEENKUlvE_clEvENKUlvE0_clEvEUlffE_EENS0_6memory8policies11unroll_baseILi512ESt5arrayIPcLm3EE23TrivialOffsetCalculatorILi2EjESF_ILi1EjENS9_12LoadWithCastILi2EEENS9_13StoreWithCastILi1EEELi32ELi1EEEEEvT0_T1_@rel32@lo+4
	s_addc_u32 s5, s5, _ZN2at6native25elementwise_kernel_helperILb1ENS0_13BinaryFunctorIfffZZZNS0_20copysign_kernel_cudaERNS_18TensorIteratorBaseEENKUlvE_clEvENKUlvE0_clEvEUlffE_EENS0_6memory8policies11unroll_baseILi512ESt5arrayIPcLm3EE23TrivialOffsetCalculatorILi2EjESF_ILi1EjENS9_12LoadWithCastILi2EEENS9_13StoreWithCastILi1EEELi32ELi1EEEEEvT0_T1_@rel32@hi+12
	s_swappc_b64 s[30:31], s[4:5]
	s_endpgm
	.section	.rodata,"a",@progbits
	.p2align	6, 0x0
	.amdhsa_kernel _ZN2at6native39vectorized_templated_elementwise_kernelILi8ENS0_13BinaryFunctorIfffZZZNS0_20copysign_kernel_cudaERNS_18TensorIteratorBaseEENKUlvE_clEvENKUlvE0_clEvEUlffE_EESt5arrayIPcLm3EE23TrivialOffsetCalculatorILi2EjESC_ILi1EjENS0_6memory12LoadWithCastILi2EEENSF_13StoreWithCastILi1EEEfJN3c108BFloat16EfEEEviT0_T1_T2_T3_T4_T5_
		.amdhsa_group_segment_fixed_size 0
		.amdhsa_private_segment_fixed_size 288
		.amdhsa_kernarg_size 312
		.amdhsa_user_sgpr_count 8
		.amdhsa_user_sgpr_private_segment_buffer 1
		.amdhsa_user_sgpr_dispatch_ptr 0
		.amdhsa_user_sgpr_queue_ptr 0
		.amdhsa_user_sgpr_kernarg_segment_ptr 1
		.amdhsa_user_sgpr_dispatch_id 0
		.amdhsa_user_sgpr_flat_scratch_init 1
		.amdhsa_user_sgpr_kernarg_preload_length 0
		.amdhsa_user_sgpr_kernarg_preload_offset 0
		.amdhsa_user_sgpr_private_segment_size 0
		.amdhsa_uses_dynamic_stack 0
		.amdhsa_system_sgpr_private_segment_wavefront_offset 1
		.amdhsa_system_sgpr_workgroup_id_x 1
		.amdhsa_system_sgpr_workgroup_id_y 0
		.amdhsa_system_sgpr_workgroup_id_z 0
		.amdhsa_system_sgpr_workgroup_info 0
		.amdhsa_system_vgpr_workitem_id 0
		.amdhsa_next_free_vgpr 120
		.amdhsa_next_free_sgpr 98
		.amdhsa_accum_offset 120
		.amdhsa_reserve_vcc 1
		.amdhsa_reserve_flat_scratch 1
		.amdhsa_float_round_mode_32 0
		.amdhsa_float_round_mode_16_64 0
		.amdhsa_float_denorm_mode_32 3
		.amdhsa_float_denorm_mode_16_64 3
		.amdhsa_dx10_clamp 1
		.amdhsa_ieee_mode 1
		.amdhsa_fp16_overflow 0
		.amdhsa_tg_split 0
		.amdhsa_exception_fp_ieee_invalid_op 0
		.amdhsa_exception_fp_denorm_src 0
		.amdhsa_exception_fp_ieee_div_zero 0
		.amdhsa_exception_fp_ieee_overflow 0
		.amdhsa_exception_fp_ieee_underflow 0
		.amdhsa_exception_fp_ieee_inexact 0
		.amdhsa_exception_int_div_zero 0
	.end_amdhsa_kernel
	.section	.text._ZN2at6native39vectorized_templated_elementwise_kernelILi8ENS0_13BinaryFunctorIfffZZZNS0_20copysign_kernel_cudaERNS_18TensorIteratorBaseEENKUlvE_clEvENKUlvE0_clEvEUlffE_EESt5arrayIPcLm3EE23TrivialOffsetCalculatorILi2EjESC_ILi1EjENS0_6memory12LoadWithCastILi2EEENSF_13StoreWithCastILi1EEEfJN3c108BFloat16EfEEEviT0_T1_T2_T3_T4_T5_,"axG",@progbits,_ZN2at6native39vectorized_templated_elementwise_kernelILi8ENS0_13BinaryFunctorIfffZZZNS0_20copysign_kernel_cudaERNS_18TensorIteratorBaseEENKUlvE_clEvENKUlvE0_clEvEUlffE_EESt5arrayIPcLm3EE23TrivialOffsetCalculatorILi2EjESC_ILi1EjENS0_6memory12LoadWithCastILi2EEENSF_13StoreWithCastILi1EEEfJN3c108BFloat16EfEEEviT0_T1_T2_T3_T4_T5_,comdat
.Lfunc_end98:
	.size	_ZN2at6native39vectorized_templated_elementwise_kernelILi8ENS0_13BinaryFunctorIfffZZZNS0_20copysign_kernel_cudaERNS_18TensorIteratorBaseEENKUlvE_clEvENKUlvE0_clEvEUlffE_EESt5arrayIPcLm3EE23TrivialOffsetCalculatorILi2EjESC_ILi1EjENS0_6memory12LoadWithCastILi2EEENSF_13StoreWithCastILi1EEEfJN3c108BFloat16EfEEEviT0_T1_T2_T3_T4_T5_, .Lfunc_end98-_ZN2at6native39vectorized_templated_elementwise_kernelILi8ENS0_13BinaryFunctorIfffZZZNS0_20copysign_kernel_cudaERNS_18TensorIteratorBaseEENKUlvE_clEvENKUlvE0_clEvEUlffE_EESt5arrayIPcLm3EE23TrivialOffsetCalculatorILi2EjESC_ILi1EjENS0_6memory12LoadWithCastILi2EEENSF_13StoreWithCastILi1EEEfJN3c108BFloat16EfEEEviT0_T1_T2_T3_T4_T5_
                                        ; -- End function
	.section	.AMDGPU.csdata,"",@progbits
; Kernel info:
; codeLenInByte = 1052
; NumSgprs: 104
; NumVgprs: 120
; NumAgprs: 0
; TotalNumVgprs: 120
; ScratchSize: 288
; MemoryBound: 0
; FloatMode: 240
; IeeeMode: 1
; LDSByteSize: 0 bytes/workgroup (compile time only)
; SGPRBlocks: 12
; VGPRBlocks: 14
; NumSGPRsForWavesPerEU: 104
; NumVGPRsForWavesPerEU: 120
; AccumOffset: 120
; Occupancy: 4
; WaveLimiterHint : 0
; COMPUTE_PGM_RSRC2:SCRATCH_EN: 1
; COMPUTE_PGM_RSRC2:USER_SGPR: 8
; COMPUTE_PGM_RSRC2:TRAP_HANDLER: 0
; COMPUTE_PGM_RSRC2:TGID_X_EN: 1
; COMPUTE_PGM_RSRC2:TGID_Y_EN: 0
; COMPUTE_PGM_RSRC2:TGID_Z_EN: 0
; COMPUTE_PGM_RSRC2:TIDIG_COMP_CNT: 0
; COMPUTE_PGM_RSRC3_GFX90A:ACCUM_OFFSET: 29
; COMPUTE_PGM_RSRC3_GFX90A:TG_SPLIT: 0
	.section	.text._ZN2at6native39vectorized_templated_elementwise_kernelILi4ENS0_13BinaryFunctorIfffZZZNS0_20copysign_kernel_cudaERNS_18TensorIteratorBaseEENKUlvE_clEvENKUlvE0_clEvEUlffE_EESt5arrayIPcLm3EE23TrivialOffsetCalculatorILi2EjESC_ILi1EjENS0_6memory12LoadWithCastILi2EEENSF_13StoreWithCastILi1EEEfJN3c108BFloat16EfEEEviT0_T1_T2_T3_T4_T5_,"axG",@progbits,_ZN2at6native39vectorized_templated_elementwise_kernelILi4ENS0_13BinaryFunctorIfffZZZNS0_20copysign_kernel_cudaERNS_18TensorIteratorBaseEENKUlvE_clEvENKUlvE0_clEvEUlffE_EESt5arrayIPcLm3EE23TrivialOffsetCalculatorILi2EjESC_ILi1EjENS0_6memory12LoadWithCastILi2EEENSF_13StoreWithCastILi1EEEfJN3c108BFloat16EfEEEviT0_T1_T2_T3_T4_T5_,comdat
	.globl	_ZN2at6native39vectorized_templated_elementwise_kernelILi4ENS0_13BinaryFunctorIfffZZZNS0_20copysign_kernel_cudaERNS_18TensorIteratorBaseEENKUlvE_clEvENKUlvE0_clEvEUlffE_EESt5arrayIPcLm3EE23TrivialOffsetCalculatorILi2EjESC_ILi1EjENS0_6memory12LoadWithCastILi2EEENSF_13StoreWithCastILi1EEEfJN3c108BFloat16EfEEEviT0_T1_T2_T3_T4_T5_ ; -- Begin function _ZN2at6native39vectorized_templated_elementwise_kernelILi4ENS0_13BinaryFunctorIfffZZZNS0_20copysign_kernel_cudaERNS_18TensorIteratorBaseEENKUlvE_clEvENKUlvE0_clEvEUlffE_EESt5arrayIPcLm3EE23TrivialOffsetCalculatorILi2EjESC_ILi1EjENS0_6memory12LoadWithCastILi2EEENSF_13StoreWithCastILi1EEEfJN3c108BFloat16EfEEEviT0_T1_T2_T3_T4_T5_
	.p2align	8
	.type	_ZN2at6native39vectorized_templated_elementwise_kernelILi4ENS0_13BinaryFunctorIfffZZZNS0_20copysign_kernel_cudaERNS_18TensorIteratorBaseEENKUlvE_clEvENKUlvE0_clEvEUlffE_EESt5arrayIPcLm3EE23TrivialOffsetCalculatorILi2EjESC_ILi1EjENS0_6memory12LoadWithCastILi2EEENSF_13StoreWithCastILi1EEEfJN3c108BFloat16EfEEEviT0_T1_T2_T3_T4_T5_,@function
_ZN2at6native39vectorized_templated_elementwise_kernelILi4ENS0_13BinaryFunctorIfffZZZNS0_20copysign_kernel_cudaERNS_18TensorIteratorBaseEENKUlvE_clEvENKUlvE0_clEvEUlffE_EESt5arrayIPcLm3EE23TrivialOffsetCalculatorILi2EjESC_ILi1EjENS0_6memory12LoadWithCastILi2EEENSF_13StoreWithCastILi1EEEfJN3c108BFloat16EfEEEviT0_T1_T2_T3_T4_T5_: ; @_ZN2at6native39vectorized_templated_elementwise_kernelILi4ENS0_13BinaryFunctorIfffZZZNS0_20copysign_kernel_cudaERNS_18TensorIteratorBaseEENKUlvE_clEvENKUlvE0_clEvEUlffE_EESt5arrayIPcLm3EE23TrivialOffsetCalculatorILi2EjESC_ILi1EjENS0_6memory12LoadWithCastILi2EEENSF_13StoreWithCastILi1EEEfJN3c108BFloat16EfEEEviT0_T1_T2_T3_T4_T5_
; %bb.0:
	s_add_u32 flat_scratch_lo, s6, s9
	s_addc_u32 flat_scratch_hi, s7, 0
	s_add_u32 s0, s0, s9
	s_mov_b32 s12, s8
	s_load_dword s8, s[4:5], 0x38
	s_load_dwordx2 s[6:7], s[4:5], 0x18
	s_load_dword s9, s[4:5], 0x0
	s_load_dwordx4 s[16:19], s[4:5], 0x8
	s_addc_u32 s1, s1, 0
	s_not_b32 s10, s12
	s_waitcnt lgkmcnt(0)
	s_add_i32 s8, s8, s10
	s_lshl_b32 s8, s8, 14
	s_sub_i32 s13, s9, s8
	s_cmpk_gt_i32 s13, 0x3fff
	s_mov_b64 s[10:11], -1
	s_mov_b32 s32, 0
	s_cbranch_scc1 .LBB99_3
; %bb.1:
	s_andn2_b64 vcc, exec, s[10:11]
	s_cbranch_vccz .LBB99_4
.LBB99_2:
	s_endpgm
.LBB99_3:
	s_ashr_i32 s9, s8, 31
	s_lshl_b64 s[10:11], s[8:9], 1
	s_add_u32 s10, s18, s10
	s_addc_u32 s11, s19, s11
	v_lshlrev_b32_e32 v1, 3, v0
	v_mov_b32_e32 v2, s11
	v_add_co_u32_e32 v28, vcc, s10, v1
	v_addc_co_u32_e32 v29, vcc, 0, v2, vcc
	s_movk_i32 s14, 0x1000
	global_load_dwordx2 v[14:15], v1, s[10:11]
	v_add_co_u32_e32 v2, vcc, s14, v28
	v_or_b32_e32 v1, 0x800, v0
	v_addc_co_u32_e32 v3, vcc, 0, v29, vcc
	v_lshlrev_b32_e32 v4, 3, v1
	v_or_b32_e32 v10, 0x400, v0
	s_movk_i32 s14, 0x3000
	global_load_dwordx2 v[16:17], v4, s[10:11]
	v_lshlrev_b32_e32 v4, 3, v10
	global_load_dwordx2 v[18:19], v[2:3], off
	global_load_dwordx2 v[20:21], v4, s[10:11]
	v_add_co_u32_e32 v2, vcc, s14, v28
	v_addc_co_u32_e32 v3, vcc, 0, v29, vcc
	s_movk_i32 s14, 0x5000
	global_load_dwordx2 v[22:23], v[2:3], off
	v_add_co_u32_e32 v2, vcc, s14, v28
	v_addc_co_u32_e32 v3, vcc, 0, v29, vcc
	v_or_b32_e32 v30, 0xc00, v0
	global_load_dwordx2 v[24:25], v[2:3], off
	v_lshlrev_b32_e32 v2, 3, v30
	s_lshl_b64 s[8:9], s[8:9], 2
	global_load_dwordx2 v[26:27], v2, s[10:11]
	s_add_u32 s10, s6, s8
	s_addc_u32 s11, s7, s9
	v_lshlrev_b32_e32 v36, 4, v0
	v_mov_b32_e32 v6, s11
	v_add_co_u32_e32 v32, vcc, s10, v36
	v_addc_co_u32_e32 v33, vcc, 0, v6, vcc
	s_movk_i32 s14, 0x2000
	v_add_co_u32_e32 v6, vcc, s14, v32
	v_addc_co_u32_e32 v7, vcc, 0, v33, vcc
	v_lshlrev_b32_e32 v37, 4, v10
	global_load_dwordx4 v[2:5], v36, s[10:11]
	global_load_dwordx4 v[10:13], v37, s[10:11]
	s_movk_i32 s15, 0x7000
	global_load_dwordx4 v[6:9], v[6:7], off
	v_add_co_u32_e32 v28, vcc, s15, v28
	v_addc_co_u32_e32 v29, vcc, 0, v29, vcc
	global_load_dwordx2 v[34:35], v[28:29], off
	v_lshlrev_b32_e32 v1, 4, v1
	s_brev_b32 s15, -2
	s_movk_i32 s20, 0x6000
	s_mov_b32 s21, 0xa000
	v_lshlrev_b32_e32 v57, 4, v30
	s_add_u32 s8, s16, s8
	s_addc_u32 s9, s17, s9
	s_waitcnt vmcnt(10)
	v_lshlrev_b32_e32 v28, 16, v14
	v_and_b32_e32 v14, 0x7fff0000, v14
	v_lshlrev_b32_e32 v29, 16, v15
	v_and_b32_e32 v15, 0x7fff0000, v15
	s_waitcnt vmcnt(9)
	v_lshlrev_b32_e32 v38, 16, v16
	s_waitcnt vmcnt(8)
	v_lshlrev_b32_e32 v31, 16, v18
	v_and_b32_e32 v18, 0x7fff0000, v18
	v_lshlrev_b32_e32 v42, 16, v19
	v_and_b32_e32 v19, 0x7fff0000, v19
	s_waitcnt vmcnt(7)
	v_lshlrev_b32_e32 v43, 16, v20
	v_and_b32_e32 v20, 0x7fff0000, v20
	v_lshlrev_b32_e32 v44, 16, v21
	v_and_b32_e32 v21, 0x7fff0000, v21
	v_and_b32_e32 v39, 0x7fff0000, v16
	v_lshlrev_b32_e32 v40, 16, v17
	v_and_b32_e32 v41, 0x7fff0000, v17
	s_waitcnt vmcnt(6)
	v_lshlrev_b32_e32 v45, 16, v22
	v_and_b32_e32 v46, 0x7fff0000, v22
	v_lshlrev_b32_e32 v47, 16, v23
	v_and_b32_e32 v48, 0x7fff0000, v23
	s_waitcnt vmcnt(5)
	v_lshlrev_b32_e32 v49, 16, v24
	;; [unrolled: 5-line block ×3, first 2 shown]
	v_and_b32_e32 v54, 0x7fff0000, v26
	v_lshlrev_b32_e32 v55, 16, v27
	v_and_b32_e32 v56, 0x7fff0000, v27
	s_waitcnt vmcnt(2)
	v_bfi_b32 v11, s15, v20, v11
	v_bfi_b32 v13, s15, v21, v13
	s_waitcnt vmcnt(1)
	v_bfi_b32 v7, s15, v18, v7
	v_bfi_b32 v9, s15, v19, v9
	global_load_dwordx4 v[18:21], v1, s[10:11]
	v_bfi_b32 v3, s15, v14, v3
	v_add_co_u32_e32 v14, vcc, s20, v32
	v_bfi_b32 v5, s15, v15, v5
	v_addc_co_u32_e32 v15, vcc, 0, v33, vcc
	global_load_dwordx4 v[14:17], v[14:15], off
	v_add_co_u32_e32 v30, vcc, s21, v32
	v_bfi_b32 v6, s15, v31, v6
	v_addc_co_u32_e32 v31, vcc, 0, v33, vcc
	v_bfi_b32 v2, s15, v28, v2
	v_bfi_b32 v4, s15, v29, v4
	global_load_dwordx4 v[22:25], v[30:31], off
	global_load_dwordx4 v[26:29], v57, s[10:11]
	s_mov_b32 s10, 0xe000
	v_add_co_u32_e32 v30, vcc, s10, v32
	v_addc_co_u32_e32 v31, vcc, 0, v33, vcc
	global_load_dwordx4 v[30:33], v[30:31], off
	v_bfi_b32 v12, s15, v44, v12
	v_mov_b32_e32 v44, s9
	global_store_dwordx4 v36, v[2:5], s[8:9]
	v_bfi_b32 v8, s15, v42, v8
	v_bfi_b32 v10, s15, v43, v10
	s_waitcnt vmcnt(6)
	v_lshlrev_b32_e32 v42, 16, v34
	v_and_b32_e32 v34, 0x7fff0000, v34
	v_lshlrev_b32_e32 v43, 16, v35
	v_and_b32_e32 v35, 0x7fff0000, v35
	s_waitcnt vmcnt(5)
	v_bfi_b32 v19, s15, v39, v19
	v_bfi_b32 v18, s15, v38, v18
	;; [unrolled: 1-line block ×4, first 2 shown]
	s_waitcnt vmcnt(4)
	v_bfi_b32 v14, s15, v45, v14
	v_add_co_u32_e32 v45, vcc, s8, v36
	v_addc_co_u32_e32 v44, vcc, 0, v44, vcc
	v_add_co_u32_e32 v2, vcc, s14, v45
	v_addc_co_u32_e32 v3, vcc, 0, v44, vcc
	global_store_dwordx4 v[2:3], v[6:9], off
	global_store_dwordx4 v37, v[10:13], s[8:9]
	v_add_co_u32_e32 v2, vcc, s20, v45
	v_bfi_b32 v15, s15, v46, v15
	v_bfi_b32 v17, s15, v48, v17
	;; [unrolled: 1-line block ×3, first 2 shown]
	v_addc_co_u32_e32 v3, vcc, 0, v44, vcc
	global_store_dwordx4 v[2:3], v[14:17], off
	global_store_dwordx4 v1, v[18:21], s[8:9]
	v_add_co_u32_e32 v2, vcc, 0xa000, v45
	s_waitcnt vmcnt(7)
	v_bfi_b32 v23, s15, v50, v23
	v_bfi_b32 v22, s15, v49, v22
	;; [unrolled: 1-line block ×4, first 2 shown]
	v_addc_co_u32_e32 v3, vcc, 0, v44, vcc
	s_waitcnt vmcnt(6)
	v_bfi_b32 v27, s15, v54, v27
	v_bfi_b32 v26, s15, v53, v26
	v_bfi_b32 v29, s15, v56, v29
	v_bfi_b32 v28, s15, v55, v28
	global_store_dwordx4 v[2:3], v[22:25], off
	global_store_dwordx4 v57, v[26:29], s[8:9]
	v_add_co_u32_e32 v2, vcc, 0xe000, v45
	s_waitcnt vmcnt(7)
	v_bfi_b32 v31, s15, v34, v31
	v_bfi_b32 v30, s15, v42, v30
	;; [unrolled: 1-line block ×4, first 2 shown]
	v_addc_co_u32_e32 v3, vcc, 0, v44, vcc
	global_store_dwordx4 v[2:3], v[30:33], off
	s_cbranch_execnz .LBB99_2
.LBB99_4:
	s_load_dword s10, s[4:5], 0x24
	s_load_dwordx4 s[20:23], s[4:5], 0x28
	s_add_u32 s8, s4, 56
	s_addc_u32 s9, s5, 0
	v_mov_b32_e32 v31, v0
	s_waitcnt lgkmcnt(0)
	v_lshrrev_b16_e64 v8, 8, s10
	v_mov_b32_e32 v0, s16
	v_mov_b32_e32 v1, s17
	;; [unrolled: 1-line block ×12, first 2 shown]
	s_getpc_b64 s[4:5]
	s_add_u32 s4, s4, _ZN2at6native25elementwise_kernel_helperILb1ENS0_13BinaryFunctorIfffZZZNS0_20copysign_kernel_cudaERNS_18TensorIteratorBaseEENKUlvE_clEvENKUlvE0_clEvEUlffE_EENS0_6memory8policies11unroll_baseILi512ESt5arrayIPcLm3EE23TrivialOffsetCalculatorILi2EjESF_ILi1EjENS9_12LoadWithCastILi2EEENS9_13StoreWithCastILi1EEELi32ELi1EEEEEvT0_T1_@rel32@lo+4
	s_addc_u32 s5, s5, _ZN2at6native25elementwise_kernel_helperILb1ENS0_13BinaryFunctorIfffZZZNS0_20copysign_kernel_cudaERNS_18TensorIteratorBaseEENKUlvE_clEvENKUlvE0_clEvEUlffE_EENS0_6memory8policies11unroll_baseILi512ESt5arrayIPcLm3EE23TrivialOffsetCalculatorILi2EjESF_ILi1EjENS9_12LoadWithCastILi2EEENS9_13StoreWithCastILi1EEELi32ELi1EEEEEvT0_T1_@rel32@hi+12
	s_swappc_b64 s[30:31], s[4:5]
	s_endpgm
	.section	.rodata,"a",@progbits
	.p2align	6, 0x0
	.amdhsa_kernel _ZN2at6native39vectorized_templated_elementwise_kernelILi4ENS0_13BinaryFunctorIfffZZZNS0_20copysign_kernel_cudaERNS_18TensorIteratorBaseEENKUlvE_clEvENKUlvE0_clEvEUlffE_EESt5arrayIPcLm3EE23TrivialOffsetCalculatorILi2EjESC_ILi1EjENS0_6memory12LoadWithCastILi2EEENSF_13StoreWithCastILi1EEEfJN3c108BFloat16EfEEEviT0_T1_T2_T3_T4_T5_
		.amdhsa_group_segment_fixed_size 0
		.amdhsa_private_segment_fixed_size 288
		.amdhsa_kernarg_size 312
		.amdhsa_user_sgpr_count 8
		.amdhsa_user_sgpr_private_segment_buffer 1
		.amdhsa_user_sgpr_dispatch_ptr 0
		.amdhsa_user_sgpr_queue_ptr 0
		.amdhsa_user_sgpr_kernarg_segment_ptr 1
		.amdhsa_user_sgpr_dispatch_id 0
		.amdhsa_user_sgpr_flat_scratch_init 1
		.amdhsa_user_sgpr_kernarg_preload_length 0
		.amdhsa_user_sgpr_kernarg_preload_offset 0
		.amdhsa_user_sgpr_private_segment_size 0
		.amdhsa_uses_dynamic_stack 0
		.amdhsa_system_sgpr_private_segment_wavefront_offset 1
		.amdhsa_system_sgpr_workgroup_id_x 1
		.amdhsa_system_sgpr_workgroup_id_y 0
		.amdhsa_system_sgpr_workgroup_id_z 0
		.amdhsa_system_sgpr_workgroup_info 0
		.amdhsa_system_vgpr_workitem_id 0
		.amdhsa_next_free_vgpr 120
		.amdhsa_next_free_sgpr 98
		.amdhsa_accum_offset 120
		.amdhsa_reserve_vcc 1
		.amdhsa_reserve_flat_scratch 1
		.amdhsa_float_round_mode_32 0
		.amdhsa_float_round_mode_16_64 0
		.amdhsa_float_denorm_mode_32 3
		.amdhsa_float_denorm_mode_16_64 3
		.amdhsa_dx10_clamp 1
		.amdhsa_ieee_mode 1
		.amdhsa_fp16_overflow 0
		.amdhsa_tg_split 0
		.amdhsa_exception_fp_ieee_invalid_op 0
		.amdhsa_exception_fp_denorm_src 0
		.amdhsa_exception_fp_ieee_div_zero 0
		.amdhsa_exception_fp_ieee_overflow 0
		.amdhsa_exception_fp_ieee_underflow 0
		.amdhsa_exception_fp_ieee_inexact 0
		.amdhsa_exception_int_div_zero 0
	.end_amdhsa_kernel
	.section	.text._ZN2at6native39vectorized_templated_elementwise_kernelILi4ENS0_13BinaryFunctorIfffZZZNS0_20copysign_kernel_cudaERNS_18TensorIteratorBaseEENKUlvE_clEvENKUlvE0_clEvEUlffE_EESt5arrayIPcLm3EE23TrivialOffsetCalculatorILi2EjESC_ILi1EjENS0_6memory12LoadWithCastILi2EEENSF_13StoreWithCastILi1EEEfJN3c108BFloat16EfEEEviT0_T1_T2_T3_T4_T5_,"axG",@progbits,_ZN2at6native39vectorized_templated_elementwise_kernelILi4ENS0_13BinaryFunctorIfffZZZNS0_20copysign_kernel_cudaERNS_18TensorIteratorBaseEENKUlvE_clEvENKUlvE0_clEvEUlffE_EESt5arrayIPcLm3EE23TrivialOffsetCalculatorILi2EjESC_ILi1EjENS0_6memory12LoadWithCastILi2EEENSF_13StoreWithCastILi1EEEfJN3c108BFloat16EfEEEviT0_T1_T2_T3_T4_T5_,comdat
.Lfunc_end99:
	.size	_ZN2at6native39vectorized_templated_elementwise_kernelILi4ENS0_13BinaryFunctorIfffZZZNS0_20copysign_kernel_cudaERNS_18TensorIteratorBaseEENKUlvE_clEvENKUlvE0_clEvEUlffE_EESt5arrayIPcLm3EE23TrivialOffsetCalculatorILi2EjESC_ILi1EjENS0_6memory12LoadWithCastILi2EEENSF_13StoreWithCastILi1EEEfJN3c108BFloat16EfEEEviT0_T1_T2_T3_T4_T5_, .Lfunc_end99-_ZN2at6native39vectorized_templated_elementwise_kernelILi4ENS0_13BinaryFunctorIfffZZZNS0_20copysign_kernel_cudaERNS_18TensorIteratorBaseEENKUlvE_clEvENKUlvE0_clEvEUlffE_EESt5arrayIPcLm3EE23TrivialOffsetCalculatorILi2EjESC_ILi1EjENS0_6memory12LoadWithCastILi2EEENSF_13StoreWithCastILi1EEEfJN3c108BFloat16EfEEEviT0_T1_T2_T3_T4_T5_
                                        ; -- End function
	.section	.AMDGPU.csdata,"",@progbits
; Kernel info:
; codeLenInByte = 1196
; NumSgprs: 104
; NumVgprs: 120
; NumAgprs: 0
; TotalNumVgprs: 120
; ScratchSize: 288
; MemoryBound: 0
; FloatMode: 240
; IeeeMode: 1
; LDSByteSize: 0 bytes/workgroup (compile time only)
; SGPRBlocks: 12
; VGPRBlocks: 14
; NumSGPRsForWavesPerEU: 104
; NumVGPRsForWavesPerEU: 120
; AccumOffset: 120
; Occupancy: 4
; WaveLimiterHint : 0
; COMPUTE_PGM_RSRC2:SCRATCH_EN: 1
; COMPUTE_PGM_RSRC2:USER_SGPR: 8
; COMPUTE_PGM_RSRC2:TRAP_HANDLER: 0
; COMPUTE_PGM_RSRC2:TGID_X_EN: 1
; COMPUTE_PGM_RSRC2:TGID_Y_EN: 0
; COMPUTE_PGM_RSRC2:TGID_Z_EN: 0
; COMPUTE_PGM_RSRC2:TIDIG_COMP_CNT: 0
; COMPUTE_PGM_RSRC3_GFX90A:ACCUM_OFFSET: 29
; COMPUTE_PGM_RSRC3_GFX90A:TG_SPLIT: 0
	.section	.text._ZN2at6native39vectorized_templated_elementwise_kernelILi2ENS0_13BinaryFunctorIfffZZZNS0_20copysign_kernel_cudaERNS_18TensorIteratorBaseEENKUlvE_clEvENKUlvE0_clEvEUlffE_EESt5arrayIPcLm3EE23TrivialOffsetCalculatorILi2EjESC_ILi1EjENS0_6memory12LoadWithCastILi2EEENSF_13StoreWithCastILi1EEEfJN3c108BFloat16EfEEEviT0_T1_T2_T3_T4_T5_,"axG",@progbits,_ZN2at6native39vectorized_templated_elementwise_kernelILi2ENS0_13BinaryFunctorIfffZZZNS0_20copysign_kernel_cudaERNS_18TensorIteratorBaseEENKUlvE_clEvENKUlvE0_clEvEUlffE_EESt5arrayIPcLm3EE23TrivialOffsetCalculatorILi2EjESC_ILi1EjENS0_6memory12LoadWithCastILi2EEENSF_13StoreWithCastILi1EEEfJN3c108BFloat16EfEEEviT0_T1_T2_T3_T4_T5_,comdat
	.globl	_ZN2at6native39vectorized_templated_elementwise_kernelILi2ENS0_13BinaryFunctorIfffZZZNS0_20copysign_kernel_cudaERNS_18TensorIteratorBaseEENKUlvE_clEvENKUlvE0_clEvEUlffE_EESt5arrayIPcLm3EE23TrivialOffsetCalculatorILi2EjESC_ILi1EjENS0_6memory12LoadWithCastILi2EEENSF_13StoreWithCastILi1EEEfJN3c108BFloat16EfEEEviT0_T1_T2_T3_T4_T5_ ; -- Begin function _ZN2at6native39vectorized_templated_elementwise_kernelILi2ENS0_13BinaryFunctorIfffZZZNS0_20copysign_kernel_cudaERNS_18TensorIteratorBaseEENKUlvE_clEvENKUlvE0_clEvEUlffE_EESt5arrayIPcLm3EE23TrivialOffsetCalculatorILi2EjESC_ILi1EjENS0_6memory12LoadWithCastILi2EEENSF_13StoreWithCastILi1EEEfJN3c108BFloat16EfEEEviT0_T1_T2_T3_T4_T5_
	.p2align	8
	.type	_ZN2at6native39vectorized_templated_elementwise_kernelILi2ENS0_13BinaryFunctorIfffZZZNS0_20copysign_kernel_cudaERNS_18TensorIteratorBaseEENKUlvE_clEvENKUlvE0_clEvEUlffE_EESt5arrayIPcLm3EE23TrivialOffsetCalculatorILi2EjESC_ILi1EjENS0_6memory12LoadWithCastILi2EEENSF_13StoreWithCastILi1EEEfJN3c108BFloat16EfEEEviT0_T1_T2_T3_T4_T5_,@function
_ZN2at6native39vectorized_templated_elementwise_kernelILi2ENS0_13BinaryFunctorIfffZZZNS0_20copysign_kernel_cudaERNS_18TensorIteratorBaseEENKUlvE_clEvENKUlvE0_clEvEUlffE_EESt5arrayIPcLm3EE23TrivialOffsetCalculatorILi2EjESC_ILi1EjENS0_6memory12LoadWithCastILi2EEENSF_13StoreWithCastILi1EEEfJN3c108BFloat16EfEEEviT0_T1_T2_T3_T4_T5_: ; @_ZN2at6native39vectorized_templated_elementwise_kernelILi2ENS0_13BinaryFunctorIfffZZZNS0_20copysign_kernel_cudaERNS_18TensorIteratorBaseEENKUlvE_clEvENKUlvE0_clEvEUlffE_EESt5arrayIPcLm3EE23TrivialOffsetCalculatorILi2EjESC_ILi1EjENS0_6memory12LoadWithCastILi2EEENSF_13StoreWithCastILi1EEEfJN3c108BFloat16EfEEEviT0_T1_T2_T3_T4_T5_
; %bb.0:
	s_add_u32 flat_scratch_lo, s6, s9
	s_addc_u32 flat_scratch_hi, s7, 0
	s_add_u32 s0, s0, s9
	s_mov_b32 s12, s8
	s_load_dword s8, s[4:5], 0x38
	s_load_dwordx2 s[6:7], s[4:5], 0x18
	s_load_dword s9, s[4:5], 0x0
	s_load_dwordx4 s[16:19], s[4:5], 0x8
	s_addc_u32 s1, s1, 0
	s_not_b32 s10, s12
	s_waitcnt lgkmcnt(0)
	s_add_i32 s8, s8, s10
	s_lshl_b32 s8, s8, 14
	s_sub_i32 s13, s9, s8
	s_cmpk_gt_i32 s13, 0x3fff
	s_mov_b64 s[10:11], -1
	s_mov_b32 s32, 0
	s_cbranch_scc1 .LBB100_3
; %bb.1:
	s_andn2_b64 vcc, exec, s[10:11]
	s_cbranch_vccz .LBB100_4
.LBB100_2:
	s_endpgm
.LBB100_3:
	s_ashr_i32 s9, s8, 31
	s_lshl_b64 s[10:11], s[8:9], 1
	s_add_u32 s10, s18, s10
	s_addc_u32 s11, s19, s11
	v_lshlrev_b32_e32 v1, 2, v0
	v_mov_b32_e32 v2, s11
	v_add_co_u32_e32 v8, vcc, s10, v1
	v_addc_co_u32_e32 v9, vcc, 0, v2, vcc
	s_movk_i32 s20, 0x1000
	v_add_co_u32_e32 v2, vcc, s20, v8
	v_addc_co_u32_e32 v3, vcc, 0, v9, vcc
	s_movk_i32 s14, 0x2000
	;; [unrolled: 3-line block ×3, first 2 shown]
	v_add_co_u32_e32 v6, vcc, s21, v8
	v_or_b32_e32 v10, 0x400, v0
	v_or_b32_e32 v20, 0x800, v0
	;; [unrolled: 1-line block ×3, first 2 shown]
	v_addc_co_u32_e32 v7, vcc, 0, v9, vcc
	s_movk_i32 s14, 0x4000
	v_lshlrev_b32_e32 v11, 2, v10
	v_lshlrev_b32_e32 v12, 2, v20
	;; [unrolled: 1-line block ×3, first 2 shown]
	global_load_dword v36, v1, s[10:11]
	global_load_dword v37, v1, s[10:11] offset:2048
	global_load_dword v38, v11, s[10:11]
	global_load_dword v39, v[2:3], off offset:2048
	global_load_dword v40, v12, s[10:11]
	global_load_dword v41, v[4:5], off offset:2048
	;; [unrolled: 2-line block ×3, first 2 shown]
	v_add_co_u32_e32 v2, vcc, s14, v8
	v_addc_co_u32_e32 v3, vcc, 0, v9, vcc
	s_movk_i32 s22, 0x5000
	v_add_co_u32_e32 v4, vcc, s22, v8
	v_addc_co_u32_e32 v5, vcc, 0, v9, vcc
	s_movk_i32 s14, 0x6000
	;; [unrolled: 3-line block ×3, first 2 shown]
	s_lshl_b64 s[8:9], s[8:9], 2
	v_add_co_u32_e32 v8, vcc, s23, v8
	s_add_u32 s14, s6, s8
	v_addc_co_u32_e32 v9, vcc, 0, v9, vcc
	s_addc_u32 s15, s7, s9
	v_lshlrev_b32_e32 v44, 3, v0
	v_mov_b32_e32 v11, s15
	v_add_co_u32_e32 v45, vcc, s14, v44
	v_addc_co_u32_e32 v46, vcc, 0, v11, vcc
	v_add_co_u32_e32 v12, vcc, s20, v45
	v_addc_co_u32_e32 v13, vcc, 0, v46, vcc
	v_lshlrev_b32_e32 v47, 3, v10
	global_load_dwordx2 v[10:11], v44, s[14:15]
	global_load_dwordx2 v[14:15], v[12:13], off
	global_load_dwordx2 v[16:17], v47, s[14:15]
	v_add_co_u32_e32 v12, vcc, s21, v45
	v_or_b32_e32 v1, 0x1000, v0
	v_or_b32_e32 v23, 0x1400, v0
	;; [unrolled: 1-line block ×4, first 2 shown]
	v_addc_co_u32_e32 v13, vcc, 0, v46, vcc
	v_lshlrev_b32_e32 v22, 2, v1
	v_lshlrev_b32_e32 v24, 2, v23
	;; [unrolled: 1-line block ×4, first 2 shown]
	global_load_dwordx2 v[18:19], v[12:13], off
	global_load_dword v48, v22, s[10:11]
	global_load_dword v49, v[2:3], off offset:2048
	global_load_dword v50, v24, s[10:11]
	global_load_dword v51, v[4:5], off offset:2048
	;; [unrolled: 2-line block ×4, first 2 shown]
	v_add_co_u32_e32 v4, vcc, s22, v45
	v_addc_co_u32_e32 v5, vcc, 0, v46, vcc
	v_add_co_u32_e32 v8, vcc, s23, v45
	v_lshlrev_b32_e32 v56, 3, v20
	v_lshlrev_b32_e32 v57, 3, v21
	v_addc_co_u32_e32 v9, vcc, 0, v46, vcc
	global_load_dwordx2 v[2:3], v56, s[14:15]
	s_mov_b32 s10, 0x9000
	global_load_dwordx2 v[4:5], v[4:5], off
	v_add_co_u32_e32 v12, vcc, s10, v45
	global_load_dwordx2 v[8:9], v[8:9], off
	v_addc_co_u32_e32 v13, vcc, 0, v46, vcc
	global_load_dwordx2 v[6:7], v57, s[14:15]
	s_mov_b32 s11, 0xb000
	v_lshlrev_b32_e32 v1, 3, v1
	v_lshlrev_b32_e32 v58, 3, v23
	;; [unrolled: 1-line block ×3, first 2 shown]
	global_load_dwordx2 v[20:21], v[12:13], off
	global_load_dwordx2 v[22:23], v1, s[14:15]
	global_load_dwordx2 v[24:25], v58, s[14:15]
	v_add_co_u32_e32 v12, vcc, s11, v45
	v_addc_co_u32_e32 v13, vcc, 0, v46, vcc
	s_mov_b32 s24, 0xd000
	v_add_co_u32_e32 v26, vcc, s24, v45
	v_lshlrev_b32_e32 v60, 3, v27
	v_addc_co_u32_e32 v27, vcc, 0, v46, vcc
	global_load_dwordx2 v[28:29], v[12:13], off
	global_load_dwordx2 v[30:31], v[26:27], off
	global_load_dwordx2 v[32:33], v59, s[14:15]
	global_load_dwordx2 v[34:35], v60, s[14:15]
	s_mov_b32 s14, 0xf000
	v_add_co_u32_e32 v12, vcc, s14, v45
	v_addc_co_u32_e32 v13, vcc, 0, v46, vcc
	global_load_dwordx2 v[12:13], v[12:13], off
	s_waitcnt vmcnt(31)
	v_and_b32_e32 v26, 0x7fff0000, v36
	v_lshlrev_b32_e32 v27, 16, v36
	s_brev_b32 s14, -2
	s_add_u32 s8, s16, s8
	s_addc_u32 s9, s17, s9
	s_waitcnt vmcnt(30)
	v_and_b32_e32 v36, 0x7fff0000, v37
	v_lshlrev_b32_e32 v37, 16, v37
	s_waitcnt vmcnt(23)
	v_bfi_b32 v11, s14, v26, v11
	v_bfi_b32 v10, s14, v27, v10
	v_and_b32_e32 v26, 0x7fff0000, v38
	v_lshlrev_b32_e32 v27, 16, v38
	s_waitcnt vmcnt(21)
	v_bfi_b32 v17, s14, v26, v17
	v_bfi_b32 v16, s14, v27, v16
	v_and_b32_e32 v26, 0x7fff0000, v42
	v_lshlrev_b32_e32 v27, 16, v42
	v_and_b32_e32 v42, 0x7fff0000, v43
	v_lshlrev_b32_e32 v43, 16, v43
	global_store_dwordx2 v44, v[10:11], s[8:9]
	v_bfi_b32 v15, s14, v36, v15
	v_bfi_b32 v14, s14, v37, v14
	v_and_b32_e32 v38, 0x7fff0000, v39
	v_lshlrev_b32_e32 v39, 16, v39
	v_lshlrev_b32_e32 v37, 16, v40
	v_and_b32_e32 v36, 0x7fff0000, v40
	s_waitcnt vmcnt(21)
	v_bfi_b32 v19, s14, v38, v19
	v_bfi_b32 v18, s14, v39, v18
	v_and_b32_e32 v40, 0x7fff0000, v41
	v_lshlrev_b32_e32 v41, 16, v41
	s_waitcnt vmcnt(20)
	v_and_b32_e32 v38, 0x7fff0000, v48
	v_lshlrev_b32_e32 v39, 16, v48
	s_waitcnt vmcnt(19)
	;; [unrolled: 3-line block ×3, first 2 shown]
	v_bfi_b32 v2, s14, v37, v2
	v_bfi_b32 v3, s14, v36, v3
	s_waitcnt vmcnt(11)
	v_bfi_b32 v5, s14, v40, v5
	v_bfi_b32 v4, s14, v41, v4
	v_and_b32_e32 v36, 0x7fff0000, v50
	s_waitcnt vmcnt(10)
	v_bfi_b32 v9, s14, v42, v9
	v_add_co_u32_e32 v42, vcc, s8, v44
	s_waitcnt vmcnt(9)
	v_bfi_b32 v7, s14, v26, v7
	v_mov_b32_e32 v26, s9
	v_bfi_b32 v8, s14, v43, v8
	v_addc_co_u32_e32 v43, vcc, 0, v26, vcc
	v_add_co_u32_e32 v10, vcc, s20, v42
	v_addc_co_u32_e32 v11, vcc, 0, v43, vcc
	global_store_dwordx2 v[10:11], v[14:15], off
	global_store_dwordx2 v47, v[16:17], s[8:9]
	v_add_co_u32_e32 v10, vcc, s21, v42
	v_addc_co_u32_e32 v11, vcc, 0, v43, vcc
	global_store_dwordx2 v[10:11], v[18:19], off
	global_store_dwordx2 v56, v[2:3], s[8:9]
	v_add_co_u32_e32 v2, vcc, s22, v42
	v_addc_co_u32_e32 v3, vcc, 0, v43, vcc
	v_bfi_b32 v6, s14, v27, v6
	global_store_dwordx2 v[2:3], v[4:5], off
	global_store_dwordx2 v57, v[6:7], s[8:9]
	v_add_co_u32_e32 v2, vcc, s23, v42
	v_addc_co_u32_e32 v3, vcc, 0, v43, vcc
	s_waitcnt vmcnt(13)
	v_bfi_b32 v23, s14, v38, v23
	v_bfi_b32 v22, s14, v39, v22
	global_store_dwordx2 v[2:3], v[8:9], off
	global_store_dwordx2 v1, v[22:23], s[8:9]
	v_add_co_u32_e32 v2, vcc, s10, v42
	v_lshlrev_b32_e32 v37, 16, v50
	v_bfi_b32 v21, s14, v45, v21
	v_bfi_b32 v20, s14, v46, v20
	v_addc_co_u32_e32 v3, vcc, 0, v43, vcc
	v_and_b32_e32 v48, 0x7fff0000, v51
	v_lshlrev_b32_e32 v49, 16, v51
	s_waitcnt vmcnt(14)
	v_bfi_b32 v25, s14, v36, v25
	v_bfi_b32 v24, s14, v37, v24
	global_store_dwordx2 v[2:3], v[20:21], off
	global_store_dwordx2 v58, v[24:25], s[8:9]
	v_add_co_u32_e32 v2, vcc, s11, v42
	v_and_b32_e32 v40, 0x7fff0000, v52
	v_lshlrev_b32_e32 v41, 16, v52
	s_waitcnt vmcnt(15)
	v_bfi_b32 v27, s14, v48, v29
	v_bfi_b32 v26, s14, v49, v28
	v_addc_co_u32_e32 v3, vcc, 0, v43, vcc
	v_and_b32_e32 v50, 0x7fff0000, v53
	v_lshlrev_b32_e32 v51, 16, v53
	s_waitcnt vmcnt(13)
	v_bfi_b32 v29, s14, v40, v33
	v_bfi_b32 v28, s14, v41, v32
	global_store_dwordx2 v[2:3], v[26:27], off
	global_store_dwordx2 v59, v[28:29], s[8:9]
	v_add_co_u32_e32 v2, vcc, 0xd000, v42
	v_and_b32_e32 v52, 0x7fff0000, v54
	v_lshlrev_b32_e32 v53, 16, v54
	v_bfi_b32 v31, s14, v50, v31
	v_bfi_b32 v30, s14, v51, v30
	v_addc_co_u32_e32 v3, vcc, 0, v43, vcc
	v_and_b32_e32 v54, 0x7fff0000, v55
	v_lshlrev_b32_e32 v55, 16, v55
	s_waitcnt vmcnt(14)
	v_bfi_b32 v33, s14, v52, v35
	v_bfi_b32 v32, s14, v53, v34
	global_store_dwordx2 v[2:3], v[30:31], off
	global_store_dwordx2 v60, v[32:33], s[8:9]
	v_add_co_u32_e32 v2, vcc, 0xf000, v42
	s_waitcnt vmcnt(15)
	v_bfi_b32 v13, s14, v54, v13
	v_bfi_b32 v12, s14, v55, v12
	v_addc_co_u32_e32 v3, vcc, 0, v43, vcc
	global_store_dwordx2 v[2:3], v[12:13], off
	s_cbranch_execnz .LBB100_2
.LBB100_4:
	s_load_dword s10, s[4:5], 0x24
	s_load_dwordx4 s[20:23], s[4:5], 0x28
	s_add_u32 s8, s4, 56
	s_addc_u32 s9, s5, 0
	v_mov_b32_e32 v31, v0
	s_waitcnt lgkmcnt(0)
	v_lshrrev_b16_e64 v8, 8, s10
	v_mov_b32_e32 v0, s16
	v_mov_b32_e32 v1, s17
	v_mov_b32_e32 v2, s18
	v_mov_b32_e32 v3, s19
	v_mov_b32_e32 v4, s6
	v_mov_b32_e32 v5, s7
	v_mov_b32_e32 v6, s13
	v_mov_b32_e32 v7, s10
	v_mov_b32_e32 v9, s20
	v_mov_b32_e32 v10, s21
	v_mov_b32_e32 v11, s22
	v_mov_b32_e32 v12, s23
	s_getpc_b64 s[4:5]
	s_add_u32 s4, s4, _ZN2at6native25elementwise_kernel_helperILb1ENS0_13BinaryFunctorIfffZZZNS0_20copysign_kernel_cudaERNS_18TensorIteratorBaseEENKUlvE_clEvENKUlvE0_clEvEUlffE_EENS0_6memory8policies11unroll_baseILi512ESt5arrayIPcLm3EE23TrivialOffsetCalculatorILi2EjESF_ILi1EjENS9_12LoadWithCastILi2EEENS9_13StoreWithCastILi1EEELi32ELi1EEEEEvT0_T1_@rel32@lo+4
	s_addc_u32 s5, s5, _ZN2at6native25elementwise_kernel_helperILb1ENS0_13BinaryFunctorIfffZZZNS0_20copysign_kernel_cudaERNS_18TensorIteratorBaseEENKUlvE_clEvENKUlvE0_clEvEUlffE_EENS0_6memory8policies11unroll_baseILi512ESt5arrayIPcLm3EE23TrivialOffsetCalculatorILi2EjESF_ILi1EjENS9_12LoadWithCastILi2EEENS9_13StoreWithCastILi1EEELi32ELi1EEEEEvT0_T1_@rel32@hi+12
	s_swappc_b64 s[30:31], s[4:5]
	s_endpgm
	.section	.rodata,"a",@progbits
	.p2align	6, 0x0
	.amdhsa_kernel _ZN2at6native39vectorized_templated_elementwise_kernelILi2ENS0_13BinaryFunctorIfffZZZNS0_20copysign_kernel_cudaERNS_18TensorIteratorBaseEENKUlvE_clEvENKUlvE0_clEvEUlffE_EESt5arrayIPcLm3EE23TrivialOffsetCalculatorILi2EjESC_ILi1EjENS0_6memory12LoadWithCastILi2EEENSF_13StoreWithCastILi1EEEfJN3c108BFloat16EfEEEviT0_T1_T2_T3_T4_T5_
		.amdhsa_group_segment_fixed_size 0
		.amdhsa_private_segment_fixed_size 288
		.amdhsa_kernarg_size 312
		.amdhsa_user_sgpr_count 8
		.amdhsa_user_sgpr_private_segment_buffer 1
		.amdhsa_user_sgpr_dispatch_ptr 0
		.amdhsa_user_sgpr_queue_ptr 0
		.amdhsa_user_sgpr_kernarg_segment_ptr 1
		.amdhsa_user_sgpr_dispatch_id 0
		.amdhsa_user_sgpr_flat_scratch_init 1
		.amdhsa_user_sgpr_kernarg_preload_length 0
		.amdhsa_user_sgpr_kernarg_preload_offset 0
		.amdhsa_user_sgpr_private_segment_size 0
		.amdhsa_uses_dynamic_stack 0
		.amdhsa_system_sgpr_private_segment_wavefront_offset 1
		.amdhsa_system_sgpr_workgroup_id_x 1
		.amdhsa_system_sgpr_workgroup_id_y 0
		.amdhsa_system_sgpr_workgroup_id_z 0
		.amdhsa_system_sgpr_workgroup_info 0
		.amdhsa_system_vgpr_workitem_id 0
		.amdhsa_next_free_vgpr 120
		.amdhsa_next_free_sgpr 98
		.amdhsa_accum_offset 120
		.amdhsa_reserve_vcc 1
		.amdhsa_reserve_flat_scratch 1
		.amdhsa_float_round_mode_32 0
		.amdhsa_float_round_mode_16_64 0
		.amdhsa_float_denorm_mode_32 3
		.amdhsa_float_denorm_mode_16_64 3
		.amdhsa_dx10_clamp 1
		.amdhsa_ieee_mode 1
		.amdhsa_fp16_overflow 0
		.amdhsa_tg_split 0
		.amdhsa_exception_fp_ieee_invalid_op 0
		.amdhsa_exception_fp_denorm_src 0
		.amdhsa_exception_fp_ieee_div_zero 0
		.amdhsa_exception_fp_ieee_overflow 0
		.amdhsa_exception_fp_ieee_underflow 0
		.amdhsa_exception_fp_ieee_inexact 0
		.amdhsa_exception_int_div_zero 0
	.end_amdhsa_kernel
	.section	.text._ZN2at6native39vectorized_templated_elementwise_kernelILi2ENS0_13BinaryFunctorIfffZZZNS0_20copysign_kernel_cudaERNS_18TensorIteratorBaseEENKUlvE_clEvENKUlvE0_clEvEUlffE_EESt5arrayIPcLm3EE23TrivialOffsetCalculatorILi2EjESC_ILi1EjENS0_6memory12LoadWithCastILi2EEENSF_13StoreWithCastILi1EEEfJN3c108BFloat16EfEEEviT0_T1_T2_T3_T4_T5_,"axG",@progbits,_ZN2at6native39vectorized_templated_elementwise_kernelILi2ENS0_13BinaryFunctorIfffZZZNS0_20copysign_kernel_cudaERNS_18TensorIteratorBaseEENKUlvE_clEvENKUlvE0_clEvEUlffE_EESt5arrayIPcLm3EE23TrivialOffsetCalculatorILi2EjESC_ILi1EjENS0_6memory12LoadWithCastILi2EEENSF_13StoreWithCastILi1EEEfJN3c108BFloat16EfEEEviT0_T1_T2_T3_T4_T5_,comdat
.Lfunc_end100:
	.size	_ZN2at6native39vectorized_templated_elementwise_kernelILi2ENS0_13BinaryFunctorIfffZZZNS0_20copysign_kernel_cudaERNS_18TensorIteratorBaseEENKUlvE_clEvENKUlvE0_clEvEUlffE_EESt5arrayIPcLm3EE23TrivialOffsetCalculatorILi2EjESC_ILi1EjENS0_6memory12LoadWithCastILi2EEENSF_13StoreWithCastILi1EEEfJN3c108BFloat16EfEEEviT0_T1_T2_T3_T4_T5_, .Lfunc_end100-_ZN2at6native39vectorized_templated_elementwise_kernelILi2ENS0_13BinaryFunctorIfffZZZNS0_20copysign_kernel_cudaERNS_18TensorIteratorBaseEENKUlvE_clEvENKUlvE0_clEvEUlffE_EESt5arrayIPcLm3EE23TrivialOffsetCalculatorILi2EjESC_ILi1EjENS0_6memory12LoadWithCastILi2EEENSF_13StoreWithCastILi1EEEfJN3c108BFloat16EfEEEviT0_T1_T2_T3_T4_T5_
                                        ; -- End function
	.section	.AMDGPU.csdata,"",@progbits
; Kernel info:
; codeLenInByte = 1568
; NumSgprs: 104
; NumVgprs: 120
; NumAgprs: 0
; TotalNumVgprs: 120
; ScratchSize: 288
; MemoryBound: 0
; FloatMode: 240
; IeeeMode: 1
; LDSByteSize: 0 bytes/workgroup (compile time only)
; SGPRBlocks: 12
; VGPRBlocks: 14
; NumSGPRsForWavesPerEU: 104
; NumVGPRsForWavesPerEU: 120
; AccumOffset: 120
; Occupancy: 4
; WaveLimiterHint : 0
; COMPUTE_PGM_RSRC2:SCRATCH_EN: 1
; COMPUTE_PGM_RSRC2:USER_SGPR: 8
; COMPUTE_PGM_RSRC2:TRAP_HANDLER: 0
; COMPUTE_PGM_RSRC2:TGID_X_EN: 1
; COMPUTE_PGM_RSRC2:TGID_Y_EN: 0
; COMPUTE_PGM_RSRC2:TGID_Z_EN: 0
; COMPUTE_PGM_RSRC2:TIDIG_COMP_CNT: 0
; COMPUTE_PGM_RSRC3_GFX90A:ACCUM_OFFSET: 29
; COMPUTE_PGM_RSRC3_GFX90A:TG_SPLIT: 0
	.section	.text._ZN2at6native39vectorized_templated_elementwise_kernelILi8ENS0_13BinaryFunctorIfffZZZNS0_20copysign_kernel_cudaERNS_18TensorIteratorBaseEENKUlvE_clEvENKUlvE0_clEvEUlffE_EESt5arrayIPcLm3EE23TrivialOffsetCalculatorILi2EjESC_ILi1EjENS0_6memory12LoadWithCastILi2EEENSF_13StoreWithCastILi1EEEN3c108BFloat16EJSL_fEEEviT0_T1_T2_T3_T4_T5_,"axG",@progbits,_ZN2at6native39vectorized_templated_elementwise_kernelILi8ENS0_13BinaryFunctorIfffZZZNS0_20copysign_kernel_cudaERNS_18TensorIteratorBaseEENKUlvE_clEvENKUlvE0_clEvEUlffE_EESt5arrayIPcLm3EE23TrivialOffsetCalculatorILi2EjESC_ILi1EjENS0_6memory12LoadWithCastILi2EEENSF_13StoreWithCastILi1EEEN3c108BFloat16EJSL_fEEEviT0_T1_T2_T3_T4_T5_,comdat
	.globl	_ZN2at6native39vectorized_templated_elementwise_kernelILi8ENS0_13BinaryFunctorIfffZZZNS0_20copysign_kernel_cudaERNS_18TensorIteratorBaseEENKUlvE_clEvENKUlvE0_clEvEUlffE_EESt5arrayIPcLm3EE23TrivialOffsetCalculatorILi2EjESC_ILi1EjENS0_6memory12LoadWithCastILi2EEENSF_13StoreWithCastILi1EEEN3c108BFloat16EJSL_fEEEviT0_T1_T2_T3_T4_T5_ ; -- Begin function _ZN2at6native39vectorized_templated_elementwise_kernelILi8ENS0_13BinaryFunctorIfffZZZNS0_20copysign_kernel_cudaERNS_18TensorIteratorBaseEENKUlvE_clEvENKUlvE0_clEvEUlffE_EESt5arrayIPcLm3EE23TrivialOffsetCalculatorILi2EjESC_ILi1EjENS0_6memory12LoadWithCastILi2EEENSF_13StoreWithCastILi1EEEN3c108BFloat16EJSL_fEEEviT0_T1_T2_T3_T4_T5_
	.p2align	8
	.type	_ZN2at6native39vectorized_templated_elementwise_kernelILi8ENS0_13BinaryFunctorIfffZZZNS0_20copysign_kernel_cudaERNS_18TensorIteratorBaseEENKUlvE_clEvENKUlvE0_clEvEUlffE_EESt5arrayIPcLm3EE23TrivialOffsetCalculatorILi2EjESC_ILi1EjENS0_6memory12LoadWithCastILi2EEENSF_13StoreWithCastILi1EEEN3c108BFloat16EJSL_fEEEviT0_T1_T2_T3_T4_T5_,@function
_ZN2at6native39vectorized_templated_elementwise_kernelILi8ENS0_13BinaryFunctorIfffZZZNS0_20copysign_kernel_cudaERNS_18TensorIteratorBaseEENKUlvE_clEvENKUlvE0_clEvEUlffE_EESt5arrayIPcLm3EE23TrivialOffsetCalculatorILi2EjESC_ILi1EjENS0_6memory12LoadWithCastILi2EEENSF_13StoreWithCastILi1EEEN3c108BFloat16EJSL_fEEEviT0_T1_T2_T3_T4_T5_: ; @_ZN2at6native39vectorized_templated_elementwise_kernelILi8ENS0_13BinaryFunctorIfffZZZNS0_20copysign_kernel_cudaERNS_18TensorIteratorBaseEENKUlvE_clEvENKUlvE0_clEvEUlffE_EESt5arrayIPcLm3EE23TrivialOffsetCalculatorILi2EjESC_ILi1EjENS0_6memory12LoadWithCastILi2EEENSF_13StoreWithCastILi1EEEN3c108BFloat16EJSL_fEEEviT0_T1_T2_T3_T4_T5_
; %bb.0:
	s_add_u32 flat_scratch_lo, s6, s9
	s_addc_u32 flat_scratch_hi, s7, 0
	s_add_u32 s0, s0, s9
	s_mov_b32 s12, s8
	s_load_dword s8, s[4:5], 0x38
	s_load_dwordx2 s[6:7], s[4:5], 0x18
	s_load_dword s9, s[4:5], 0x0
	s_load_dwordx4 s[16:19], s[4:5], 0x8
	s_addc_u32 s1, s1, 0
	s_not_b32 s10, s12
	s_waitcnt lgkmcnt(0)
	s_add_i32 s8, s8, s10
	s_lshl_b32 s10, s8, 14
	s_sub_i32 s13, s9, s10
	s_cmpk_gt_i32 s13, 0x3fff
	s_mov_b64 s[8:9], -1
	s_mov_b32 s32, 0
	s_cbranch_scc1 .LBB101_3
; %bb.1:
	s_andn2_b64 vcc, exec, s[8:9]
	s_cbranch_vccz .LBB101_4
.LBB101_2:
	s_endpgm
.LBB101_3:
	s_ashr_i32 s11, s10, 31
	s_lshl_b64 s[8:9], s[10:11], 1
	s_add_u32 s14, s18, s8
	s_addc_u32 s15, s19, s9
	s_lshl_b64 s[10:11], s[10:11], 2
	s_add_u32 s10, s6, s10
	v_lshlrev_b32_e32 v1, 4, v0
	s_addc_u32 s11, s7, s11
	v_lshlrev_b32_e32 v19, 5, v0
	global_load_dwordx4 v[10:13], v1, s[14:15]
	global_load_dwordx4 v[20:23], v19, s[10:11]
	global_load_dwordx4 v[6:9], v19, s[10:11] offset:16
	v_mov_b32_e32 v14, s15
	v_add_co_u32_e32 v34, vcc, s14, v1
	s_movk_i32 s22, 0x2000
	v_addc_co_u32_e32 v35, vcc, 0, v14, vcc
	v_add_co_u32_e32 v14, vcc, s22, v34
	v_addc_co_u32_e32 v15, vcc, 0, v35, vcc
	v_mov_b32_e32 v24, s11
	v_add_co_u32_e32 v19, vcc, s10, v19
	s_movk_i32 s24, 0x4000
	v_addc_co_u32_e32 v28, vcc, 0, v24, vcc
	v_or_b32_e32 v2, 0x400, v0
	v_add_co_u32_e32 v32, vcc, s24, v19
	s_mov_b32 s23, 0xc000
	v_lshlrev_b32_e32 v18, 4, v2
	v_addc_co_u32_e32 v33, vcc, 0, v28, vcc
	v_lshlrev_b32_e32 v36, 5, v2
	global_load_dwordx4 v[2:5], v18, s[14:15]
	global_load_dwordx4 v[24:27], v[14:15], off
	v_add_co_u32_e32 v14, vcc, s23, v19
	v_addc_co_u32_e32 v15, vcc, 0, v28, vcc
	global_load_dwordx4 v[28:31], v[32:33], off
	s_add_u32 s8, s16, s8
	s_addc_u32 s9, s17, s9
	v_mov_b32_e32 v19, s9
	v_add_co_u32_e32 v37, vcc, s8, v1
	s_movk_i32 s20, 0x7fff
	v_addc_co_u32_e32 v19, vcc, 0, v19, vcc
	v_mov_b32_e32 v16, 0x7fc00000
	s_brev_b32 s21, -2
	v_mov_b32_e32 v17, 0x7fc0
	s_movk_i32 s14, 0x6000
	s_waitcnt vmcnt(5)
	v_lshlrev_b32_e32 v38, 16, v10
	s_waitcnt vmcnt(4)
	v_bfe_u32 v40, v20, 16, 1
	v_bfe_u32 v41, v21, 16, 1
	v_add3_u32 v40, v20, v40, s20
	v_cmp_o_f32_e32 vcc, v20, v20
	v_bfe_u32 v42, v22, 16, 1
	v_add3_u32 v41, v21, v41, s20
	v_cndmask_b32_e32 v20, v16, v40, vcc
	v_cmp_o_f32_e32 vcc, v21, v21
	v_bfe_u32 v43, v23, 16, 1
	v_add3_u32 v42, v22, v42, s20
	v_cndmask_b32_e32 v21, v16, v41, vcc
	v_cmp_o_f32_e32 vcc, v22, v22
	v_and_b32_e32 v10, 0xffff0000, v10
	v_add3_u32 v43, v23, v43, s20
	v_cndmask_b32_e32 v22, v16, v42, vcc
	v_cmp_o_f32_e32 vcc, v23, v23
	v_bfi_b32 v20, s21, v38, v20
	v_lshlrev_b32_e32 v39, 16, v11
	v_and_b32_e32 v11, 0xffff0000, v11
	v_cndmask_b32_e32 v23, v16, v43, vcc
	v_bfi_b32 v10, s21, v10, v21
	v_bfe_u32 v21, v20, 16, 1
	v_bfi_b32 v11, s21, v11, v23
	v_bfi_b32 v22, s21, v39, v22
	v_bfe_u32 v23, v10, 16, 1
	v_add3_u32 v21, v20, v21, s20
	v_bfe_u32 v38, v22, 16, 1
	v_add3_u32 v23, v10, v23, s20
	v_lshrrev_b32_e32 v21, 16, v21
	v_cmp_o_f32_e32 vcc, v20, v20
	v_bfe_u32 v39, v11, 16, 1
	v_add3_u32 v38, v22, v38, s20
	v_lshrrev_b32_e32 v23, 16, v23
	v_cndmask_b32_e32 v40, v17, v21, vcc
	v_cmp_o_f32_e32 vcc, v10, v10
	v_add3_u32 v39, v11, v39, s20
	v_lshrrev_b32_e32 v38, 16, v38
	v_cndmask_b32_e32 v41, v17, v23, vcc
	v_cmp_o_f32_e32 vcc, v22, v22
	v_lshrrev_b32_e32 v39, 16, v39
	v_cndmask_b32_e32 v38, v17, v38, vcc
	v_cmp_o_f32_e32 vcc, v11, v11
	s_waitcnt vmcnt(3)
	v_bfe_u32 v20, v6, 16, 1
	v_cndmask_b32_e32 v39, v17, v39, vcc
	v_bfe_u32 v21, v7, 16, 1
	v_add3_u32 v20, v6, v20, s20
	v_cmp_o_f32_e32 vcc, v6, v6
	v_bfe_u32 v22, v8, 16, 1
	v_add3_u32 v21, v7, v21, s20
	v_cndmask_b32_e32 v20, v16, v20, vcc
	v_cmp_o_f32_e32 vcc, v7, v7
	v_bfe_u32 v23, v9, 16, 1
	v_add3_u32 v22, v8, v22, s20
	v_cndmask_b32_e32 v21, v16, v21, vcc
	v_cmp_o_f32_e32 vcc, v8, v8
	v_add3_u32 v23, v9, v23, s20
	v_cndmask_b32_e32 v22, v16, v22, vcc
	v_cmp_o_f32_e32 vcc, v9, v9
	v_lshlrev_b32_e32 v10, 16, v12
	v_and_b32_e32 v11, 0xffff0000, v12
	v_lshlrev_b32_e32 v12, 16, v13
	v_and_b32_e32 v13, 0xffff0000, v13
	v_cndmask_b32_e32 v6, v16, v23, vcc
	v_bfi_b32 v13, s21, v13, v6
	global_load_dwordx4 v[6:9], v[32:33], off offset:16
	v_bfi_b32 v10, s21, v10, v20
	v_bfi_b32 v11, s21, v11, v21
	v_bfe_u32 v20, v10, 16, 1
	v_bfi_b32 v12, s21, v12, v22
	v_bfe_u32 v21, v11, 16, 1
	v_add3_u32 v20, v10, v20, s20
	v_bfe_u32 v22, v12, 16, 1
	v_add3_u32 v21, v11, v21, s20
	v_lshrrev_b32_e32 v20, 16, v20
	v_cmp_o_f32_e32 vcc, v10, v10
	v_bfe_u32 v23, v13, 16, 1
	v_add3_u32 v22, v12, v22, s20
	v_lshrrev_b32_e32 v21, 16, v21
	v_cndmask_b32_e32 v42, v17, v20, vcc
	v_cmp_o_f32_e32 vcc, v11, v11
	v_add3_u32 v23, v13, v23, s20
	v_lshrrev_b32_e32 v22, 16, v22
	v_cndmask_b32_e32 v43, v17, v21, vcc
	v_cmp_o_f32_e32 vcc, v12, v12
	v_lshrrev_b32_e32 v23, 16, v23
	v_cndmask_b32_e32 v44, v17, v22, vcc
	v_cmp_o_f32_e32 vcc, v13, v13
	v_cndmask_b32_e32 v45, v17, v23, vcc
	v_add_co_u32_e32 v10, vcc, s14, v34
	v_addc_co_u32_e32 v11, vcc, 0, v35, vcc
	s_waitcnt vmcnt(1)
	v_bfe_u32 v20, v28, 16, 1
	v_bfe_u32 v21, v29, 16, 1
	v_bfe_u32 v22, v30, 16, 1
	v_bfe_u32 v23, v31, 16, 1
	global_load_dwordx4 v[10:13], v[10:11], off
	v_add3_u32 v48, v31, v23, s20
	v_add3_u32 v49, v30, v22, s20
	;; [unrolled: 1-line block ×4, first 2 shown]
	global_load_dwordx4 v[20:23], v36, s[10:11] offset:16
	global_load_dwordx4 v[32:35], v36, s[10:11]
	v_cmp_o_f32_e32 vcc, v28, v28
	v_cndmask_b32_e32 v28, v16, v51, vcc
	v_cmp_o_f32_e32 vcc, v29, v29
	v_lshlrev_b32_e32 v46, 16, v24
	v_cndmask_b32_e32 v29, v16, v50, vcc
	v_cmp_o_f32_e32 vcc, v30, v30
	v_and_b32_e32 v24, 0xffff0000, v24
	v_cndmask_b32_e32 v30, v16, v49, vcc
	v_cmp_o_f32_e32 vcc, v31, v31
	v_bfi_b32 v28, s21, v46, v28
	v_lshlrev_b32_e32 v47, 16, v25
	v_and_b32_e32 v25, 0xffff0000, v25
	v_cndmask_b32_e32 v31, v16, v48, vcc
	v_bfi_b32 v24, s21, v24, v29
	v_bfe_u32 v29, v28, 16, 1
	v_bfi_b32 v25, s21, v25, v31
	v_bfi_b32 v30, s21, v47, v30
	v_bfe_u32 v31, v24, 16, 1
	v_add3_u32 v29, v28, v29, s20
	v_bfe_u32 v36, v30, 16, 1
	v_add3_u32 v31, v24, v31, s20
	v_lshrrev_b32_e32 v29, 16, v29
	v_cmp_o_f32_e32 vcc, v28, v28
	v_bfe_u32 v46, v25, 16, 1
	v_add3_u32 v36, v30, v36, s20
	v_lshrrev_b32_e32 v31, 16, v31
	v_cndmask_b32_e32 v28, v17, v29, vcc
	v_cmp_o_f32_e32 vcc, v24, v24
	v_add3_u32 v46, v25, v46, s20
	v_lshrrev_b32_e32 v36, 16, v36
	v_cndmask_b32_e32 v24, v17, v31, vcc
	v_cmp_o_f32_e32 vcc, v30, v30
	v_lshrrev_b32_e32 v46, 16, v46
	v_cndmask_b32_e32 v29, v17, v36, vcc
	v_cmp_o_f32_e32 vcc, v25, v25
	v_cndmask_b32_e32 v25, v17, v46, vcc
	v_and_b32_e32 v30, 0xffff0000, v26
	v_lshlrev_b32_e32 v26, 16, v26
	v_and_b32_e32 v31, 0xffff0000, v27
	v_lshlrev_b32_e32 v27, 16, v27
	s_mov_b32 s10, 0x5040100
	s_waitcnt vmcnt(3)
	v_bfe_u32 v36, v7, 16, 1
	v_bfe_u32 v46, v6, 16, 1
	v_add3_u32 v36, v7, v36, s20
	v_cmp_o_f32_e32 vcc, v7, v7
	v_bfe_u32 v47, v9, 16, 1
	v_add3_u32 v46, v6, v46, s20
	v_cndmask_b32_e32 v7, v16, v36, vcc
	v_cmp_o_f32_e32 vcc, v6, v6
	v_bfe_u32 v48, v8, 16, 1
	v_add3_u32 v47, v9, v47, s20
	v_cndmask_b32_e32 v6, v16, v46, vcc
	v_cmp_o_f32_e32 vcc, v9, v9
	v_add3_u32 v48, v8, v48, s20
	v_cndmask_b32_e32 v9, v16, v47, vcc
	v_cmp_o_f32_e32 vcc, v8, v8
	v_bfi_b32 v7, s21, v30, v7
	v_cndmask_b32_e32 v8, v16, v48, vcc
	v_bfi_b32 v6, s21, v26, v6
	v_bfe_u32 v26, v7, 16, 1
	v_bfi_b32 v8, s21, v27, v8
	v_bfi_b32 v9, s21, v31, v9
	v_bfe_u32 v27, v6, 16, 1
	v_add3_u32 v26, v7, v26, s20
	v_bfe_u32 v30, v9, 16, 1
	v_add3_u32 v27, v6, v27, s20
	v_lshrrev_b32_e32 v26, 16, v26
	v_cmp_o_f32_e32 vcc, v7, v7
	v_bfe_u32 v31, v8, 16, 1
	v_add3_u32 v30, v9, v30, s20
	v_lshrrev_b32_e32 v27, 16, v27
	v_cndmask_b32_e32 v26, v17, v26, vcc
	v_cmp_o_f32_e32 vcc, v6, v6
	v_add3_u32 v31, v8, v31, s20
	v_lshrrev_b32_e32 v30, 16, v30
	v_cndmask_b32_e32 v27, v17, v27, vcc
	v_cmp_o_f32_e32 vcc, v9, v9
	v_lshrrev_b32_e32 v31, 16, v31
	v_cndmask_b32_e32 v30, v17, v30, vcc
	v_cmp_o_f32_e32 vcc, v8, v8
	s_waitcnt vmcnt(0)
	v_bfe_u32 v6, v32, 16, 1
	v_cndmask_b32_e32 v31, v17, v31, vcc
	v_bfe_u32 v7, v33, 16, 1
	v_bfe_u32 v8, v34, 16, 1
	;; [unrolled: 1-line block ×3, first 2 shown]
	v_add3_u32 v6, v32, v6, s20
	v_cmp_o_f32_e32 vcc, v32, v32
	v_add3_u32 v47, v35, v9, s20
	v_add3_u32 v48, v34, v8, s20
	v_add3_u32 v49, v33, v7, s20
	v_cndmask_b32_e32 v32, v16, v6, vcc
	global_load_dwordx4 v[6:9], v[14:15], off
	v_cmp_o_f32_e32 vcc, v33, v33
	v_lshlrev_b32_e32 v36, 16, v2
	v_cndmask_b32_e32 v33, v16, v49, vcc
	v_cmp_o_f32_e32 vcc, v34, v34
	v_and_b32_e32 v2, 0xffff0000, v2
	v_cndmask_b32_e32 v34, v16, v48, vcc
	v_cmp_o_f32_e32 vcc, v35, v35
	v_bfi_b32 v32, s21, v36, v32
	v_lshlrev_b32_e32 v46, 16, v3
	v_and_b32_e32 v3, 0xffff0000, v3
	v_cndmask_b32_e32 v35, v16, v47, vcc
	v_bfi_b32 v2, s21, v2, v33
	v_bfe_u32 v33, v32, 16, 1
	v_bfi_b32 v3, s21, v3, v35
	v_bfi_b32 v34, s21, v46, v34
	v_bfe_u32 v35, v2, 16, 1
	v_add3_u32 v33, v32, v33, s20
	v_bfe_u32 v36, v34, 16, 1
	v_add3_u32 v35, v2, v35, s20
	v_lshrrev_b32_e32 v33, 16, v33
	v_cmp_o_f32_e32 vcc, v32, v32
	v_bfe_u32 v46, v3, 16, 1
	v_add3_u32 v36, v34, v36, s20
	v_lshrrev_b32_e32 v35, 16, v35
	v_cndmask_b32_e32 v32, v17, v33, vcc
	v_cmp_o_f32_e32 vcc, v2, v2
	v_add3_u32 v46, v3, v46, s20
	v_lshrrev_b32_e32 v36, 16, v36
	v_cndmask_b32_e32 v33, v17, v35, vcc
	v_cmp_o_f32_e32 vcc, v34, v34
	v_lshrrev_b32_e32 v46, 16, v46
	v_cndmask_b32_e32 v34, v17, v36, vcc
	v_cmp_o_f32_e32 vcc, v3, v3
	v_cndmask_b32_e32 v35, v17, v46, vcc
	v_lshlrev_b32_e32 v36, 16, v4
	v_and_b32_e32 v46, 0xffff0000, v4
	v_lshlrev_b32_e32 v47, 16, v5
	v_and_b32_e32 v48, 0xffff0000, v5
	v_bfe_u32 v2, v20, 16, 1
	v_bfe_u32 v3, v21, 16, 1
	;; [unrolled: 1-line block ×4, first 2 shown]
	v_add3_u32 v49, v23, v5, s20
	v_add3_u32 v50, v22, v4, s20
	;; [unrolled: 1-line block ×4, first 2 shown]
	global_load_dwordx4 v[2:5], v[14:15], off offset:16
	v_cmp_o_f32_e32 vcc, v20, v20
	v_cndmask_b32_e32 v14, v16, v52, vcc
	v_cmp_o_f32_e32 vcc, v21, v21
	v_cndmask_b32_e32 v15, v16, v51, vcc
	v_cmp_o_f32_e32 vcc, v22, v22
	v_bfi_b32 v14, s21, v36, v14
	v_cndmask_b32_e32 v20, v16, v50, vcc
	v_cmp_o_f32_e32 vcc, v23, v23
	v_bfi_b32 v15, s21, v46, v15
	v_bfe_u32 v22, v14, 16, 1
	v_cndmask_b32_e32 v21, v16, v49, vcc
	v_bfi_b32 v20, s21, v47, v20
	v_bfe_u32 v23, v15, 16, 1
	v_add3_u32 v22, v14, v22, s20
	v_bfi_b32 v21, s21, v48, v21
	v_bfe_u32 v36, v20, 16, 1
	v_add3_u32 v23, v15, v23, s20
	v_lshrrev_b32_e32 v22, 16, v22
	v_cmp_o_f32_e32 vcc, v14, v14
	v_bfe_u32 v46, v21, 16, 1
	v_add3_u32 v36, v20, v36, s20
	v_lshrrev_b32_e32 v23, 16, v23
	v_cndmask_b32_e32 v14, v17, v22, vcc
	v_cmp_o_f32_e32 vcc, v15, v15
	v_add3_u32 v46, v21, v46, s20
	v_lshrrev_b32_e32 v36, 16, v36
	v_cndmask_b32_e32 v15, v17, v23, vcc
	v_cmp_o_f32_e32 vcc, v20, v20
	v_lshrrev_b32_e32 v46, 16, v46
	v_cndmask_b32_e32 v20, v17, v36, vcc
	v_cmp_o_f32_e32 vcc, v21, v21
	v_cndmask_b32_e32 v21, v17, v46, vcc
	s_waitcnt vmcnt(1)
	v_bfe_u32 v36, v6, 16, 1
	v_bfe_u32 v46, v7, 16, 1
	v_add3_u32 v36, v6, v36, s20
	v_cmp_o_f32_e32 vcc, v6, v6
	v_bfe_u32 v47, v8, 16, 1
	v_add3_u32 v46, v7, v46, s20
	v_cndmask_b32_e32 v6, v16, v36, vcc
	v_cmp_o_f32_e32 vcc, v7, v7
	v_lshlrev_b32_e32 v22, 16, v10
	v_bfe_u32 v48, v9, 16, 1
	v_add3_u32 v47, v8, v47, s20
	v_cndmask_b32_e32 v7, v16, v46, vcc
	v_cmp_o_f32_e32 vcc, v8, v8
	v_and_b32_e32 v10, 0xffff0000, v10
	v_add3_u32 v48, v9, v48, s20
	v_cndmask_b32_e32 v8, v16, v47, vcc
	v_cmp_o_f32_e32 vcc, v9, v9
	v_bfi_b32 v6, s21, v22, v6
	v_lshlrev_b32_e32 v23, 16, v11
	v_and_b32_e32 v11, 0xffff0000, v11
	v_cndmask_b32_e32 v9, v16, v48, vcc
	v_bfi_b32 v7, s21, v10, v7
	v_bfe_u32 v10, v6, 16, 1
	v_bfi_b32 v9, s21, v11, v9
	v_bfi_b32 v8, s21, v23, v8
	v_bfe_u32 v11, v7, 16, 1
	v_add3_u32 v10, v6, v10, s20
	v_bfe_u32 v22, v8, 16, 1
	v_add3_u32 v11, v7, v11, s20
	v_lshrrev_b32_e32 v10, 16, v10
	v_cmp_o_f32_e32 vcc, v6, v6
	v_bfe_u32 v23, v9, 16, 1
	v_add3_u32 v22, v8, v22, s20
	v_lshrrev_b32_e32 v11, 16, v11
	v_cndmask_b32_e32 v10, v17, v10, vcc
	v_cmp_o_f32_e32 vcc, v7, v7
	v_add3_u32 v23, v9, v23, s20
	v_lshrrev_b32_e32 v22, 16, v22
	v_cndmask_b32_e32 v11, v17, v11, vcc
	v_cmp_o_f32_e32 vcc, v8, v8
	v_lshrrev_b32_e32 v23, 16, v23
	v_cndmask_b32_e32 v8, v17, v22, vcc
	v_cmp_o_f32_e32 vcc, v9, v9
	v_cndmask_b32_e32 v9, v17, v23, vcc
	v_and_b32_e32 v6, 0xffff0000, v12
	v_lshlrev_b32_e32 v7, 16, v12
	v_and_b32_e32 v12, 0xffff0000, v13
	s_waitcnt vmcnt(0)
	v_bfe_u32 v22, v3, 16, 1
	v_bfe_u32 v23, v2, 16, 1
	v_add3_u32 v22, v3, v22, s20
	v_cmp_o_f32_e32 vcc, v3, v3
	v_bfe_u32 v36, v5, 16, 1
	v_add3_u32 v23, v2, v23, s20
	v_cndmask_b32_e32 v3, v16, v22, vcc
	v_cmp_o_f32_e32 vcc, v2, v2
	v_bfe_u32 v46, v4, 16, 1
	v_add3_u32 v36, v5, v36, s20
	v_cndmask_b32_e32 v2, v16, v23, vcc
	v_cmp_o_f32_e32 vcc, v5, v5
	v_bfi_b32 v3, s21, v6, v3
	v_add3_u32 v46, v4, v46, s20
	v_cndmask_b32_e32 v5, v16, v36, vcc
	v_cmp_o_f32_e32 vcc, v4, v4
	v_bfi_b32 v2, s21, v7, v2
	v_bfe_u32 v6, v3, 16, 1
	v_lshlrev_b32_e32 v13, 16, v13
	v_cndmask_b32_e32 v4, v16, v46, vcc
	v_bfi_b32 v5, s21, v12, v5
	v_bfe_u32 v7, v2, 16, 1
	v_add3_u32 v6, v3, v6, s20
	v_bfi_b32 v4, s21, v13, v4
	v_bfe_u32 v12, v5, 16, 1
	v_add3_u32 v7, v2, v7, s20
	v_lshrrev_b32_e32 v6, 16, v6
	v_cmp_o_f32_e32 vcc, v3, v3
	v_bfe_u32 v13, v4, 16, 1
	v_add3_u32 v12, v5, v12, s20
	v_lshrrev_b32_e32 v7, 16, v7
	v_cndmask_b32_e32 v16, v17, v6, vcc
	v_cmp_o_f32_e32 vcc, v2, v2
	v_add3_u32 v13, v4, v13, s20
	v_lshrrev_b32_e32 v12, 16, v12
	v_cndmask_b32_e32 v22, v17, v7, vcc
	v_cmp_o_f32_e32 vcc, v5, v5
	v_lshrrev_b32_e32 v13, 16, v13
	v_cndmask_b32_e32 v12, v17, v12, vcc
	v_cmp_o_f32_e32 vcc, v4, v4
	v_cndmask_b32_e32 v13, v17, v13, vcc
	v_perm_b32 v5, v45, v44, s10
	v_perm_b32 v4, v43, v42, s10
	;; [unrolled: 1-line block ×4, first 2 shown]
	v_add_co_u32_e32 v6, vcc, s22, v37
	global_store_dwordx4 v1, v[2:5], s[8:9]
	v_addc_co_u32_e32 v7, vcc, 0, v19, vcc
	v_perm_b32 v5, v30, v31, s10
	v_perm_b32 v4, v26, v27, s10
	;; [unrolled: 1-line block ×4, first 2 shown]
	global_store_dwordx4 v[6:7], v[2:5], off
	v_add_co_u32_e32 v6, vcc, 0x6000, v37
	v_perm_b32 v5, v21, v20, s10
	v_perm_b32 v4, v15, v14, s10
	;; [unrolled: 1-line block ×4, first 2 shown]
	global_store_dwordx4 v18, v[2:5], s[8:9]
	v_addc_co_u32_e32 v7, vcc, 0, v19, vcc
	v_perm_b32 v5, v12, v13, s10
	v_perm_b32 v4, v16, v22, s10
	;; [unrolled: 1-line block ×4, first 2 shown]
	global_store_dwordx4 v[6:7], v[2:5], off
	s_cbranch_execnz .LBB101_2
.LBB101_4:
	s_load_dword s10, s[4:5], 0x24
	s_load_dwordx4 s[20:23], s[4:5], 0x28
	s_add_u32 s8, s4, 56
	s_addc_u32 s9, s5, 0
	v_mov_b32_e32 v31, v0
	s_waitcnt lgkmcnt(0)
	v_lshrrev_b16_e64 v8, 8, s10
	v_mov_b32_e32 v0, s16
	v_mov_b32_e32 v1, s17
	;; [unrolled: 1-line block ×12, first 2 shown]
	s_getpc_b64 s[4:5]
	s_add_u32 s4, s4, _ZN2at6native25elementwise_kernel_helperILb1ENS0_13BinaryFunctorIfffZZZNS0_20copysign_kernel_cudaERNS_18TensorIteratorBaseEENKUlvE_clEvENKUlvE0_clEvEUlffE_EENS0_6memory8policies11unroll_baseILi512ESt5arrayIPcLm3EE23TrivialOffsetCalculatorILi2EjESF_ILi1EjENS9_12LoadWithCastILi2EEENS9_13StoreWithCastILi1EEELi32ELi1EEEEEvT0_T1_@rel32@lo+4
	s_addc_u32 s5, s5, _ZN2at6native25elementwise_kernel_helperILb1ENS0_13BinaryFunctorIfffZZZNS0_20copysign_kernel_cudaERNS_18TensorIteratorBaseEENKUlvE_clEvENKUlvE0_clEvEUlffE_EENS0_6memory8policies11unroll_baseILi512ESt5arrayIPcLm3EE23TrivialOffsetCalculatorILi2EjESF_ILi1EjENS9_12LoadWithCastILi2EEENS9_13StoreWithCastILi1EEELi32ELi1EEEEEvT0_T1_@rel32@hi+12
	s_swappc_b64 s[30:31], s[4:5]
	s_endpgm
	.section	.rodata,"a",@progbits
	.p2align	6, 0x0
	.amdhsa_kernel _ZN2at6native39vectorized_templated_elementwise_kernelILi8ENS0_13BinaryFunctorIfffZZZNS0_20copysign_kernel_cudaERNS_18TensorIteratorBaseEENKUlvE_clEvENKUlvE0_clEvEUlffE_EESt5arrayIPcLm3EE23TrivialOffsetCalculatorILi2EjESC_ILi1EjENS0_6memory12LoadWithCastILi2EEENSF_13StoreWithCastILi1EEEN3c108BFloat16EJSL_fEEEviT0_T1_T2_T3_T4_T5_
		.amdhsa_group_segment_fixed_size 0
		.amdhsa_private_segment_fixed_size 288
		.amdhsa_kernarg_size 312
		.amdhsa_user_sgpr_count 8
		.amdhsa_user_sgpr_private_segment_buffer 1
		.amdhsa_user_sgpr_dispatch_ptr 0
		.amdhsa_user_sgpr_queue_ptr 0
		.amdhsa_user_sgpr_kernarg_segment_ptr 1
		.amdhsa_user_sgpr_dispatch_id 0
		.amdhsa_user_sgpr_flat_scratch_init 1
		.amdhsa_user_sgpr_kernarg_preload_length 0
		.amdhsa_user_sgpr_kernarg_preload_offset 0
		.amdhsa_user_sgpr_private_segment_size 0
		.amdhsa_uses_dynamic_stack 0
		.amdhsa_system_sgpr_private_segment_wavefront_offset 1
		.amdhsa_system_sgpr_workgroup_id_x 1
		.amdhsa_system_sgpr_workgroup_id_y 0
		.amdhsa_system_sgpr_workgroup_id_z 0
		.amdhsa_system_sgpr_workgroup_info 0
		.amdhsa_system_vgpr_workitem_id 0
		.amdhsa_next_free_vgpr 120
		.amdhsa_next_free_sgpr 98
		.amdhsa_accum_offset 120
		.amdhsa_reserve_vcc 1
		.amdhsa_reserve_flat_scratch 1
		.amdhsa_float_round_mode_32 0
		.amdhsa_float_round_mode_16_64 0
		.amdhsa_float_denorm_mode_32 3
		.amdhsa_float_denorm_mode_16_64 3
		.amdhsa_dx10_clamp 1
		.amdhsa_ieee_mode 1
		.amdhsa_fp16_overflow 0
		.amdhsa_tg_split 0
		.amdhsa_exception_fp_ieee_invalid_op 0
		.amdhsa_exception_fp_denorm_src 0
		.amdhsa_exception_fp_ieee_div_zero 0
		.amdhsa_exception_fp_ieee_overflow 0
		.amdhsa_exception_fp_ieee_underflow 0
		.amdhsa_exception_fp_ieee_inexact 0
		.amdhsa_exception_int_div_zero 0
	.end_amdhsa_kernel
	.section	.text._ZN2at6native39vectorized_templated_elementwise_kernelILi8ENS0_13BinaryFunctorIfffZZZNS0_20copysign_kernel_cudaERNS_18TensorIteratorBaseEENKUlvE_clEvENKUlvE0_clEvEUlffE_EESt5arrayIPcLm3EE23TrivialOffsetCalculatorILi2EjESC_ILi1EjENS0_6memory12LoadWithCastILi2EEENSF_13StoreWithCastILi1EEEN3c108BFloat16EJSL_fEEEviT0_T1_T2_T3_T4_T5_,"axG",@progbits,_ZN2at6native39vectorized_templated_elementwise_kernelILi8ENS0_13BinaryFunctorIfffZZZNS0_20copysign_kernel_cudaERNS_18TensorIteratorBaseEENKUlvE_clEvENKUlvE0_clEvEUlffE_EESt5arrayIPcLm3EE23TrivialOffsetCalculatorILi2EjESC_ILi1EjENS0_6memory12LoadWithCastILi2EEENSF_13StoreWithCastILi1EEEN3c108BFloat16EJSL_fEEEviT0_T1_T2_T3_T4_T5_,comdat
.Lfunc_end101:
	.size	_ZN2at6native39vectorized_templated_elementwise_kernelILi8ENS0_13BinaryFunctorIfffZZZNS0_20copysign_kernel_cudaERNS_18TensorIteratorBaseEENKUlvE_clEvENKUlvE0_clEvEUlffE_EESt5arrayIPcLm3EE23TrivialOffsetCalculatorILi2EjESC_ILi1EjENS0_6memory12LoadWithCastILi2EEENSF_13StoreWithCastILi1EEEN3c108BFloat16EJSL_fEEEviT0_T1_T2_T3_T4_T5_, .Lfunc_end101-_ZN2at6native39vectorized_templated_elementwise_kernelILi8ENS0_13BinaryFunctorIfffZZZNS0_20copysign_kernel_cudaERNS_18TensorIteratorBaseEENKUlvE_clEvENKUlvE0_clEvEUlffE_EESt5arrayIPcLm3EE23TrivialOffsetCalculatorILi2EjESC_ILi1EjENS0_6memory12LoadWithCastILi2EEENSF_13StoreWithCastILi1EEEN3c108BFloat16EJSL_fEEEviT0_T1_T2_T3_T4_T5_
                                        ; -- End function
	.section	.AMDGPU.csdata,"",@progbits
; Kernel info:
; codeLenInByte = 2820
; NumSgprs: 104
; NumVgprs: 120
; NumAgprs: 0
; TotalNumVgprs: 120
; ScratchSize: 288
; MemoryBound: 0
; FloatMode: 240
; IeeeMode: 1
; LDSByteSize: 0 bytes/workgroup (compile time only)
; SGPRBlocks: 12
; VGPRBlocks: 14
; NumSGPRsForWavesPerEU: 104
; NumVGPRsForWavesPerEU: 120
; AccumOffset: 120
; Occupancy: 4
; WaveLimiterHint : 0
; COMPUTE_PGM_RSRC2:SCRATCH_EN: 1
; COMPUTE_PGM_RSRC2:USER_SGPR: 8
; COMPUTE_PGM_RSRC2:TRAP_HANDLER: 0
; COMPUTE_PGM_RSRC2:TGID_X_EN: 1
; COMPUTE_PGM_RSRC2:TGID_Y_EN: 0
; COMPUTE_PGM_RSRC2:TGID_Z_EN: 0
; COMPUTE_PGM_RSRC2:TIDIG_COMP_CNT: 0
; COMPUTE_PGM_RSRC3_GFX90A:ACCUM_OFFSET: 29
; COMPUTE_PGM_RSRC3_GFX90A:TG_SPLIT: 0
	.section	.text._ZN2at6native39vectorized_templated_elementwise_kernelILi4ENS0_13BinaryFunctorIfffZZZNS0_20copysign_kernel_cudaERNS_18TensorIteratorBaseEENKUlvE_clEvENKUlvE0_clEvEUlffE_EESt5arrayIPcLm3EE23TrivialOffsetCalculatorILi2EjESC_ILi1EjENS0_6memory12LoadWithCastILi2EEENSF_13StoreWithCastILi1EEEN3c108BFloat16EJSL_fEEEviT0_T1_T2_T3_T4_T5_,"axG",@progbits,_ZN2at6native39vectorized_templated_elementwise_kernelILi4ENS0_13BinaryFunctorIfffZZZNS0_20copysign_kernel_cudaERNS_18TensorIteratorBaseEENKUlvE_clEvENKUlvE0_clEvEUlffE_EESt5arrayIPcLm3EE23TrivialOffsetCalculatorILi2EjESC_ILi1EjENS0_6memory12LoadWithCastILi2EEENSF_13StoreWithCastILi1EEEN3c108BFloat16EJSL_fEEEviT0_T1_T2_T3_T4_T5_,comdat
	.globl	_ZN2at6native39vectorized_templated_elementwise_kernelILi4ENS0_13BinaryFunctorIfffZZZNS0_20copysign_kernel_cudaERNS_18TensorIteratorBaseEENKUlvE_clEvENKUlvE0_clEvEUlffE_EESt5arrayIPcLm3EE23TrivialOffsetCalculatorILi2EjESC_ILi1EjENS0_6memory12LoadWithCastILi2EEENSF_13StoreWithCastILi1EEEN3c108BFloat16EJSL_fEEEviT0_T1_T2_T3_T4_T5_ ; -- Begin function _ZN2at6native39vectorized_templated_elementwise_kernelILi4ENS0_13BinaryFunctorIfffZZZNS0_20copysign_kernel_cudaERNS_18TensorIteratorBaseEENKUlvE_clEvENKUlvE0_clEvEUlffE_EESt5arrayIPcLm3EE23TrivialOffsetCalculatorILi2EjESC_ILi1EjENS0_6memory12LoadWithCastILi2EEENSF_13StoreWithCastILi1EEEN3c108BFloat16EJSL_fEEEviT0_T1_T2_T3_T4_T5_
	.p2align	8
	.type	_ZN2at6native39vectorized_templated_elementwise_kernelILi4ENS0_13BinaryFunctorIfffZZZNS0_20copysign_kernel_cudaERNS_18TensorIteratorBaseEENKUlvE_clEvENKUlvE0_clEvEUlffE_EESt5arrayIPcLm3EE23TrivialOffsetCalculatorILi2EjESC_ILi1EjENS0_6memory12LoadWithCastILi2EEENSF_13StoreWithCastILi1EEEN3c108BFloat16EJSL_fEEEviT0_T1_T2_T3_T4_T5_,@function
_ZN2at6native39vectorized_templated_elementwise_kernelILi4ENS0_13BinaryFunctorIfffZZZNS0_20copysign_kernel_cudaERNS_18TensorIteratorBaseEENKUlvE_clEvENKUlvE0_clEvEUlffE_EESt5arrayIPcLm3EE23TrivialOffsetCalculatorILi2EjESC_ILi1EjENS0_6memory12LoadWithCastILi2EEENSF_13StoreWithCastILi1EEEN3c108BFloat16EJSL_fEEEviT0_T1_T2_T3_T4_T5_: ; @_ZN2at6native39vectorized_templated_elementwise_kernelILi4ENS0_13BinaryFunctorIfffZZZNS0_20copysign_kernel_cudaERNS_18TensorIteratorBaseEENKUlvE_clEvENKUlvE0_clEvEUlffE_EESt5arrayIPcLm3EE23TrivialOffsetCalculatorILi2EjESC_ILi1EjENS0_6memory12LoadWithCastILi2EEENSF_13StoreWithCastILi1EEEN3c108BFloat16EJSL_fEEEviT0_T1_T2_T3_T4_T5_
; %bb.0:
	s_add_u32 flat_scratch_lo, s6, s9
	s_addc_u32 flat_scratch_hi, s7, 0
	s_add_u32 s0, s0, s9
	s_load_dword s6, s[4:5], 0x38
	s_load_dwordx2 s[54:55], s[4:5], 0x18
	s_load_dword s7, s[4:5], 0x0
	s_load_dwordx4 s[56:59], s[4:5], 0x8
	s_addc_u32 s1, s1, 0
	s_mov_b32 s33, s8
	s_not_b32 s8, s8
	s_waitcnt lgkmcnt(0)
	s_add_i32 s6, s6, s8
	s_lshl_b32 s8, s6, 14
	s_sub_i32 s64, s7, s8
	s_cmpk_gt_i32 s64, 0x3fff
	s_mov_b64 s[6:7], -1
	s_mov_b32 s32, 0
	s_cbranch_scc1 .LBB102_3
; %bb.1:
	s_andn2_b64 vcc, exec, s[6:7]
	s_cbranch_vccz .LBB102_4
.LBB102_2:
	s_endpgm
.LBB102_3:
	s_ashr_i32 s9, s8, 31
	s_lshl_b64 s[60:61], s[8:9], 1
	s_add_u32 s6, s58, s60
	s_addc_u32 s7, s59, s61
	v_lshlrev_b32_e32 v22, 3, v0
	v_mov_b32_e32 v1, s7
	v_add_co_u32_e32 v23, vcc, s6, v22
	v_addc_co_u32_e32 v42, vcc, 0, v1, vcc
	s_movk_i32 s66, 0x1000
	s_lshl_b64 s[8:9], s[8:9], 2
	s_add_u32 s62, s54, s8
	v_add_co_u32_e32 v6, vcc, s66, v23
	s_addc_u32 s63, s55, s9
	v_lshlrev_b32_e32 v1, 4, v0
	v_addc_co_u32_e32 v7, vcc, 0, v42, vcc
	global_load_dwordx2 v[18:19], v22, s[6:7]
	global_load_dwordx2 v[20:21], v[6:7], off
	global_load_dwordx4 v[2:5], v1, s[62:63]
	v_mov_b32_e32 v6, s63
	v_add_co_u32_e32 v40, vcc, s62, v1
	v_addc_co_u32_e32 v41, vcc, 0, v6, vcc
	s_movk_i32 s8, 0x2000
	v_add_co_u32_e32 v6, vcc, s8, v40
	v_addc_co_u32_e32 v7, vcc, 0, v41, vcc
	global_load_dwordx4 v[6:9], v[6:7], off
	v_or_b32_e32 v24, 0x400, v0
	v_lshlrev_b32_e32 v1, 4, v24
	global_load_dwordx4 v[10:13], v1, s[62:63]
	s_movk_i32 s9, 0x6000
	v_add_co_u32_e32 v14, vcc, s9, v40
	v_addc_co_u32_e32 v15, vcc, 0, v41, vcc
	global_load_dwordx4 v[14:17], v[14:15], off
	v_or_b32_e32 v25, 0x800, v0
	s_movk_i32 s67, 0x3000
	v_or_b32_e32 v26, 0xc00, v0
	v_lshlrev_b32_e32 v28, 4, v25
	v_lshlrev_b32_e32 v47, 3, v25
	;; [unrolled: 1-line block ×5, first 2 shown]
	global_load_dwordx2 v[32:33], v47, s[6:7]
	global_load_dwordx4 v[24:27], v28, s[62:63]
	v_add_co_u32_e32 v28, vcc, s67, v23
	s_movk_i32 s68, 0x5000
	v_addc_co_u32_e32 v29, vcc, 0, v42, vcc
	v_add_co_u32_e32 v34, vcc, s68, v23
	s_mov_b32 s8, 0xa000
	v_addc_co_u32_e32 v35, vcc, 0, v42, vcc
	global_load_dwordx2 v[36:37], v46, s[6:7]
	global_load_dwordx2 v[38:39], v[28:29], off
	v_add_co_u32_e32 v28, vcc, s8, v40
	v_addc_co_u32_e32 v29, vcc, 0, v41, vcc
	global_load_dwordx4 v[28:31], v[28:29], off
	s_mov_b32 s9, 0xe000
	v_add_co_u32_e32 v40, vcc, s9, v40
	s_movk_i32 s65, 0x7fff
	v_addc_co_u32_e32 v41, vcc, 0, v41, vcc
	s_movk_i32 s8, 0x7000
	v_mov_b32_e32 v1, 0x7fc00000
	s_waitcnt vmcnt(10)
	v_lshlrev_b32_e32 v50, 16, v18
	v_and_b32_e32 v51, 0x7fff0000, v18
	s_waitcnt vmcnt(8)
	v_bfe_u32 v18, v2, 16, 1
	v_lshlrev_b32_e32 v52, 16, v19
	v_and_b32_e32 v53, 0x7fff0000, v19
	v_bfe_u32 v19, v3, 16, 1
	v_add3_u32 v58, v2, v18, s65
	v_add_co_u32_e32 v18, vcc, s8, v23
	v_add3_u32 v59, v3, v19, s65
	v_addc_co_u32_e32 v19, vcc, 0, v42, vcc
	v_cmp_o_f32_e64 s[26:27], v3, v3
	v_bfe_u32 v3, v4, 16, 1
	v_lshlrev_b32_e32 v54, 16, v20
	v_and_b32_e32 v55, 0x7fff0000, v20
	v_lshlrev_b32_e32 v56, 16, v21
	v_and_b32_e32 v57, 0x7fff0000, v21
	global_load_dwordx2 v[20:21], v[18:19], off
	global_load_dwordx2 v[42:43], v48, s[6:7]
	global_load_dwordx2 v[44:45], v[34:35], off
	v_add3_u32 v18, v4, v3, s65
	v_bfe_u32 v3, v5, 16, 1
	v_add3_u32 v19, v5, v3, s65
	s_waitcnt vmcnt(10)
	v_bfe_u32 v3, v6, 16, 1
	v_add3_u32 v23, v6, v3, s65
	v_bfe_u32 v3, v7, 16, 1
	v_add3_u32 v34, v7, v3, s65
	;; [unrolled: 2-line block ×4, first 2 shown]
	s_waitcnt vmcnt(9)
	v_bfe_u32 v3, v10, 16, 1
	v_add3_u32 v61, v10, v3, s65
	v_bfe_u32 v3, v11, 16, 1
	v_cmp_o_f32_e64 s[8:9], v10, v10
	v_add3_u32 v10, v11, v3, s65
	v_bfe_u32 v3, v12, 16, 1
	v_cmp_o_f32_e64 s[6:7], v11, v11
	v_add3_u32 v11, v12, v3, s65
	v_bfe_u32 v3, v13, 16, 1
	v_cmp_o_f32_e32 vcc, v12, v12
	v_add3_u32 v12, v13, v3, s65
	s_waitcnt vmcnt(8)
	v_bfe_u32 v3, v14, 16, 1
	v_cmp_o_f32_e64 s[10:11], v13, v13
	v_add3_u32 v13, v14, v3, s65
	v_bfe_u32 v3, v15, 16, 1
	v_cmp_o_f32_e64 s[16:17], v14, v14
	v_add3_u32 v14, v15, v3, s65
	v_bfe_u32 v3, v16, 16, 1
	v_cmp_o_f32_e64 s[22:23], v15, v15
	v_add3_u32 v15, v16, v3, s65
	v_bfe_u32 v3, v17, 16, 1
	v_cmp_o_f32_e64 s[30:31], v16, v16
	v_add3_u32 v16, v17, v3, s65
	s_waitcnt vmcnt(6)
	v_bfe_u32 v3, v24, 16, 1
	v_cmp_o_f32_e64 s[34:35], v17, v17
	v_add3_u32 v17, v24, v3, s65
	v_bfe_u32 v3, v25, 16, 1
	v_cmp_o_f32_e64 s[36:37], v24, v24
	v_add3_u32 v24, v25, v3, s65
	v_bfe_u32 v3, v26, 16, 1
	v_cmp_o_f32_e64 s[38:39], v25, v25
	v_add3_u32 v25, v26, v3, s65
	v_bfe_u32 v3, v27, 16, 1
	v_cmp_o_f32_e64 s[40:41], v26, v26
	v_add3_u32 v26, v27, v3, s65
	s_waitcnt vmcnt(3)
	v_bfe_u32 v3, v28, 16, 1
	v_cmp_o_f32_e64 s[42:43], v27, v27
	v_add3_u32 v27, v28, v3, s65
	v_bfe_u32 v3, v29, 16, 1
	v_cmp_o_f32_e64 s[44:45], v28, v28
	v_add3_u32 v28, v29, v3, s65
	v_bfe_u32 v3, v30, 16, 1
	v_cmp_o_f32_e64 s[46:47], v29, v29
	v_add3_u32 v29, v30, v3, s65
	v_bfe_u32 v3, v31, 16, 1
	v_cmp_o_f32_e64 s[28:29], v4, v4
	v_cmp_o_f32_e64 s[24:25], v5, v5
	v_cmp_o_f32_e64 s[48:49], v30, v30
	v_add3_u32 v30, v31, v3, s65
	v_cmp_o_f32_e64 s[52:53], v2, v2
	global_load_dwordx4 v[2:5], v49, s[62:63]
	v_cmp_o_f32_e64 s[20:21], v6, v6
	v_cndmask_b32_e64 v6, v1, v58, s[52:53]
	s_brev_b32 s52, -2
	v_bfi_b32 v49, s52, v50, v6
	v_cndmask_b32_e64 v6, v1, v59, s[26:27]
	v_cmp_o_f32_e64 s[18:19], v7, v7
	v_cmp_o_f32_e64 s[14:15], v8, v8
	;; [unrolled: 1-line block ×3, first 2 shown]
	v_bfi_b32 v50, s52, v51, v6
	global_load_dwordx4 v[6:9], v[40:41], off
	v_cndmask_b32_e32 v11, v1, v11, vcc
	v_cndmask_b32_e64 v18, v1, v18, s[28:29]
	v_bfi_b32 v18, s52, v52, v18
	v_cndmask_b32_e64 v19, v1, v19, s[24:25]
	v_bfi_b32 v19, s52, v53, v19
	v_cndmask_b32_e64 v34, v1, v34, s[18:19]
	v_cndmask_b32_e64 v35, v1, v35, s[14:15]
	v_cmp_o_f32_e64 s[50:51], v31, v31
	v_lshlrev_b32_e32 v31, 16, v36
	v_bfi_b32 v34, s52, v55, v34
	v_bfi_b32 v35, s52, v56, v35
	v_cndmask_b32_e64 v56, v1, v61, s[8:9]
	v_and_b32_e32 v36, 0x7fff0000, v36
	v_bfi_b32 v31, s52, v31, v56
	v_cndmask_b32_e64 v10, v1, v10, s[6:7]
	v_bfi_b32 v10, s52, v36, v10
	s_add_u32 s6, s56, s60
	v_lshlrev_b32_e32 v62, 16, v37
	v_and_b32_e32 v37, 0x7fff0000, v37
	s_waitcnt vmcnt(3)
	v_lshlrev_b32_e32 v70, 16, v43
	v_and_b32_e32 v43, 0x7fff0000, v43
	v_lshlrev_b32_e32 v71, 16, v20
	v_and_b32_e32 v20, 0x7fff0000, v20
	;; [unrolled: 2-line block ×3, first 2 shown]
	v_cndmask_b32_e64 v12, v1, v12, s[10:11]
	s_addc_u32 s7, s57, s61
	v_bfi_b32 v12, s52, v37, v12
	v_lshlrev_b32_e32 v66, 16, v33
	v_and_b32_e32 v33, 0x7fff0000, v33
	v_lshlrev_b32_e32 v69, 16, v42
	v_and_b32_e32 v42, 0x7fff0000, v42
	v_cndmask_b32_e64 v26, v1, v26, s[42:43]
	v_lshlrev_b32_e32 v65, 16, v32
	v_and_b32_e32 v32, 0x7fff0000, v32
	v_cndmask_b32_e64 v24, v1, v24, s[38:39]
	v_bfi_b32 v26, s52, v33, v26
	v_bfi_b32 v24, s52, v32, v24
	v_cndmask_b32_e64 v23, v1, v23, s[20:21]
	v_bfi_b32 v23, s52, v54, v23
	v_cndmask_b32_e64 v54, v1, v60, s[12:13]
	v_bfi_b32 v54, s52, v57, v54
	v_bfi_b32 v11, s52, v62, v11
	v_lshlrev_b32_e32 v64, 16, v39
	v_and_b32_e32 v39, 0x7fff0000, v39
	v_cndmask_b32_e64 v16, v1, v16, s[34:35]
	v_cndmask_b32_e64 v15, v1, v15, s[30:31]
	v_bfi_b32 v16, s52, v39, v16
	v_lshlrev_b32_e32 v63, 16, v38
	v_and_b32_e32 v38, 0x7fff0000, v38
	v_cndmask_b32_e64 v14, v1, v14, s[22:23]
	v_bfi_b32 v15, s52, v64, v15
	v_cndmask_b32_e64 v13, v1, v13, s[16:17]
	v_bfi_b32 v14, s52, v38, v14
	v_bfi_b32 v13, s52, v63, v13
	v_cndmask_b32_e64 v25, v1, v25, s[40:41]
	v_bfi_b32 v25, s52, v66, v25
	v_cndmask_b32_e64 v17, v1, v17, s[36:37]
	v_bfi_b32 v17, s52, v65, v17
	s_waitcnt vmcnt(2)
	v_lshlrev_b32_e32 v68, 16, v45
	v_and_b32_e32 v45, 0x7fff0000, v45
	v_cndmask_b32_e64 v30, v1, v30, s[50:51]
	v_cndmask_b32_e64 v29, v1, v29, s[48:49]
	v_bfi_b32 v30, s52, v45, v30
	v_lshlrev_b32_e32 v67, 16, v44
	v_and_b32_e32 v44, 0x7fff0000, v44
	v_cndmask_b32_e64 v28, v1, v28, s[46:47]
	v_bfi_b32 v29, s52, v68, v29
	v_cndmask_b32_e64 v27, v1, v27, s[44:45]
	s_waitcnt vmcnt(1)
	v_bfe_u32 v40, v2, 16, 1
	v_add3_u32 v40, v2, v40, s65
	v_bfe_u32 v41, v3, 16, 1
	v_cmp_o_f32_e32 vcc, v2, v2
	v_add3_u32 v41, v3, v41, s65
	v_bfe_u32 v51, v4, 16, 1
	v_cndmask_b32_e32 v2, v1, v40, vcc
	v_cmp_o_f32_e32 vcc, v3, v3
	v_add3_u32 v51, v4, v51, s65
	v_bfe_u32 v52, v5, 16, 1
	v_cndmask_b32_e32 v3, v1, v41, vcc
	v_cmp_o_f32_e32 vcc, v4, v4
	v_add3_u32 v52, v5, v52, s65
	s_waitcnt vmcnt(0)
	v_bfe_u32 v53, v6, 16, 1
	v_cndmask_b32_e32 v4, v1, v51, vcc
	v_cmp_o_f32_e32 vcc, v5, v5
	v_add3_u32 v53, v6, v53, s65
	v_bfe_u32 v55, v7, 16, 1
	v_cndmask_b32_e32 v5, v1, v52, vcc
	v_cmp_o_f32_e32 vcc, v6, v6
	v_add3_u32 v55, v7, v55, s65
	;; [unrolled: 4-line block ×4, first 2 shown]
	v_cndmask_b32_e32 v8, v1, v56, vcc
	v_cmp_o_f32_e32 vcc, v9, v9
	v_cndmask_b32_e32 v9, v1, v36, vcc
	v_bfi_b32 v37, s52, v43, v5
	v_bfi_b32 v7, s52, v20, v7
	;; [unrolled: 1-line block ×3, first 2 shown]
	v_bfe_u32 v5, v19, 16, 1
	v_mov_b32_e32 v20, s7
	v_add_co_u32_e32 v21, vcc, s6, v22
	v_bfi_b32 v36, s52, v70, v4
	v_bfe_u32 v4, v18, 16, 1
	v_add3_u32 v5, v19, v5, s65
	v_addc_co_u32_e32 v20, vcc, 0, v20, vcc
	v_bfi_b32 v33, s52, v42, v3
	v_bfe_u32 v3, v50, 16, 1
	v_add3_u32 v4, v18, v4, s65
	v_and_b32_e32 v5, 0xffff0000, v5
	v_cmp_o_f32_e32 vcc, v19, v19
	v_bfi_b32 v32, s52, v69, v2
	v_bfe_u32 v2, v49, 16, 1
	v_add3_u32 v3, v50, v3, s65
	v_lshrrev_b32_e32 v4, 16, v4
	v_cndmask_b32_e32 v5, v1, v5, vcc
	v_mov_b32_e32 v19, 0x7fc0
	v_cmp_o_f32_e32 vcc, v18, v18
	v_add3_u32 v2, v49, v2, s65
	v_and_b32_e32 v3, 0xffff0000, v3
	v_cndmask_b32_e32 v4, v19, v4, vcc
	v_cmp_o_f32_e32 vcc, v50, v50
	v_lshrrev_b32_e32 v2, 16, v2
	v_cndmask_b32_e32 v3, v1, v3, vcc
	v_cmp_o_f32_e32 vcc, v49, v49
	v_cndmask_b32_e32 v2, v19, v2, vcc
	v_or_b32_e32 v2, v3, v2
	v_or3_b32 v3, 0, v4, v5
	v_bfe_u32 v5, v54, 16, 1
	v_or3_b32 v2, v2, 0, 0
	v_bfe_u32 v4, v35, 16, 1
	v_add3_u32 v5, v54, v5, s65
	global_store_dwordx2 v22, v[2:3], s[6:7]
	v_bfe_u32 v3, v34, 16, 1
	v_add3_u32 v4, v35, v4, s65
	v_and_b32_e32 v5, 0xffff0000, v5
	v_cmp_o_f32_e32 vcc, v54, v54
	v_bfe_u32 v2, v23, 16, 1
	v_add3_u32 v3, v34, v3, s65
	v_lshrrev_b32_e32 v4, 16, v4
	v_cndmask_b32_e32 v5, v1, v5, vcc
	v_cmp_o_f32_e32 vcc, v35, v35
	v_add3_u32 v2, v23, v2, s65
	v_and_b32_e32 v3, 0xffff0000, v3
	v_cndmask_b32_e32 v4, v19, v4, vcc
	v_cmp_o_f32_e32 vcc, v34, v34
	v_lshrrev_b32_e32 v2, 16, v2
	v_cndmask_b32_e32 v3, v1, v3, vcc
	v_cmp_o_f32_e32 vcc, v23, v23
	v_cndmask_b32_e32 v2, v19, v2, vcc
	v_or_b32_e32 v2, v3, v2
	v_or3_b32 v3, 0, v4, v5
	v_add_co_u32_e32 v4, vcc, s66, v21
	v_or3_b32 v2, v2, 0, 0
	v_addc_co_u32_e32 v5, vcc, 0, v20, vcc
	global_store_dwordx2 v[4:5], v[2:3], off
	v_bfe_u32 v5, v12, 16, 1
	v_bfe_u32 v4, v11, 16, 1
	v_add3_u32 v5, v12, v5, s65
	v_bfe_u32 v3, v10, 16, 1
	v_add3_u32 v4, v11, v4, s65
	v_and_b32_e32 v5, 0xffff0000, v5
	v_cmp_o_f32_e32 vcc, v12, v12
	v_bfe_u32 v2, v31, 16, 1
	v_add3_u32 v3, v10, v3, s65
	v_lshrrev_b32_e32 v4, 16, v4
	v_cndmask_b32_e32 v5, v1, v5, vcc
	v_cmp_o_f32_e32 vcc, v11, v11
	v_add3_u32 v2, v31, v2, s65
	v_and_b32_e32 v3, 0xffff0000, v3
	v_cndmask_b32_e32 v4, v19, v4, vcc
	v_cmp_o_f32_e32 vcc, v10, v10
	v_lshrrev_b32_e32 v2, 16, v2
	v_cndmask_b32_e32 v3, v1, v3, vcc
	v_cmp_o_f32_e32 vcc, v31, v31
	v_cndmask_b32_e32 v2, v19, v2, vcc
	v_or_b32_e32 v2, v3, v2
	v_or3_b32 v3, 0, v4, v5
	v_bfe_u32 v5, v16, 16, 1
	v_or3_b32 v2, v2, 0, 0
	v_bfe_u32 v4, v15, 16, 1
	v_add3_u32 v5, v16, v5, s65
	global_store_dwordx2 v46, v[2:3], s[6:7]
	v_bfe_u32 v3, v14, 16, 1
	v_add3_u32 v4, v15, v4, s65
	v_and_b32_e32 v5, 0xffff0000, v5
	v_cmp_o_f32_e32 vcc, v16, v16
	v_bfe_u32 v2, v13, 16, 1
	v_add3_u32 v3, v14, v3, s65
	v_lshrrev_b32_e32 v4, 16, v4
	v_cndmask_b32_e32 v5, v1, v5, vcc
	v_cmp_o_f32_e32 vcc, v15, v15
	v_add3_u32 v2, v13, v2, s65
	v_and_b32_e32 v3, 0xffff0000, v3
	v_cndmask_b32_e32 v4, v19, v4, vcc
	v_cmp_o_f32_e32 vcc, v14, v14
	v_lshrrev_b32_e32 v2, 16, v2
	v_cndmask_b32_e32 v3, v1, v3, vcc
	v_cmp_o_f32_e32 vcc, v13, v13
	v_cndmask_b32_e32 v2, v19, v2, vcc
	v_or_b32_e32 v2, v3, v2
	v_or3_b32 v3, 0, v4, v5
	v_add_co_u32_e32 v4, vcc, s67, v21
	v_or3_b32 v2, v2, 0, 0
	v_addc_co_u32_e32 v5, vcc, 0, v20, vcc
	global_store_dwordx2 v[4:5], v[2:3], off
	v_bfe_u32 v5, v26, 16, 1
	v_bfe_u32 v4, v25, 16, 1
	v_add3_u32 v5, v26, v5, s65
	v_bfe_u32 v3, v24, 16, 1
	v_add3_u32 v4, v25, v4, s65
	v_and_b32_e32 v5, 0xffff0000, v5
	v_cmp_o_f32_e32 vcc, v26, v26
	v_bfe_u32 v2, v17, 16, 1
	v_add3_u32 v3, v24, v3, s65
	v_lshrrev_b32_e32 v4, 16, v4
	v_cndmask_b32_e32 v5, v1, v5, vcc
	v_cmp_o_f32_e32 vcc, v25, v25
	v_add3_u32 v2, v17, v2, s65
	v_and_b32_e32 v3, 0xffff0000, v3
	v_cndmask_b32_e32 v4, v19, v4, vcc
	v_cmp_o_f32_e32 vcc, v24, v24
	v_lshrrev_b32_e32 v2, 16, v2
	v_cndmask_b32_e32 v3, v1, v3, vcc
	v_cmp_o_f32_e32 vcc, v17, v17
	v_cndmask_b32_e32 v2, v19, v2, vcc
	v_or_b32_e32 v2, v3, v2
	v_or3_b32 v3, 0, v4, v5
	v_bfe_u32 v5, v30, 16, 1
	v_bfi_b32 v28, s52, v44, v28
	v_or3_b32 v2, v2, 0, 0
	v_bfe_u32 v4, v29, 16, 1
	v_add3_u32 v5, v30, v5, s65
	v_bfi_b32 v27, s52, v67, v27
	global_store_dwordx2 v47, v[2:3], s[6:7]
	v_bfe_u32 v3, v28, 16, 1
	v_add3_u32 v4, v29, v4, s65
	v_and_b32_e32 v5, 0xffff0000, v5
	v_cmp_o_f32_e32 vcc, v30, v30
	v_bfe_u32 v2, v27, 16, 1
	v_add3_u32 v3, v28, v3, s65
	v_lshrrev_b32_e32 v4, 16, v4
	v_cndmask_b32_e32 v5, v1, v5, vcc
	v_cmp_o_f32_e32 vcc, v29, v29
	v_add3_u32 v2, v27, v2, s65
	v_and_b32_e32 v3, 0xffff0000, v3
	v_cndmask_b32_e32 v4, v19, v4, vcc
	v_cmp_o_f32_e32 vcc, v28, v28
	v_lshrrev_b32_e32 v2, 16, v2
	v_cndmask_b32_e32 v3, v1, v3, vcc
	v_cmp_o_f32_e32 vcc, v27, v27
	v_cndmask_b32_e32 v2, v19, v2, vcc
	v_or_b32_e32 v2, v3, v2
	v_or3_b32 v3, 0, v4, v5
	v_add_co_u32_e32 v4, vcc, s68, v21
	v_or3_b32 v2, v2, 0, 0
	v_addc_co_u32_e32 v5, vcc, 0, v20, vcc
	global_store_dwordx2 v[4:5], v[2:3], off
	v_bfe_u32 v5, v37, 16, 1
	v_bfe_u32 v4, v36, 16, 1
	v_add3_u32 v5, v37, v5, s65
	v_bfe_u32 v3, v33, 16, 1
	v_add3_u32 v4, v36, v4, s65
	v_and_b32_e32 v5, 0xffff0000, v5
	v_cmp_o_f32_e32 vcc, v37, v37
	v_bfe_u32 v2, v32, 16, 1
	v_add3_u32 v3, v33, v3, s65
	v_lshrrev_b32_e32 v4, 16, v4
	v_cndmask_b32_e32 v5, v1, v5, vcc
	v_cmp_o_f32_e32 vcc, v36, v36
	v_add3_u32 v2, v32, v2, s65
	v_and_b32_e32 v3, 0xffff0000, v3
	v_cndmask_b32_e32 v4, v19, v4, vcc
	v_cmp_o_f32_e32 vcc, v33, v33
	v_lshrrev_b32_e32 v2, 16, v2
	v_cndmask_b32_e32 v3, v1, v3, vcc
	v_cmp_o_f32_e32 vcc, v32, v32
	v_cndmask_b32_e32 v2, v19, v2, vcc
	v_bfi_b32 v8, s52, v72, v8
	v_or_b32_e32 v2, v3, v2
	v_or3_b32 v3, 0, v4, v5
	v_bfe_u32 v5, v9, 16, 1
	v_or3_b32 v2, v2, 0, 0
	v_bfe_u32 v4, v8, 16, 1
	v_add3_u32 v5, v9, v5, s65
	v_bfi_b32 v6, s52, v71, v6
	global_store_dwordx2 v48, v[2:3], s[6:7]
	v_bfe_u32 v3, v7, 16, 1
	v_add3_u32 v4, v8, v4, s65
	v_and_b32_e32 v5, 0xffff0000, v5
	v_cmp_o_f32_e32 vcc, v9, v9
	v_bfe_u32 v2, v6, 16, 1
	v_add3_u32 v3, v7, v3, s65
	v_lshrrev_b32_e32 v4, 16, v4
	v_cndmask_b32_e32 v5, v1, v5, vcc
	v_cmp_o_f32_e32 vcc, v8, v8
	v_add3_u32 v2, v6, v2, s65
	v_and_b32_e32 v3, 0xffff0000, v3
	v_cndmask_b32_e32 v4, v19, v4, vcc
	v_cmp_o_f32_e32 vcc, v7, v7
	v_lshrrev_b32_e32 v2, 16, v2
	v_cndmask_b32_e32 v1, v1, v3, vcc
	v_cmp_o_f32_e32 vcc, v6, v6
	v_cndmask_b32_e32 v2, v19, v2, vcc
	v_or_b32_e32 v1, v1, v2
	v_or3_b32 v3, 0, v4, v5
	v_add_co_u32_e32 v4, vcc, 0x7000, v21
	v_or3_b32 v2, v1, 0, 0
	v_addc_co_u32_e32 v5, vcc, 0, v20, vcc
	global_store_dwordx2 v[4:5], v[2:3], off
	s_cbranch_execnz .LBB102_2
.LBB102_4:
	s_load_dword s6, s[4:5], 0x24
	s_load_dwordx4 s[16:19], s[4:5], 0x28
	s_add_u32 s8, s4, 56
	s_addc_u32 s9, s5, 0
	s_mov_b32 s12, s33
	s_waitcnt lgkmcnt(0)
	v_lshrrev_b16_e64 v8, 8, s6
	v_mov_b32_e32 v31, v0
	v_mov_b32_e32 v0, s56
	;; [unrolled: 1-line block ×13, first 2 shown]
	s_getpc_b64 s[4:5]
	s_add_u32 s4, s4, _ZN2at6native25elementwise_kernel_helperILb1ENS0_13BinaryFunctorIfffZZZNS0_20copysign_kernel_cudaERNS_18TensorIteratorBaseEENKUlvE_clEvENKUlvE0_clEvEUlffE_EENS0_6memory8policies11unroll_baseILi512ESt5arrayIPcLm3EE23TrivialOffsetCalculatorILi2EjESF_ILi1EjENS9_12LoadWithCastILi2EEENS9_13StoreWithCastILi1EEELi32ELi1EEEEEvT0_T1_@rel32@lo+4
	s_addc_u32 s5, s5, _ZN2at6native25elementwise_kernel_helperILb1ENS0_13BinaryFunctorIfffZZZNS0_20copysign_kernel_cudaERNS_18TensorIteratorBaseEENKUlvE_clEvENKUlvE0_clEvEUlffE_EENS0_6memory8policies11unroll_baseILi512ESt5arrayIPcLm3EE23TrivialOffsetCalculatorILi2EjESF_ILi1EjENS9_12LoadWithCastILi2EEENS9_13StoreWithCastILi1EEELi32ELi1EEEEEvT0_T1_@rel32@hi+12
	s_swappc_b64 s[30:31], s[4:5]
	s_endpgm
	.section	.rodata,"a",@progbits
	.p2align	6, 0x0
	.amdhsa_kernel _ZN2at6native39vectorized_templated_elementwise_kernelILi4ENS0_13BinaryFunctorIfffZZZNS0_20copysign_kernel_cudaERNS_18TensorIteratorBaseEENKUlvE_clEvENKUlvE0_clEvEUlffE_EESt5arrayIPcLm3EE23TrivialOffsetCalculatorILi2EjESC_ILi1EjENS0_6memory12LoadWithCastILi2EEENSF_13StoreWithCastILi1EEEN3c108BFloat16EJSL_fEEEviT0_T1_T2_T3_T4_T5_
		.amdhsa_group_segment_fixed_size 0
		.amdhsa_private_segment_fixed_size 288
		.amdhsa_kernarg_size 312
		.amdhsa_user_sgpr_count 8
		.amdhsa_user_sgpr_private_segment_buffer 1
		.amdhsa_user_sgpr_dispatch_ptr 0
		.amdhsa_user_sgpr_queue_ptr 0
		.amdhsa_user_sgpr_kernarg_segment_ptr 1
		.amdhsa_user_sgpr_dispatch_id 0
		.amdhsa_user_sgpr_flat_scratch_init 1
		.amdhsa_user_sgpr_kernarg_preload_length 0
		.amdhsa_user_sgpr_kernarg_preload_offset 0
		.amdhsa_user_sgpr_private_segment_size 0
		.amdhsa_uses_dynamic_stack 0
		.amdhsa_system_sgpr_private_segment_wavefront_offset 1
		.amdhsa_system_sgpr_workgroup_id_x 1
		.amdhsa_system_sgpr_workgroup_id_y 0
		.amdhsa_system_sgpr_workgroup_id_z 0
		.amdhsa_system_sgpr_workgroup_info 0
		.amdhsa_system_vgpr_workitem_id 0
		.amdhsa_next_free_vgpr 120
		.amdhsa_next_free_sgpr 98
		.amdhsa_accum_offset 120
		.amdhsa_reserve_vcc 1
		.amdhsa_reserve_flat_scratch 1
		.amdhsa_float_round_mode_32 0
		.amdhsa_float_round_mode_16_64 0
		.amdhsa_float_denorm_mode_32 3
		.amdhsa_float_denorm_mode_16_64 3
		.amdhsa_dx10_clamp 1
		.amdhsa_ieee_mode 1
		.amdhsa_fp16_overflow 0
		.amdhsa_tg_split 0
		.amdhsa_exception_fp_ieee_invalid_op 0
		.amdhsa_exception_fp_denorm_src 0
		.amdhsa_exception_fp_ieee_div_zero 0
		.amdhsa_exception_fp_ieee_overflow 0
		.amdhsa_exception_fp_ieee_underflow 0
		.amdhsa_exception_fp_ieee_inexact 0
		.amdhsa_exception_int_div_zero 0
	.end_amdhsa_kernel
	.section	.text._ZN2at6native39vectorized_templated_elementwise_kernelILi4ENS0_13BinaryFunctorIfffZZZNS0_20copysign_kernel_cudaERNS_18TensorIteratorBaseEENKUlvE_clEvENKUlvE0_clEvEUlffE_EESt5arrayIPcLm3EE23TrivialOffsetCalculatorILi2EjESC_ILi1EjENS0_6memory12LoadWithCastILi2EEENSF_13StoreWithCastILi1EEEN3c108BFloat16EJSL_fEEEviT0_T1_T2_T3_T4_T5_,"axG",@progbits,_ZN2at6native39vectorized_templated_elementwise_kernelILi4ENS0_13BinaryFunctorIfffZZZNS0_20copysign_kernel_cudaERNS_18TensorIteratorBaseEENKUlvE_clEvENKUlvE0_clEvEUlffE_EESt5arrayIPcLm3EE23TrivialOffsetCalculatorILi2EjESC_ILi1EjENS0_6memory12LoadWithCastILi2EEENSF_13StoreWithCastILi1EEEN3c108BFloat16EJSL_fEEEviT0_T1_T2_T3_T4_T5_,comdat
.Lfunc_end102:
	.size	_ZN2at6native39vectorized_templated_elementwise_kernelILi4ENS0_13BinaryFunctorIfffZZZNS0_20copysign_kernel_cudaERNS_18TensorIteratorBaseEENKUlvE_clEvENKUlvE0_clEvEUlffE_EESt5arrayIPcLm3EE23TrivialOffsetCalculatorILi2EjESC_ILi1EjENS0_6memory12LoadWithCastILi2EEENSF_13StoreWithCastILi1EEEN3c108BFloat16EJSL_fEEEviT0_T1_T2_T3_T4_T5_, .Lfunc_end102-_ZN2at6native39vectorized_templated_elementwise_kernelILi4ENS0_13BinaryFunctorIfffZZZNS0_20copysign_kernel_cudaERNS_18TensorIteratorBaseEENKUlvE_clEvENKUlvE0_clEvEUlffE_EESt5arrayIPcLm3EE23TrivialOffsetCalculatorILi2EjESC_ILi1EjENS0_6memory12LoadWithCastILi2EEENSF_13StoreWithCastILi1EEEN3c108BFloat16EJSL_fEEEviT0_T1_T2_T3_T4_T5_
                                        ; -- End function
	.section	.AMDGPU.csdata,"",@progbits
; Kernel info:
; codeLenInByte = 3272
; NumSgprs: 104
; NumVgprs: 120
; NumAgprs: 0
; TotalNumVgprs: 120
; ScratchSize: 288
; MemoryBound: 0
; FloatMode: 240
; IeeeMode: 1
; LDSByteSize: 0 bytes/workgroup (compile time only)
; SGPRBlocks: 12
; VGPRBlocks: 14
; NumSGPRsForWavesPerEU: 104
; NumVGPRsForWavesPerEU: 120
; AccumOffset: 120
; Occupancy: 4
; WaveLimiterHint : 0
; COMPUTE_PGM_RSRC2:SCRATCH_EN: 1
; COMPUTE_PGM_RSRC2:USER_SGPR: 8
; COMPUTE_PGM_RSRC2:TRAP_HANDLER: 0
; COMPUTE_PGM_RSRC2:TGID_X_EN: 1
; COMPUTE_PGM_RSRC2:TGID_Y_EN: 0
; COMPUTE_PGM_RSRC2:TGID_Z_EN: 0
; COMPUTE_PGM_RSRC2:TIDIG_COMP_CNT: 0
; COMPUTE_PGM_RSRC3_GFX90A:ACCUM_OFFSET: 29
; COMPUTE_PGM_RSRC3_GFX90A:TG_SPLIT: 0
	.section	.text._ZN2at6native39vectorized_templated_elementwise_kernelILi2ENS0_13BinaryFunctorIfffZZZNS0_20copysign_kernel_cudaERNS_18TensorIteratorBaseEENKUlvE_clEvENKUlvE0_clEvEUlffE_EESt5arrayIPcLm3EE23TrivialOffsetCalculatorILi2EjESC_ILi1EjENS0_6memory12LoadWithCastILi2EEENSF_13StoreWithCastILi1EEEN3c108BFloat16EJSL_fEEEviT0_T1_T2_T3_T4_T5_,"axG",@progbits,_ZN2at6native39vectorized_templated_elementwise_kernelILi2ENS0_13BinaryFunctorIfffZZZNS0_20copysign_kernel_cudaERNS_18TensorIteratorBaseEENKUlvE_clEvENKUlvE0_clEvEUlffE_EESt5arrayIPcLm3EE23TrivialOffsetCalculatorILi2EjESC_ILi1EjENS0_6memory12LoadWithCastILi2EEENSF_13StoreWithCastILi1EEEN3c108BFloat16EJSL_fEEEviT0_T1_T2_T3_T4_T5_,comdat
	.globl	_ZN2at6native39vectorized_templated_elementwise_kernelILi2ENS0_13BinaryFunctorIfffZZZNS0_20copysign_kernel_cudaERNS_18TensorIteratorBaseEENKUlvE_clEvENKUlvE0_clEvEUlffE_EESt5arrayIPcLm3EE23TrivialOffsetCalculatorILi2EjESC_ILi1EjENS0_6memory12LoadWithCastILi2EEENSF_13StoreWithCastILi1EEEN3c108BFloat16EJSL_fEEEviT0_T1_T2_T3_T4_T5_ ; -- Begin function _ZN2at6native39vectorized_templated_elementwise_kernelILi2ENS0_13BinaryFunctorIfffZZZNS0_20copysign_kernel_cudaERNS_18TensorIteratorBaseEENKUlvE_clEvENKUlvE0_clEvEUlffE_EESt5arrayIPcLm3EE23TrivialOffsetCalculatorILi2EjESC_ILi1EjENS0_6memory12LoadWithCastILi2EEENSF_13StoreWithCastILi1EEEN3c108BFloat16EJSL_fEEEviT0_T1_T2_T3_T4_T5_
	.p2align	8
	.type	_ZN2at6native39vectorized_templated_elementwise_kernelILi2ENS0_13BinaryFunctorIfffZZZNS0_20copysign_kernel_cudaERNS_18TensorIteratorBaseEENKUlvE_clEvENKUlvE0_clEvEUlffE_EESt5arrayIPcLm3EE23TrivialOffsetCalculatorILi2EjESC_ILi1EjENS0_6memory12LoadWithCastILi2EEENSF_13StoreWithCastILi1EEEN3c108BFloat16EJSL_fEEEviT0_T1_T2_T3_T4_T5_,@function
_ZN2at6native39vectorized_templated_elementwise_kernelILi2ENS0_13BinaryFunctorIfffZZZNS0_20copysign_kernel_cudaERNS_18TensorIteratorBaseEENKUlvE_clEvENKUlvE0_clEvEUlffE_EESt5arrayIPcLm3EE23TrivialOffsetCalculatorILi2EjESC_ILi1EjENS0_6memory12LoadWithCastILi2EEENSF_13StoreWithCastILi1EEEN3c108BFloat16EJSL_fEEEviT0_T1_T2_T3_T4_T5_: ; @_ZN2at6native39vectorized_templated_elementwise_kernelILi2ENS0_13BinaryFunctorIfffZZZNS0_20copysign_kernel_cudaERNS_18TensorIteratorBaseEENKUlvE_clEvENKUlvE0_clEvEUlffE_EESt5arrayIPcLm3EE23TrivialOffsetCalculatorILi2EjESC_ILi1EjENS0_6memory12LoadWithCastILi2EEENSF_13StoreWithCastILi1EEEN3c108BFloat16EJSL_fEEEviT0_T1_T2_T3_T4_T5_
; %bb.0:
	s_add_u32 flat_scratch_lo, s6, s9
	s_addc_u32 flat_scratch_hi, s7, 0
	s_add_u32 s0, s0, s9
	s_load_dword s6, s[4:5], 0x38
	s_load_dwordx2 s[66:67], s[4:5], 0x18
	s_load_dword s7, s[4:5], 0x0
	s_load_dwordx4 s[68:71], s[4:5], 0x8
	s_addc_u32 s1, s1, 0
	s_mov_b32 s33, s8
	s_not_b32 s8, s8
	s_waitcnt lgkmcnt(0)
	s_add_i32 s6, s6, s8
	s_lshl_b32 s8, s6, 14
	s_sub_i32 s74, s7, s8
	s_cmpk_gt_i32 s74, 0x3fff
	s_mov_b64 s[6:7], -1
	s_mov_b32 s32, 0
	s_cbranch_scc1 .LBB103_3
; %bb.1:
	s_andn2_b64 vcc, exec, s[6:7]
	s_cbranch_vccz .LBB103_4
.LBB103_2:
	s_endpgm
.LBB103_3:
	s_ashr_i32 s9, s8, 31
	s_lshl_b64 s[72:73], s[8:9], 1
	s_add_u32 s6, s70, s72
	s_addc_u32 s7, s71, s73
	v_lshlrev_b32_e32 v6, 2, v0
	v_mov_b32_e32 v1, s7
	v_add_co_u32_e32 v28, vcc, s6, v6
	v_addc_co_u32_e32 v29, vcc, 0, v1, vcc
	s_movk_i32 s78, 0x1000
	v_add_co_u32_e32 v2, vcc, s78, v28
	v_addc_co_u32_e32 v3, vcc, 0, v29, vcc
	s_movk_i32 s77, 0x2000
	v_add_co_u32_e32 v8, vcc, s77, v28
	s_lshl_b64 s[8:9], s[8:9], 2
	v_addc_co_u32_e32 v9, vcc, 0, v29, vcc
	s_movk_i32 s75, 0x3000
	s_add_u32 s8, s66, s8
	v_or_b32_e32 v20, 0x400, v0
	v_or_b32_e32 v24, 0x800, v0
	;; [unrolled: 1-line block ×3, first 2 shown]
	v_add_co_u32_e32 v10, vcc, s75, v28
	s_addc_u32 s9, s67, s9
	v_lshlrev_b32_e32 v18, 3, v0
	v_lshlrev_b32_e32 v7, 2, v20
	;; [unrolled: 1-line block ×4, first 2 shown]
	v_addc_co_u32_e32 v11, vcc, 0, v29, vcc
	global_load_dwordx2 v[12:13], v18, s[8:9]
	global_load_dword v42, v6, s[6:7]
	global_load_dword v43, v6, s[6:7] offset:2048
	global_load_dword v44, v7, s[6:7]
	global_load_dword v45, v[2:3], off offset:2048
	global_load_dword v46, v5, s[6:7]
	global_load_dword v47, v[8:9], off offset:2048
	;; [unrolled: 2-line block ×3, first 2 shown]
	s_movk_i32 s80, 0x4000
	v_add_co_u32_e32 v14, vcc, s80, v28
	v_addc_co_u32_e32 v15, vcc, 0, v29, vcc
	s_movk_i32 s79, 0x5000
	v_add_co_u32_e32 v16, vcc, s79, v28
	v_addc_co_u32_e32 v17, vcc, 0, v29, vcc
	v_mov_b32_e32 v2, s9
	v_add_co_u32_e32 v50, vcc, s8, v18
	v_addc_co_u32_e32 v51, vcc, 0, v2, vcc
	v_add_co_u32_e32 v18, vcc, s78, v50
	v_addc_co_u32_e32 v19, vcc, 0, v51, vcc
	v_lshlrev_b32_e32 v8, 3, v20
	global_load_dwordx2 v[2:3], v[18:19], off
	global_load_dwordx2 v[20:21], v8, s[8:9]
	v_add_co_u32_e32 v18, vcc, s75, v50
	s_movk_i32 s76, 0x6000
	v_addc_co_u32_e32 v19, vcc, 0, v51, vcc
	global_load_dwordx2 v[18:19], v[18:19], off
	v_add_co_u32_e32 v22, vcc, s76, v28
	v_addc_co_u32_e32 v23, vcc, 0, v29, vcc
	v_lshlrev_b32_e32 v24, 3, v24
	global_load_dwordx2 v[24:25], v24, s[8:9]
	v_add_co_u32_e32 v26, vcc, s79, v50
	s_movk_i32 s10, 0x7000
	v_addc_co_u32_e32 v27, vcc, 0, v51, vcc
	global_load_dwordx2 v[26:27], v[26:27], off
	v_add_co_u32_e32 v28, vcc, s10, v28
	v_addc_co_u32_e32 v29, vcc, 0, v29, vcc
	v_lshlrev_b32_e32 v30, 3, v30
	global_load_dwordx2 v[30:31], v30, s[8:9]
	v_add_co_u32_e32 v32, vcc, s10, v50
	v_addc_co_u32_e32 v33, vcc, 0, v51, vcc
	global_load_dwordx2 v[32:33], v[32:33], off
	v_or_b32_e32 v11, 0x1000, v0
	s_mov_b32 s10, 0x9000
	v_lshlrev_b32_e32 v10, 2, v11
	v_or_b32_e32 v40, 0x1400, v0
	v_or_b32_e32 v41, 0x1800, v0
	;; [unrolled: 1-line block ×3, first 2 shown]
	v_lshlrev_b32_e32 v11, 3, v11
	v_add_co_u32_e32 v34, vcc, s10, v50
	v_lshlrev_b32_e32 v9, 2, v40
	v_lshlrev_b32_e32 v4, 2, v41
	;; [unrolled: 1-line block ×3, first 2 shown]
	v_addc_co_u32_e32 v35, vcc, 0, v51, vcc
	global_load_dwordx2 v[36:37], v11, s[8:9]
	global_load_dwordx2 v[38:39], v[34:35], off
	global_load_dword v53, v10, s[6:7]
	global_load_dword v54, v[14:15], off offset:2048
	global_load_dword v55, v9, s[6:7]
	global_load_dword v56, v[16:17], off offset:2048
	;; [unrolled: 2-line block ×4, first 2 shown]
	v_lshlrev_b32_e32 v14, 3, v40
	s_mov_b32 s6, 0xb000
	global_load_dwordx2 v[14:15], v14, s[8:9]
	v_add_co_u32_e32 v16, vcc, s6, v50
	v_addc_co_u32_e32 v17, vcc, 0, v51, vcc
	global_load_dwordx2 v[16:17], v[16:17], off
	v_lshlrev_b32_e32 v22, 3, v41
	global_load_dwordx2 v[22:23], v22, s[8:9]
	s_mov_b32 s6, 0xd000
	v_add_co_u32_e32 v28, vcc, s6, v50
	v_addc_co_u32_e32 v29, vcc, 0, v51, vcc
	s_waitcnt vmcnt(28)
	v_bfe_u32 v11, v12, 16, 1
	s_movk_i32 s81, 0x7fff
	global_load_dwordx2 v[28:29], v[28:29], off
	v_add3_u32 v11, v12, v11, s81
	v_mov_b32_e32 v61, 0x7fc00000
	v_cmp_o_f32_e32 vcc, v12, v12
	v_lshlrev_b32_e32 v12, 3, v52
	s_mov_b32 s6, 0xf000
	v_cndmask_b32_e32 v11, v61, v11, vcc
	global_load_dwordx2 v[34:35], v12, s[8:9]
	v_add_co_u32_e32 v40, vcc, s6, v50
	v_addc_co_u32_e32 v41, vcc, 0, v51, vcc
	global_load_dwordx2 v[40:41], v[40:41], off
	v_bfe_u32 v12, v13, 16, 1
	v_add3_u32 v12, v13, v12, s81
	v_cmp_o_f32_e32 vcc, v13, v13
	v_cndmask_b32_e32 v12, v61, v12, vcc
	s_waitcnt vmcnt(22)
	v_bfe_u32 v50, v3, 16, 1
	s_waitcnt vmcnt(21)
	v_bfe_u32 v13, v20, 16, 1
	v_add3_u32 v13, v20, v13, s81
	v_cmp_o_f32_e64 s[34:35], v20, v20
	v_bfe_u32 v20, v21, 16, 1
	v_add3_u32 v20, v21, v20, s81
	v_cmp_o_f32_e64 s[30:31], v21, v21
	s_waitcnt vmcnt(20)
	v_bfe_u32 v21, v18, 16, 1
	v_add3_u32 v21, v18, v21, s81
	v_cmp_o_f32_e64 s[26:27], v18, v18
	v_bfe_u32 v18, v19, 16, 1
	v_add3_u32 v18, v19, v18, s81
	v_cmp_o_f32_e64 s[24:25], v19, v19
	;; [unrolled: 7-line block ×5, first 2 shown]
	s_waitcnt vmcnt(16)
	v_bfe_u32 v31, v32, 16, 1
	v_add3_u32 v31, v32, v31, s81
	v_cmp_o_f32_e32 vcc, v32, v32
	v_bfe_u32 v32, v33, 16, 1
	v_add3_u32 v32, v33, v32, s81
	v_cmp_o_f32_e64 s[10:11], v33, v33
	s_waitcnt vmcnt(15)
	v_bfe_u32 v33, v36, 16, 1
	v_add3_u32 v33, v36, v33, s81
	v_cmp_o_f32_e64 s[16:17], v36, v36
	v_bfe_u32 v36, v37, 16, 1
	v_add3_u32 v36, v37, v36, s81
	v_cmp_o_f32_e64 s[22:23], v37, v37
	s_waitcnt vmcnt(14)
	v_bfe_u32 v37, v38, 16, 1
	v_add3_u32 v37, v38, v37, s81
	v_cmp_o_f32_e64 s[28:29], v38, v38
	v_bfe_u32 v38, v39, 16, 1
	v_add3_u32 v38, v39, v38, s81
	v_cmp_o_f32_e64 s[36:37], v39, v39
	s_waitcnt vmcnt(5)
	v_bfe_u32 v39, v14, 16, 1
	v_add3_u32 v39, v14, v39, s81
	v_cmp_o_f32_e64 s[38:39], v14, v14
	v_bfe_u32 v14, v15, 16, 1
	v_add3_u32 v14, v15, v14, s81
	v_cmp_o_f32_e64 s[40:41], v15, v15
	s_waitcnt vmcnt(4)
	v_bfe_u32 v15, v16, 16, 1
	v_add3_u32 v15, v16, v15, s81
	v_cmp_o_f32_e64 s[42:43], v16, v16
	v_bfe_u32 v16, v17, 16, 1
	v_add3_u32 v16, v17, v16, s81
	v_cmp_o_f32_e64 s[44:45], v17, v17
	s_waitcnt vmcnt(3)
	v_bfe_u32 v17, v22, 16, 1
	v_add3_u32 v17, v22, v17, s81
	v_cmp_o_f32_e64 s[46:47], v22, v22
	v_bfe_u32 v22, v23, 16, 1
	v_add3_u32 v22, v23, v22, s81
	v_cmp_o_f32_e64 s[48:49], v23, v23
	s_waitcnt vmcnt(2)
	v_bfe_u32 v23, v28, 16, 1
	v_add3_u32 v23, v28, v23, s81
	v_cmp_o_f32_e64 s[50:51], v28, v28
	v_bfe_u32 v28, v29, 16, 1
	v_add3_u32 v28, v29, v28, s81
	v_cmp_o_f32_e64 s[52:53], v29, v29
	s_waitcnt vmcnt(1)
	v_bfe_u32 v29, v34, 16, 1
	v_add3_u32 v29, v34, v29, s81
	v_cmp_o_f32_e64 s[54:55], v34, v34
	v_bfe_u32 v34, v35, 16, 1
	v_add3_u32 v34, v35, v34, s81
	v_cmp_o_f32_e64 s[56:57], v35, v35
	s_waitcnt vmcnt(0)
	v_bfe_u32 v35, v40, 16, 1
	v_add3_u32 v35, v40, v35, s81
	v_cmp_o_f32_e64 s[58:59], v40, v40
	v_bfe_u32 v40, v41, 16, 1
	v_add3_u32 v40, v41, v40, s81
	v_cmp_o_f32_e64 s[60:61], v41, v41
	v_bfe_u32 v41, v2, 16, 1
	v_add3_u32 v41, v2, v41, s81
	v_add3_u32 v50, v3, v50, s81
	v_cmp_o_f32_e64 s[62:63], v3, v3
	v_cmp_o_f32_e64 s[64:65], v2, v2
	v_lshlrev_b32_e32 v3, 16, v42
	s_brev_b32 s82, -2
	v_and_b32_e32 v2, 0x7fff0000, v42
	v_and_b32_e32 v42, 0x7fff0000, v43
	v_lshlrev_b32_e32 v43, 16, v43
	v_bfi_b32 v3, s82, v3, v11
	v_and_b32_e32 v11, 0x7fff0000, v44
	v_lshlrev_b32_e32 v44, 16, v44
	v_cndmask_b32_e64 v41, v61, v41, s[64:65]
	v_cndmask_b32_e64 v13, v61, v13, s[34:35]
	v_bfi_b32 v2, s82, v2, v12
	v_and_b32_e32 v12, 0x7fff0000, v45
	v_bfi_b32 v41, s82, v43, v41
	v_and_b32_e32 v43, 0x7fff0000, v46
	;; [unrolled: 2-line block ×3, first 2 shown]
	v_cndmask_b32_e64 v18, v61, v18, s[24:25]
	v_cndmask_b32_e64 v24, v61, v24, s[18:19]
	v_cndmask_b32_e64 v30, v61, v30, s[6:7]
	s_add_u32 s6, s68, s72
	v_lshlrev_b32_e32 v45, 16, v45
	v_cndmask_b32_e64 v20, v61, v20, s[30:31]
	v_cndmask_b32_e64 v21, v61, v21, s[26:27]
	v_bfi_b32 v12, s82, v12, v18
	v_and_b32_e32 v18, 0x7fff0000, v54
	v_bfi_b32 v24, s82, v43, v24
	v_and_b32_e32 v43, 0x7fff0000, v56
	v_bfi_b32 v30, s82, v44, v30
	v_and_b32_e32 v44, 0x7fff0000, v60
	v_cndmask_b32_e64 v38, v61, v38, s[36:37]
	v_cndmask_b32_e64 v16, v61, v16, s[44:45]
	;; [unrolled: 1-line block ×3, first 2 shown]
	s_addc_u32 s7, s69, s73
	v_bfi_b32 v11, s82, v11, v20
	v_and_b32_e32 v20, 0x7fff0000, v49
	v_bfi_b32 v21, s82, v45, v21
	v_and_b32_e32 v45, 0x7fff0000, v53
	v_lshlrev_b32_e32 v51, 16, v53
	v_lshlrev_b32_e32 v52, 16, v54
	;; [unrolled: 1-line block ×3, first 2 shown]
	v_cndmask_b32_e32 v31, v61, v31, vcc
	v_cndmask_b32_e64 v32, v61, v32, s[10:11]
	v_cndmask_b32_e64 v33, v61, v33, s[16:17]
	;; [unrolled: 1-line block ×5, first 2 shown]
	v_bfi_b32 v18, s82, v18, v38
	v_bfi_b32 v16, s82, v43, v16
	;; [unrolled: 1-line block ×3, first 2 shown]
	v_bfe_u32 v40, v2, 16, 1
	v_mov_b32_e32 v43, s7
	v_add_co_u32_e32 v44, vcc, s6, v6
	v_bfi_b32 v20, s82, v20, v32
	v_bfi_b32 v32, s82, v51, v33
	v_bfi_b32 v33, s82, v45, v36
	v_bfi_b32 v36, s82, v52, v37
	v_bfi_b32 v37, s82, v53, v39
	v_bfe_u32 v39, v3, 16, 1
	v_add3_u32 v40, v2, v40, s81
	v_addc_co_u32_e32 v43, vcc, 0, v43, vcc
	v_add3_u32 v39, v3, v39, s81
	v_and_b32_e32 v40, 0xffff0000, v40
	v_cmp_o_f32_e32 vcc, v2, v2
	v_cndmask_b32_e64 v50, v61, v50, s[62:63]
	v_lshrrev_b32_e32 v39, 16, v39
	v_cndmask_b32_e32 v2, v61, v40, vcc
	v_mov_b32_e32 v40, 0x7fc0
	v_cmp_o_f32_e32 vcc, v3, v3
	v_bfi_b32 v42, s82, v42, v50
	v_cndmask_b32_e32 v3, v40, v39, vcc
	v_or_b32_e32 v2, v2, v3
	v_bfe_u32 v3, v42, 16, 1
	global_store_dword v6, v2, s[6:7]
	v_bfe_u32 v2, v41, 16, 1
	v_add3_u32 v3, v42, v3, s81
	v_add3_u32 v2, v41, v2, s81
	v_and_b32_e32 v3, 0xffff0000, v3
	v_cmp_o_f32_e32 vcc, v42, v42
	v_lshrrev_b32_e32 v2, 16, v2
	v_cndmask_b32_e32 v3, v61, v3, vcc
	v_cmp_o_f32_e32 vcc, v41, v41
	v_cndmask_b32_e32 v2, v40, v2, vcc
	v_or_b32_e32 v2, v3, v2
	v_bfe_u32 v3, v11, 16, 1
	global_store_dword v6, v2, s[6:7] offset:2048
	v_bfe_u32 v2, v13, 16, 1
	v_add3_u32 v3, v11, v3, s81
	v_add3_u32 v2, v13, v2, s81
	v_and_b32_e32 v3, 0xffff0000, v3
	v_cmp_o_f32_e32 vcc, v11, v11
	v_lshrrev_b32_e32 v2, 16, v2
	v_cndmask_b32_e32 v3, v61, v3, vcc
	v_cmp_o_f32_e32 vcc, v13, v13
	v_cndmask_b32_e32 v2, v40, v2, vcc
	v_or_b32_e32 v2, v3, v2
	v_bfe_u32 v3, v12, 16, 1
	global_store_dword v7, v2, s[6:7]
	v_bfe_u32 v2, v21, 16, 1
	v_add3_u32 v3, v12, v3, s81
	v_add3_u32 v2, v21, v2, s81
	v_and_b32_e32 v3, 0xffff0000, v3
	v_cmp_o_f32_e32 vcc, v12, v12
	v_lshrrev_b32_e32 v2, 16, v2
	v_cndmask_b32_e32 v3, v61, v3, vcc
	v_cmp_o_f32_e32 vcc, v21, v21
	v_cndmask_b32_e32 v2, v40, v2, vcc
	v_or_b32_e32 v6, v3, v2
	v_add_co_u32_e32 v2, vcc, s78, v44
	v_lshlrev_b32_e32 v46, 16, v46
	v_cndmask_b32_e64 v19, v61, v19, s[20:21]
	v_addc_co_u32_e32 v3, vcc, 0, v43, vcc
	v_bfi_b32 v19, s82, v46, v19
	global_store_dword v[2:3], v6, off offset:2048
	v_bfe_u32 v3, v24, 16, 1
	v_bfe_u32 v2, v19, 16, 1
	v_add3_u32 v3, v24, v3, s81
	v_add3_u32 v2, v19, v2, s81
	v_and_b32_e32 v3, 0xffff0000, v3
	v_cmp_o_f32_e32 vcc, v24, v24
	v_and_b32_e32 v50, 0x7fff0000, v47
	v_cndmask_b32_e64 v26, v61, v26, s[12:13]
	v_lshrrev_b32_e32 v2, 16, v2
	v_cndmask_b32_e32 v3, v61, v3, vcc
	v_cmp_o_f32_e32 vcc, v19, v19
	v_lshlrev_b32_e32 v47, 16, v47
	v_cndmask_b32_e64 v25, v61, v25, s[14:15]
	v_bfi_b32 v26, s82, v50, v26
	v_cndmask_b32_e32 v2, v40, v2, vcc
	v_bfi_b32 v25, s82, v47, v25
	v_or_b32_e32 v2, v3, v2
	v_bfe_u32 v3, v26, 16, 1
	global_store_dword v5, v2, s[6:7]
	v_bfe_u32 v2, v25, 16, 1
	v_add3_u32 v3, v26, v3, s81
	v_add3_u32 v2, v25, v2, s81
	v_and_b32_e32 v3, 0xffff0000, v3
	v_cmp_o_f32_e32 vcc, v26, v26
	v_lshrrev_b32_e32 v2, 16, v2
	v_cndmask_b32_e32 v3, v61, v3, vcc
	v_cmp_o_f32_e32 vcc, v25, v25
	v_cndmask_b32_e32 v2, v40, v2, vcc
	v_or_b32_e32 v5, v3, v2
	v_add_co_u32_e32 v2, vcc, s77, v44
	v_lshlrev_b32_e32 v48, 16, v48
	v_cndmask_b32_e64 v27, v61, v27, s[8:9]
	v_addc_co_u32_e32 v3, vcc, 0, v43, vcc
	v_bfi_b32 v27, s82, v48, v27
	global_store_dword v[2:3], v5, off offset:2048
	v_bfe_u32 v3, v30, 16, 1
	v_bfe_u32 v2, v27, 16, 1
	v_add3_u32 v3, v30, v3, s81
	v_add3_u32 v2, v27, v2, s81
	v_and_b32_e32 v3, 0xffff0000, v3
	v_cmp_o_f32_e32 vcc, v30, v30
	v_lshrrev_b32_e32 v2, 16, v2
	v_cndmask_b32_e32 v3, v61, v3, vcc
	v_cmp_o_f32_e32 vcc, v27, v27
	v_cndmask_b32_e32 v2, v40, v2, vcc
	v_lshlrev_b32_e32 v49, 16, v49
	v_or_b32_e32 v2, v3, v2
	v_bfi_b32 v31, s82, v49, v31
	global_store_dword v1, v2, s[6:7]
	v_bfe_u32 v2, v20, 16, 1
	v_bfe_u32 v1, v31, 16, 1
	v_add3_u32 v2, v20, v2, s81
	v_add3_u32 v1, v31, v1, s81
	v_and_b32_e32 v2, 0xffff0000, v2
	v_cmp_o_f32_e32 vcc, v20, v20
	v_lshrrev_b32_e32 v1, 16, v1
	v_cndmask_b32_e32 v2, v61, v2, vcc
	v_cmp_o_f32_e32 vcc, v31, v31
	v_cndmask_b32_e32 v1, v40, v1, vcc
	v_or_b32_e32 v1, v2, v1
	v_add_co_u32_e32 v2, vcc, s75, v44
	v_addc_co_u32_e32 v3, vcc, 0, v43, vcc
	global_store_dword v[2:3], v1, off offset:2048
	v_bfe_u32 v2, v33, 16, 1
	v_bfe_u32 v1, v32, 16, 1
	v_add3_u32 v2, v33, v2, s81
	v_add3_u32 v1, v32, v1, s81
	v_and_b32_e32 v2, 0xffff0000, v2
	v_cmp_o_f32_e32 vcc, v33, v33
	v_lshrrev_b32_e32 v1, 16, v1
	v_cndmask_b32_e32 v2, v61, v2, vcc
	v_cmp_o_f32_e32 vcc, v32, v32
	v_cndmask_b32_e32 v1, v40, v1, vcc
	v_or_b32_e32 v1, v2, v1
	v_bfe_u32 v2, v18, 16, 1
	global_store_dword v10, v1, s[6:7]
	v_bfe_u32 v1, v36, 16, 1
	v_add3_u32 v2, v18, v2, s81
	v_add3_u32 v1, v36, v1, s81
	v_and_b32_e32 v2, 0xffff0000, v2
	v_cmp_o_f32_e32 vcc, v18, v18
	v_lshrrev_b32_e32 v1, 16, v1
	v_cndmask_b32_e32 v2, v61, v2, vcc
	v_cmp_o_f32_e32 vcc, v36, v36
	v_cndmask_b32_e32 v1, v40, v1, vcc
	v_and_b32_e32 v46, 0x7fff0000, v55
	v_cndmask_b32_e64 v14, v61, v14, s[40:41]
	v_or_b32_e32 v1, v2, v1
	v_add_co_u32_e32 v2, vcc, s80, v44
	v_bfi_b32 v14, s82, v46, v14
	v_addc_co_u32_e32 v3, vcc, 0, v43, vcc
	global_store_dword v[2:3], v1, off offset:2048
	v_bfe_u32 v2, v14, 16, 1
	v_bfe_u32 v1, v37, 16, 1
	v_add3_u32 v2, v14, v2, s81
	v_add3_u32 v1, v37, v1, s81
	v_and_b32_e32 v2, 0xffff0000, v2
	v_cmp_o_f32_e32 vcc, v14, v14
	v_lshrrev_b32_e32 v1, 16, v1
	v_cndmask_b32_e32 v2, v61, v2, vcc
	v_cmp_o_f32_e32 vcc, v37, v37
	v_lshlrev_b32_e32 v54, 16, v56
	v_cndmask_b32_e64 v15, v61, v15, s[42:43]
	v_cndmask_b32_e32 v1, v40, v1, vcc
	v_bfi_b32 v15, s82, v54, v15
	v_or_b32_e32 v1, v2, v1
	v_bfe_u32 v2, v16, 16, 1
	global_store_dword v9, v1, s[6:7]
	v_bfe_u32 v1, v15, 16, 1
	v_add3_u32 v2, v16, v2, s81
	v_add3_u32 v1, v15, v1, s81
	v_and_b32_e32 v2, 0xffff0000, v2
	v_cmp_o_f32_e32 vcc, v16, v16
	v_lshrrev_b32_e32 v1, 16, v1
	v_cndmask_b32_e32 v2, v61, v2, vcc
	v_cmp_o_f32_e32 vcc, v15, v15
	v_cndmask_b32_e32 v1, v40, v1, vcc
	v_and_b32_e32 v47, 0x7fff0000, v57
	v_cndmask_b32_e64 v22, v61, v22, s[48:49]
	v_or_b32_e32 v1, v2, v1
	v_add_co_u32_e32 v2, vcc, s79, v44
	v_lshlrev_b32_e32 v55, 16, v57
	v_cndmask_b32_e64 v17, v61, v17, s[46:47]
	v_bfi_b32 v22, s82, v47, v22
	v_addc_co_u32_e32 v3, vcc, 0, v43, vcc
	v_bfi_b32 v17, s82, v55, v17
	global_store_dword v[2:3], v1, off offset:2048
	v_bfe_u32 v2, v22, 16, 1
	v_bfe_u32 v1, v17, 16, 1
	v_add3_u32 v2, v22, v2, s81
	v_add3_u32 v1, v17, v1, s81
	v_and_b32_e32 v2, 0xffff0000, v2
	v_cmp_o_f32_e32 vcc, v22, v22
	v_and_b32_e32 v50, 0x7fff0000, v58
	v_cndmask_b32_e64 v28, v61, v28, s[52:53]
	v_lshrrev_b32_e32 v1, 16, v1
	v_cndmask_b32_e32 v2, v61, v2, vcc
	v_cmp_o_f32_e32 vcc, v17, v17
	v_lshlrev_b32_e32 v56, 16, v58
	v_cndmask_b32_e64 v23, v61, v23, s[50:51]
	v_bfi_b32 v28, s82, v50, v28
	v_cndmask_b32_e32 v1, v40, v1, vcc
	v_bfi_b32 v23, s82, v56, v23
	v_or_b32_e32 v1, v2, v1
	v_bfe_u32 v2, v28, 16, 1
	global_store_dword v4, v1, s[6:7]
	v_bfe_u32 v1, v23, 16, 1
	v_add3_u32 v2, v28, v2, s81
	v_add3_u32 v1, v23, v1, s81
	v_and_b32_e32 v2, 0xffff0000, v2
	v_cmp_o_f32_e32 vcc, v28, v28
	v_lshrrev_b32_e32 v1, 16, v1
	v_cndmask_b32_e32 v2, v61, v2, vcc
	v_cmp_o_f32_e32 vcc, v23, v23
	v_cndmask_b32_e32 v1, v40, v1, vcc
	v_and_b32_e32 v48, 0x7fff0000, v59
	v_cndmask_b32_e64 v34, v61, v34, s[56:57]
	v_or_b32_e32 v1, v2, v1
	v_add_co_u32_e32 v2, vcc, s76, v44
	v_lshlrev_b32_e32 v57, 16, v59
	v_cndmask_b32_e64 v29, v61, v29, s[54:55]
	v_bfi_b32 v34, s82, v48, v34
	v_addc_co_u32_e32 v3, vcc, 0, v43, vcc
	v_bfi_b32 v29, s82, v57, v29
	global_store_dword v[2:3], v1, off offset:2048
	v_bfe_u32 v2, v34, 16, 1
	v_bfe_u32 v1, v29, 16, 1
	v_add3_u32 v2, v34, v2, s81
	v_add3_u32 v1, v29, v1, s81
	v_and_b32_e32 v2, 0xffff0000, v2
	v_cmp_o_f32_e32 vcc, v34, v34
	v_lshrrev_b32_e32 v1, 16, v1
	v_cndmask_b32_e32 v2, v61, v2, vcc
	v_cmp_o_f32_e32 vcc, v29, v29
	v_lshlrev_b32_e32 v58, 16, v60
	v_cndmask_b32_e64 v35, v61, v35, s[58:59]
	v_cndmask_b32_e32 v1, v40, v1, vcc
	v_bfi_b32 v35, s82, v58, v35
	v_or_b32_e32 v1, v2, v1
	v_bfe_u32 v2, v38, 16, 1
	global_store_dword v8, v1, s[6:7]
	v_bfe_u32 v1, v35, 16, 1
	v_add3_u32 v2, v38, v2, s81
	v_add3_u32 v1, v35, v1, s81
	v_and_b32_e32 v2, 0xffff0000, v2
	v_cmp_o_f32_e32 vcc, v38, v38
	v_lshrrev_b32_e32 v1, 16, v1
	v_cndmask_b32_e32 v2, v61, v2, vcc
	v_cmp_o_f32_e32 vcc, v35, v35
	v_cndmask_b32_e32 v1, v40, v1, vcc
	v_or_b32_e32 v1, v2, v1
	v_add_co_u32_e32 v2, vcc, 0x7000, v44
	v_addc_co_u32_e32 v3, vcc, 0, v43, vcc
	global_store_dword v[2:3], v1, off offset:2048
	s_cbranch_execnz .LBB103_2
.LBB103_4:
	s_load_dword s6, s[4:5], 0x24
	s_load_dwordx4 s[16:19], s[4:5], 0x28
	s_add_u32 s8, s4, 56
	s_addc_u32 s9, s5, 0
	s_mov_b32 s12, s33
	s_waitcnt lgkmcnt(0)
	v_lshrrev_b16_e64 v8, 8, s6
	v_mov_b32_e32 v31, v0
	v_mov_b32_e32 v0, s68
	;; [unrolled: 1-line block ×13, first 2 shown]
	s_getpc_b64 s[4:5]
	s_add_u32 s4, s4, _ZN2at6native25elementwise_kernel_helperILb1ENS0_13BinaryFunctorIfffZZZNS0_20copysign_kernel_cudaERNS_18TensorIteratorBaseEENKUlvE_clEvENKUlvE0_clEvEUlffE_EENS0_6memory8policies11unroll_baseILi512ESt5arrayIPcLm3EE23TrivialOffsetCalculatorILi2EjESF_ILi1EjENS9_12LoadWithCastILi2EEENS9_13StoreWithCastILi1EEELi32ELi1EEEEEvT0_T1_@rel32@lo+4
	s_addc_u32 s5, s5, _ZN2at6native25elementwise_kernel_helperILb1ENS0_13BinaryFunctorIfffZZZNS0_20copysign_kernel_cudaERNS_18TensorIteratorBaseEENKUlvE_clEvENKUlvE0_clEvEUlffE_EENS0_6memory8policies11unroll_baseILi512ESt5arrayIPcLm3EE23TrivialOffsetCalculatorILi2EjESF_ILi1EjENS9_12LoadWithCastILi2EEENS9_13StoreWithCastILi1EEELi32ELi1EEEEEvT0_T1_@rel32@hi+12
	s_swappc_b64 s[30:31], s[4:5]
	s_endpgm
	.section	.rodata,"a",@progbits
	.p2align	6, 0x0
	.amdhsa_kernel _ZN2at6native39vectorized_templated_elementwise_kernelILi2ENS0_13BinaryFunctorIfffZZZNS0_20copysign_kernel_cudaERNS_18TensorIteratorBaseEENKUlvE_clEvENKUlvE0_clEvEUlffE_EESt5arrayIPcLm3EE23TrivialOffsetCalculatorILi2EjESC_ILi1EjENS0_6memory12LoadWithCastILi2EEENSF_13StoreWithCastILi1EEEN3c108BFloat16EJSL_fEEEviT0_T1_T2_T3_T4_T5_
		.amdhsa_group_segment_fixed_size 0
		.amdhsa_private_segment_fixed_size 288
		.amdhsa_kernarg_size 312
		.amdhsa_user_sgpr_count 8
		.amdhsa_user_sgpr_private_segment_buffer 1
		.amdhsa_user_sgpr_dispatch_ptr 0
		.amdhsa_user_sgpr_queue_ptr 0
		.amdhsa_user_sgpr_kernarg_segment_ptr 1
		.amdhsa_user_sgpr_dispatch_id 0
		.amdhsa_user_sgpr_flat_scratch_init 1
		.amdhsa_user_sgpr_kernarg_preload_length 0
		.amdhsa_user_sgpr_kernarg_preload_offset 0
		.amdhsa_user_sgpr_private_segment_size 0
		.amdhsa_uses_dynamic_stack 0
		.amdhsa_system_sgpr_private_segment_wavefront_offset 1
		.amdhsa_system_sgpr_workgroup_id_x 1
		.amdhsa_system_sgpr_workgroup_id_y 0
		.amdhsa_system_sgpr_workgroup_id_z 0
		.amdhsa_system_sgpr_workgroup_info 0
		.amdhsa_system_vgpr_workitem_id 0
		.amdhsa_next_free_vgpr 120
		.amdhsa_next_free_sgpr 98
		.amdhsa_accum_offset 120
		.amdhsa_reserve_vcc 1
		.amdhsa_reserve_flat_scratch 1
		.amdhsa_float_round_mode_32 0
		.amdhsa_float_round_mode_16_64 0
		.amdhsa_float_denorm_mode_32 3
		.amdhsa_float_denorm_mode_16_64 3
		.amdhsa_dx10_clamp 1
		.amdhsa_ieee_mode 1
		.amdhsa_fp16_overflow 0
		.amdhsa_tg_split 0
		.amdhsa_exception_fp_ieee_invalid_op 0
		.amdhsa_exception_fp_denorm_src 0
		.amdhsa_exception_fp_ieee_div_zero 0
		.amdhsa_exception_fp_ieee_overflow 0
		.amdhsa_exception_fp_ieee_underflow 0
		.amdhsa_exception_fp_ieee_inexact 0
		.amdhsa_exception_int_div_zero 0
	.end_amdhsa_kernel
	.section	.text._ZN2at6native39vectorized_templated_elementwise_kernelILi2ENS0_13BinaryFunctorIfffZZZNS0_20copysign_kernel_cudaERNS_18TensorIteratorBaseEENKUlvE_clEvENKUlvE0_clEvEUlffE_EESt5arrayIPcLm3EE23TrivialOffsetCalculatorILi2EjESC_ILi1EjENS0_6memory12LoadWithCastILi2EEENSF_13StoreWithCastILi1EEEN3c108BFloat16EJSL_fEEEviT0_T1_T2_T3_T4_T5_,"axG",@progbits,_ZN2at6native39vectorized_templated_elementwise_kernelILi2ENS0_13BinaryFunctorIfffZZZNS0_20copysign_kernel_cudaERNS_18TensorIteratorBaseEENKUlvE_clEvENKUlvE0_clEvEUlffE_EESt5arrayIPcLm3EE23TrivialOffsetCalculatorILi2EjESC_ILi1EjENS0_6memory12LoadWithCastILi2EEENSF_13StoreWithCastILi1EEEN3c108BFloat16EJSL_fEEEviT0_T1_T2_T3_T4_T5_,comdat
.Lfunc_end103:
	.size	_ZN2at6native39vectorized_templated_elementwise_kernelILi2ENS0_13BinaryFunctorIfffZZZNS0_20copysign_kernel_cudaERNS_18TensorIteratorBaseEENKUlvE_clEvENKUlvE0_clEvEUlffE_EESt5arrayIPcLm3EE23TrivialOffsetCalculatorILi2EjESC_ILi1EjENS0_6memory12LoadWithCastILi2EEENSF_13StoreWithCastILi1EEEN3c108BFloat16EJSL_fEEEviT0_T1_T2_T3_T4_T5_, .Lfunc_end103-_ZN2at6native39vectorized_templated_elementwise_kernelILi2ENS0_13BinaryFunctorIfffZZZNS0_20copysign_kernel_cudaERNS_18TensorIteratorBaseEENKUlvE_clEvENKUlvE0_clEvEUlffE_EESt5arrayIPcLm3EE23TrivialOffsetCalculatorILi2EjESC_ILi1EjENS0_6memory12LoadWithCastILi2EEENSF_13StoreWithCastILi1EEEN3c108BFloat16EJSL_fEEEviT0_T1_T2_T3_T4_T5_
                                        ; -- End function
	.section	.AMDGPU.csdata,"",@progbits
; Kernel info:
; codeLenInByte = 3600
; NumSgprs: 104
; NumVgprs: 120
; NumAgprs: 0
; TotalNumVgprs: 120
; ScratchSize: 288
; MemoryBound: 0
; FloatMode: 240
; IeeeMode: 1
; LDSByteSize: 0 bytes/workgroup (compile time only)
; SGPRBlocks: 12
; VGPRBlocks: 14
; NumSGPRsForWavesPerEU: 104
; NumVGPRsForWavesPerEU: 120
; AccumOffset: 120
; Occupancy: 4
; WaveLimiterHint : 0
; COMPUTE_PGM_RSRC2:SCRATCH_EN: 1
; COMPUTE_PGM_RSRC2:USER_SGPR: 8
; COMPUTE_PGM_RSRC2:TRAP_HANDLER: 0
; COMPUTE_PGM_RSRC2:TGID_X_EN: 1
; COMPUTE_PGM_RSRC2:TGID_Y_EN: 0
; COMPUTE_PGM_RSRC2:TGID_Z_EN: 0
; COMPUTE_PGM_RSRC2:TIDIG_COMP_CNT: 0
; COMPUTE_PGM_RSRC3_GFX90A:ACCUM_OFFSET: 29
; COMPUTE_PGM_RSRC3_GFX90A:TG_SPLIT: 0
	.section	.text._ZN2at6native39vectorized_templated_elementwise_kernelILi8ENS0_13BinaryFunctorIfffZZZNS0_20copysign_kernel_cudaERNS_18TensorIteratorBaseEENKUlvE_clEvENKUlvE0_clEvEUlffE_EESt5arrayIPcLm3EE23TrivialOffsetCalculatorILi2EjESC_ILi1EjENS0_6memory12LoadWithCastILi2EEENSF_13StoreWithCastILi1EEEfJfN3c104HalfEEEEviT0_T1_T2_T3_T4_T5_,"axG",@progbits,_ZN2at6native39vectorized_templated_elementwise_kernelILi8ENS0_13BinaryFunctorIfffZZZNS0_20copysign_kernel_cudaERNS_18TensorIteratorBaseEENKUlvE_clEvENKUlvE0_clEvEUlffE_EESt5arrayIPcLm3EE23TrivialOffsetCalculatorILi2EjESC_ILi1EjENS0_6memory12LoadWithCastILi2EEENSF_13StoreWithCastILi1EEEfJfN3c104HalfEEEEviT0_T1_T2_T3_T4_T5_,comdat
	.globl	_ZN2at6native39vectorized_templated_elementwise_kernelILi8ENS0_13BinaryFunctorIfffZZZNS0_20copysign_kernel_cudaERNS_18TensorIteratorBaseEENKUlvE_clEvENKUlvE0_clEvEUlffE_EESt5arrayIPcLm3EE23TrivialOffsetCalculatorILi2EjESC_ILi1EjENS0_6memory12LoadWithCastILi2EEENSF_13StoreWithCastILi1EEEfJfN3c104HalfEEEEviT0_T1_T2_T3_T4_T5_ ; -- Begin function _ZN2at6native39vectorized_templated_elementwise_kernelILi8ENS0_13BinaryFunctorIfffZZZNS0_20copysign_kernel_cudaERNS_18TensorIteratorBaseEENKUlvE_clEvENKUlvE0_clEvEUlffE_EESt5arrayIPcLm3EE23TrivialOffsetCalculatorILi2EjESC_ILi1EjENS0_6memory12LoadWithCastILi2EEENSF_13StoreWithCastILi1EEEfJfN3c104HalfEEEEviT0_T1_T2_T3_T4_T5_
	.p2align	8
	.type	_ZN2at6native39vectorized_templated_elementwise_kernelILi8ENS0_13BinaryFunctorIfffZZZNS0_20copysign_kernel_cudaERNS_18TensorIteratorBaseEENKUlvE_clEvENKUlvE0_clEvEUlffE_EESt5arrayIPcLm3EE23TrivialOffsetCalculatorILi2EjESC_ILi1EjENS0_6memory12LoadWithCastILi2EEENSF_13StoreWithCastILi1EEEfJfN3c104HalfEEEEviT0_T1_T2_T3_T4_T5_,@function
_ZN2at6native39vectorized_templated_elementwise_kernelILi8ENS0_13BinaryFunctorIfffZZZNS0_20copysign_kernel_cudaERNS_18TensorIteratorBaseEENKUlvE_clEvENKUlvE0_clEvEUlffE_EESt5arrayIPcLm3EE23TrivialOffsetCalculatorILi2EjESC_ILi1EjENS0_6memory12LoadWithCastILi2EEENSF_13StoreWithCastILi1EEEfJfN3c104HalfEEEEviT0_T1_T2_T3_T4_T5_: ; @_ZN2at6native39vectorized_templated_elementwise_kernelILi8ENS0_13BinaryFunctorIfffZZZNS0_20copysign_kernel_cudaERNS_18TensorIteratorBaseEENKUlvE_clEvENKUlvE0_clEvEUlffE_EESt5arrayIPcLm3EE23TrivialOffsetCalculatorILi2EjESC_ILi1EjENS0_6memory12LoadWithCastILi2EEENSF_13StoreWithCastILi1EEEfJfN3c104HalfEEEEviT0_T1_T2_T3_T4_T5_
; %bb.0:
	s_add_u32 flat_scratch_lo, s6, s9
	s_addc_u32 flat_scratch_hi, s7, 0
	s_add_u32 s0, s0, s9
	s_mov_b32 s12, s8
	s_load_dword s8, s[4:5], 0x38
	s_load_dwordx2 s[6:7], s[4:5], 0x18
	s_load_dword s9, s[4:5], 0x0
	s_load_dwordx4 s[16:19], s[4:5], 0x8
	s_addc_u32 s1, s1, 0
	s_not_b32 s10, s12
	s_waitcnt lgkmcnt(0)
	s_add_i32 s8, s8, s10
	s_lshl_b32 s14, s8, 14
	s_sub_i32 s13, s9, s14
	s_cmpk_gt_i32 s13, 0x3fff
	s_mov_b64 s[8:9], -1
	s_mov_b32 s32, 0
	s_cbranch_scc1 .LBB104_3
; %bb.1:
	s_andn2_b64 vcc, exec, s[8:9]
	s_cbranch_vccz .LBB104_4
.LBB104_2:
	s_endpgm
.LBB104_3:
	s_ashr_i32 s15, s14, 31
	s_lshl_b64 s[8:9], s[14:15], 2
	s_add_u32 s10, s18, s8
	s_addc_u32 s11, s19, s9
	v_lshlrev_b32_e32 v1, 5, v0
	s_lshl_b64 s[14:15], s[14:15], 1
	v_mov_b32_e32 v6, s11
	s_add_u32 s20, s6, s14
	v_add_co_u32_e32 v46, vcc, s10, v1
	s_addc_u32 s21, s7, s15
	v_lshlrev_b32_e32 v14, 4, v0
	v_addc_co_u32_e32 v47, vcc, 0, v6, vcc
	v_mov_b32_e32 v15, s21
	v_add_co_u32_e32 v38, vcc, s20, v14
	v_addc_co_u32_e32 v39, vcc, 0, v15, vcc
	s_movk_i32 s15, 0x2000
	global_load_dwordx4 v[2:5], v14, s[20:21]
	v_add_co_u32_e32 v14, vcc, s15, v38
	s_movk_i32 s14, 0x4000
	v_addc_co_u32_e32 v15, vcc, 0, v39, vcc
	global_load_dwordx4 v[6:9], v1, s[10:11] offset:16
	global_load_dwordx4 v[10:13], v1, s[10:11]
	v_add_co_u32_e32 v18, vcc, s14, v46
	v_addc_co_u32_e32 v19, vcc, 0, v47, vcc
	v_or_b32_e32 v30, 0x400, v0
	v_add_co_u32_e32 v22, vcc, 0x4000, v46
	v_lshlrev_b32_e32 v26, 4, v30
	global_load_dwordx4 v[14:17], v[14:15], off
	v_addc_co_u32_e32 v23, vcc, 0, v47, vcc
	global_load_dwordx4 v[26:29], v26, s[20:21]
	s_movk_i32 s20, 0x6000
	global_load_dwordx4 v[18:21], v[18:19], off
	v_add_co_u32_e32 v38, vcc, s20, v38
	global_load_dwordx4 v[22:25], v[22:23], off offset:16
	s_mov_b32 s15, 0xc000
	v_addc_co_u32_e32 v39, vcc, 0, v39, vcc
	v_add_co_u32_e32 v42, vcc, s15, v46
	v_lshlrev_b32_e32 v50, 5, v30
	global_load_dwordx4 v[38:41], v[38:39], off
	v_addc_co_u32_e32 v43, vcc, 0, v47, vcc
	global_load_dwordx4 v[30:33], v50, s[10:11]
	global_load_dwordx4 v[34:37], v50, s[10:11] offset:16
	v_add_co_u32_e32 v46, vcc, 0xc000, v46
	global_load_dwordx4 v[42:45], v[42:43], off
	v_addc_co_u32_e32 v47, vcc, 0, v47, vcc
	global_load_dwordx4 v[46:49], v[46:47], off offset:16
	s_brev_b32 s10, -2
	s_add_u32 s8, s16, s8
	s_addc_u32 s9, s17, s9
	v_mov_b32_e32 v51, s9
	v_add_co_u32_e32 v52, vcc, s8, v1
	v_addc_co_u32_e32 v51, vcc, 0, v51, vcc
	s_waitcnt vmcnt(11)
	v_lshrrev_b32_e32 v53, 16, v2
	v_lshlrev_b32_e32 v2, 16, v2
	v_lshrrev_b32_e32 v54, 16, v3
	v_lshlrev_b32_e32 v3, 16, v3
	v_lshrrev_b32_e32 v55, 16, v4
	v_lshrrev_b32_e32 v57, 16, v5
	v_lshlrev_b32_e32 v58, 16, v5
	s_waitcnt vmcnt(9)
	v_bfi_b32 v2, s10, v10, v2
	v_lshlrev_b32_e32 v5, 16, v53
	v_lshlrev_b32_e32 v10, 16, v54
	;; [unrolled: 1-line block ×3, first 2 shown]
	v_bfi_b32 v4, s10, v12, v3
	v_bfi_b32 v3, s10, v11, v5
	;; [unrolled: 1-line block ×3, first 2 shown]
	v_lshlrev_b32_e32 v10, 16, v55
	v_bfi_b32 v7, s10, v7, v10
	v_lshlrev_b32_e32 v10, 16, v57
	v_bfi_b32 v9, s10, v9, v10
	s_waitcnt vmcnt(8)
	v_lshlrev_b32_e32 v10, 16, v14
	v_lshrrev_b32_e32 v11, 16, v14
	s_waitcnt vmcnt(6)
	v_bfi_b32 v10, s10, v18, v10
	v_lshrrev_b32_e32 v13, 16, v15
	v_lshlrev_b32_e32 v12, 16, v15
	v_lshrrev_b32_e32 v15, 16, v16
	v_lshrrev_b32_e32 v18, 16, v17
	v_lshlrev_b32_e32 v11, 16, v11
	v_lshlrev_b32_e32 v13, 16, v13
	v_lshlrev_b32_e32 v14, 16, v16
	v_lshlrev_b32_e32 v15, 16, v15
	v_lshlrev_b32_e32 v16, 16, v17
	v_lshlrev_b32_e32 v17, 16, v18
	v_bfi_b32 v6, s10, v6, v56
	v_bfi_b32 v8, s10, v8, v58
	;; [unrolled: 1-line block ×4, first 2 shown]
	s_waitcnt vmcnt(5)
	v_bfi_b32 v15, s10, v23, v15
	v_bfi_b32 v17, s10, v25, v17
	v_lshrrev_b32_e32 v19, 16, v26
	v_lshrrev_b32_e32 v21, 16, v27
	;; [unrolled: 1-line block ×4, first 2 shown]
	global_store_dwordx4 v1, v[2:5], s[8:9]
	global_store_dwordx4 v1, v[6:9], s[8:9] offset:16
	v_add_co_u32_e32 v2, vcc, s14, v52
	v_bfi_b32 v12, s10, v20, v12
	v_bfi_b32 v14, s10, v22, v14
	;; [unrolled: 1-line block ×3, first 2 shown]
	v_lshlrev_b32_e32 v18, 16, v26
	v_lshlrev_b32_e32 v19, 16, v19
	;; [unrolled: 1-line block ×8, first 2 shown]
	s_waitcnt vmcnt(6)
	v_lshrrev_b32_e32 v27, 16, v38
	v_lshrrev_b32_e32 v29, 16, v39
	v_addc_co_u32_e32 v3, vcc, 0, v51, vcc
	s_waitcnt vmcnt(5)
	v_bfi_b32 v18, s10, v30, v18
	v_bfi_b32 v19, s10, v31, v19
	;; [unrolled: 1-line block ×4, first 2 shown]
	s_waitcnt vmcnt(4)
	v_bfi_b32 v22, s10, v34, v22
	v_bfi_b32 v23, s10, v35, v23
	;; [unrolled: 1-line block ×4, first 2 shown]
	v_lshlrev_b32_e32 v26, 16, v38
	v_lshlrev_b32_e32 v27, 16, v27
	;; [unrolled: 1-line block ×4, first 2 shown]
	v_lshrrev_b32_e32 v31, 16, v40
	v_lshrrev_b32_e32 v33, 16, v41
	global_store_dwordx4 v[2:3], v[10:13], off
	global_store_dwordx4 v[2:3], v[14:17], off offset:16
	global_store_dwordx4 v50, v[18:21], s[8:9]
	global_store_dwordx4 v50, v[22:25], s[8:9] offset:16
	v_add_co_u32_e32 v2, vcc, 0xc000, v52
	s_waitcnt vmcnt(7)
	v_bfi_b32 v26, s10, v42, v26
	v_bfi_b32 v27, s10, v43, v27
	;; [unrolled: 1-line block ×4, first 2 shown]
	v_lshlrev_b32_e32 v30, 16, v40
	v_lshlrev_b32_e32 v31, 16, v31
	;; [unrolled: 1-line block ×4, first 2 shown]
	v_addc_co_u32_e32 v3, vcc, 0, v51, vcc
	s_waitcnt vmcnt(6)
	v_bfi_b32 v30, s10, v46, v30
	v_bfi_b32 v31, s10, v47, v31
	;; [unrolled: 1-line block ×4, first 2 shown]
	global_store_dwordx4 v[2:3], v[26:29], off
	global_store_dwordx4 v[2:3], v[30:33], off offset:16
	s_cbranch_execnz .LBB104_2
.LBB104_4:
	s_load_dword s10, s[4:5], 0x24
	s_load_dwordx4 s[20:23], s[4:5], 0x28
	s_add_u32 s8, s4, 56
	s_addc_u32 s9, s5, 0
	v_mov_b32_e32 v31, v0
	s_waitcnt lgkmcnt(0)
	v_lshrrev_b16_e64 v8, 8, s10
	v_mov_b32_e32 v0, s16
	v_mov_b32_e32 v1, s17
	v_mov_b32_e32 v2, s18
	v_mov_b32_e32 v3, s19
	v_mov_b32_e32 v4, s6
	v_mov_b32_e32 v5, s7
	v_mov_b32_e32 v6, s13
	v_mov_b32_e32 v7, s10
	v_mov_b32_e32 v9, s20
	v_mov_b32_e32 v10, s21
	v_mov_b32_e32 v11, s22
	v_mov_b32_e32 v12, s23
	s_getpc_b64 s[4:5]
	s_add_u32 s4, s4, _ZN2at6native25elementwise_kernel_helperILb1ENS0_13BinaryFunctorIfffZZZNS0_20copysign_kernel_cudaERNS_18TensorIteratorBaseEENKUlvE_clEvENKUlvE0_clEvEUlffE_EENS0_6memory8policies11unroll_baseILi512ESt5arrayIPcLm3EE23TrivialOffsetCalculatorILi2EjESF_ILi1EjENS9_12LoadWithCastILi2EEENS9_13StoreWithCastILi1EEELi32ELi1EEEEEvT0_T1_@rel32@lo+4
	s_addc_u32 s5, s5, _ZN2at6native25elementwise_kernel_helperILb1ENS0_13BinaryFunctorIfffZZZNS0_20copysign_kernel_cudaERNS_18TensorIteratorBaseEENKUlvE_clEvENKUlvE0_clEvEUlffE_EENS0_6memory8policies11unroll_baseILi512ESt5arrayIPcLm3EE23TrivialOffsetCalculatorILi2EjESF_ILi1EjENS9_12LoadWithCastILi2EEENS9_13StoreWithCastILi1EEELi32ELi1EEEEEvT0_T1_@rel32@hi+12
	s_swappc_b64 s[30:31], s[4:5]
	s_endpgm
	.section	.rodata,"a",@progbits
	.p2align	6, 0x0
	.amdhsa_kernel _ZN2at6native39vectorized_templated_elementwise_kernelILi8ENS0_13BinaryFunctorIfffZZZNS0_20copysign_kernel_cudaERNS_18TensorIteratorBaseEENKUlvE_clEvENKUlvE0_clEvEUlffE_EESt5arrayIPcLm3EE23TrivialOffsetCalculatorILi2EjESC_ILi1EjENS0_6memory12LoadWithCastILi2EEENSF_13StoreWithCastILi1EEEfJfN3c104HalfEEEEviT0_T1_T2_T3_T4_T5_
		.amdhsa_group_segment_fixed_size 0
		.amdhsa_private_segment_fixed_size 288
		.amdhsa_kernarg_size 312
		.amdhsa_user_sgpr_count 8
		.amdhsa_user_sgpr_private_segment_buffer 1
		.amdhsa_user_sgpr_dispatch_ptr 0
		.amdhsa_user_sgpr_queue_ptr 0
		.amdhsa_user_sgpr_kernarg_segment_ptr 1
		.amdhsa_user_sgpr_dispatch_id 0
		.amdhsa_user_sgpr_flat_scratch_init 1
		.amdhsa_user_sgpr_kernarg_preload_length 0
		.amdhsa_user_sgpr_kernarg_preload_offset 0
		.amdhsa_user_sgpr_private_segment_size 0
		.amdhsa_uses_dynamic_stack 0
		.amdhsa_system_sgpr_private_segment_wavefront_offset 1
		.amdhsa_system_sgpr_workgroup_id_x 1
		.amdhsa_system_sgpr_workgroup_id_y 0
		.amdhsa_system_sgpr_workgroup_id_z 0
		.amdhsa_system_sgpr_workgroup_info 0
		.amdhsa_system_vgpr_workitem_id 0
		.amdhsa_next_free_vgpr 120
		.amdhsa_next_free_sgpr 98
		.amdhsa_accum_offset 120
		.amdhsa_reserve_vcc 1
		.amdhsa_reserve_flat_scratch 1
		.amdhsa_float_round_mode_32 0
		.amdhsa_float_round_mode_16_64 0
		.amdhsa_float_denorm_mode_32 3
		.amdhsa_float_denorm_mode_16_64 3
		.amdhsa_dx10_clamp 1
		.amdhsa_ieee_mode 1
		.amdhsa_fp16_overflow 0
		.amdhsa_tg_split 0
		.amdhsa_exception_fp_ieee_invalid_op 0
		.amdhsa_exception_fp_denorm_src 0
		.amdhsa_exception_fp_ieee_div_zero 0
		.amdhsa_exception_fp_ieee_overflow 0
		.amdhsa_exception_fp_ieee_underflow 0
		.amdhsa_exception_fp_ieee_inexact 0
		.amdhsa_exception_int_div_zero 0
	.end_amdhsa_kernel
	.section	.text._ZN2at6native39vectorized_templated_elementwise_kernelILi8ENS0_13BinaryFunctorIfffZZZNS0_20copysign_kernel_cudaERNS_18TensorIteratorBaseEENKUlvE_clEvENKUlvE0_clEvEUlffE_EESt5arrayIPcLm3EE23TrivialOffsetCalculatorILi2EjESC_ILi1EjENS0_6memory12LoadWithCastILi2EEENSF_13StoreWithCastILi1EEEfJfN3c104HalfEEEEviT0_T1_T2_T3_T4_T5_,"axG",@progbits,_ZN2at6native39vectorized_templated_elementwise_kernelILi8ENS0_13BinaryFunctorIfffZZZNS0_20copysign_kernel_cudaERNS_18TensorIteratorBaseEENKUlvE_clEvENKUlvE0_clEvEUlffE_EESt5arrayIPcLm3EE23TrivialOffsetCalculatorILi2EjESC_ILi1EjENS0_6memory12LoadWithCastILi2EEENSF_13StoreWithCastILi1EEEfJfN3c104HalfEEEEviT0_T1_T2_T3_T4_T5_,comdat
.Lfunc_end104:
	.size	_ZN2at6native39vectorized_templated_elementwise_kernelILi8ENS0_13BinaryFunctorIfffZZZNS0_20copysign_kernel_cudaERNS_18TensorIteratorBaseEENKUlvE_clEvENKUlvE0_clEvEUlffE_EESt5arrayIPcLm3EE23TrivialOffsetCalculatorILi2EjESC_ILi1EjENS0_6memory12LoadWithCastILi2EEENSF_13StoreWithCastILi1EEEfJfN3c104HalfEEEEviT0_T1_T2_T3_T4_T5_, .Lfunc_end104-_ZN2at6native39vectorized_templated_elementwise_kernelILi8ENS0_13BinaryFunctorIfffZZZNS0_20copysign_kernel_cudaERNS_18TensorIteratorBaseEENKUlvE_clEvENKUlvE0_clEvEUlffE_EESt5arrayIPcLm3EE23TrivialOffsetCalculatorILi2EjESC_ILi1EjENS0_6memory12LoadWithCastILi2EEENSF_13StoreWithCastILi1EEEfJfN3c104HalfEEEEviT0_T1_T2_T3_T4_T5_
                                        ; -- End function
	.section	.AMDGPU.csdata,"",@progbits
; Kernel info:
; codeLenInByte = 1064
; NumSgprs: 104
; NumVgprs: 120
; NumAgprs: 0
; TotalNumVgprs: 120
; ScratchSize: 288
; MemoryBound: 0
; FloatMode: 240
; IeeeMode: 1
; LDSByteSize: 0 bytes/workgroup (compile time only)
; SGPRBlocks: 12
; VGPRBlocks: 14
; NumSGPRsForWavesPerEU: 104
; NumVGPRsForWavesPerEU: 120
; AccumOffset: 120
; Occupancy: 4
; WaveLimiterHint : 0
; COMPUTE_PGM_RSRC2:SCRATCH_EN: 1
; COMPUTE_PGM_RSRC2:USER_SGPR: 8
; COMPUTE_PGM_RSRC2:TRAP_HANDLER: 0
; COMPUTE_PGM_RSRC2:TGID_X_EN: 1
; COMPUTE_PGM_RSRC2:TGID_Y_EN: 0
; COMPUTE_PGM_RSRC2:TGID_Z_EN: 0
; COMPUTE_PGM_RSRC2:TIDIG_COMP_CNT: 0
; COMPUTE_PGM_RSRC3_GFX90A:ACCUM_OFFSET: 29
; COMPUTE_PGM_RSRC3_GFX90A:TG_SPLIT: 0
	.section	.text._ZN2at6native39vectorized_templated_elementwise_kernelILi4ENS0_13BinaryFunctorIfffZZZNS0_20copysign_kernel_cudaERNS_18TensorIteratorBaseEENKUlvE_clEvENKUlvE0_clEvEUlffE_EESt5arrayIPcLm3EE23TrivialOffsetCalculatorILi2EjESC_ILi1EjENS0_6memory12LoadWithCastILi2EEENSF_13StoreWithCastILi1EEEfJfN3c104HalfEEEEviT0_T1_T2_T3_T4_T5_,"axG",@progbits,_ZN2at6native39vectorized_templated_elementwise_kernelILi4ENS0_13BinaryFunctorIfffZZZNS0_20copysign_kernel_cudaERNS_18TensorIteratorBaseEENKUlvE_clEvENKUlvE0_clEvEUlffE_EESt5arrayIPcLm3EE23TrivialOffsetCalculatorILi2EjESC_ILi1EjENS0_6memory12LoadWithCastILi2EEENSF_13StoreWithCastILi1EEEfJfN3c104HalfEEEEviT0_T1_T2_T3_T4_T5_,comdat
	.globl	_ZN2at6native39vectorized_templated_elementwise_kernelILi4ENS0_13BinaryFunctorIfffZZZNS0_20copysign_kernel_cudaERNS_18TensorIteratorBaseEENKUlvE_clEvENKUlvE0_clEvEUlffE_EESt5arrayIPcLm3EE23TrivialOffsetCalculatorILi2EjESC_ILi1EjENS0_6memory12LoadWithCastILi2EEENSF_13StoreWithCastILi1EEEfJfN3c104HalfEEEEviT0_T1_T2_T3_T4_T5_ ; -- Begin function _ZN2at6native39vectorized_templated_elementwise_kernelILi4ENS0_13BinaryFunctorIfffZZZNS0_20copysign_kernel_cudaERNS_18TensorIteratorBaseEENKUlvE_clEvENKUlvE0_clEvEUlffE_EESt5arrayIPcLm3EE23TrivialOffsetCalculatorILi2EjESC_ILi1EjENS0_6memory12LoadWithCastILi2EEENSF_13StoreWithCastILi1EEEfJfN3c104HalfEEEEviT0_T1_T2_T3_T4_T5_
	.p2align	8
	.type	_ZN2at6native39vectorized_templated_elementwise_kernelILi4ENS0_13BinaryFunctorIfffZZZNS0_20copysign_kernel_cudaERNS_18TensorIteratorBaseEENKUlvE_clEvENKUlvE0_clEvEUlffE_EESt5arrayIPcLm3EE23TrivialOffsetCalculatorILi2EjESC_ILi1EjENS0_6memory12LoadWithCastILi2EEENSF_13StoreWithCastILi1EEEfJfN3c104HalfEEEEviT0_T1_T2_T3_T4_T5_,@function
_ZN2at6native39vectorized_templated_elementwise_kernelILi4ENS0_13BinaryFunctorIfffZZZNS0_20copysign_kernel_cudaERNS_18TensorIteratorBaseEENKUlvE_clEvENKUlvE0_clEvEUlffE_EESt5arrayIPcLm3EE23TrivialOffsetCalculatorILi2EjESC_ILi1EjENS0_6memory12LoadWithCastILi2EEENSF_13StoreWithCastILi1EEEfJfN3c104HalfEEEEviT0_T1_T2_T3_T4_T5_: ; @_ZN2at6native39vectorized_templated_elementwise_kernelILi4ENS0_13BinaryFunctorIfffZZZNS0_20copysign_kernel_cudaERNS_18TensorIteratorBaseEENKUlvE_clEvENKUlvE0_clEvEUlffE_EESt5arrayIPcLm3EE23TrivialOffsetCalculatorILi2EjESC_ILi1EjENS0_6memory12LoadWithCastILi2EEENSF_13StoreWithCastILi1EEEfJfN3c104HalfEEEEviT0_T1_T2_T3_T4_T5_
; %bb.0:
	s_add_u32 flat_scratch_lo, s6, s9
	s_addc_u32 flat_scratch_hi, s7, 0
	s_add_u32 s0, s0, s9
	s_mov_b32 s12, s8
	s_load_dword s8, s[4:5], 0x38
	s_load_dwordx2 s[6:7], s[4:5], 0x18
	s_load_dword s9, s[4:5], 0x0
	s_load_dwordx4 s[16:19], s[4:5], 0x8
	s_addc_u32 s1, s1, 0
	s_not_b32 s10, s12
	s_waitcnt lgkmcnt(0)
	s_add_i32 s8, s8, s10
	s_lshl_b32 s14, s8, 14
	s_sub_i32 s13, s9, s14
	s_cmpk_gt_i32 s13, 0x3fff
	s_mov_b64 s[8:9], -1
	s_mov_b32 s32, 0
	s_cbranch_scc1 .LBB105_3
; %bb.1:
	s_andn2_b64 vcc, exec, s[8:9]
	s_cbranch_vccz .LBB105_4
.LBB105_2:
	s_endpgm
.LBB105_3:
	s_ashr_i32 s15, s14, 31
	s_lshl_b64 s[8:9], s[14:15], 2
	s_add_u32 s10, s18, s8
	s_addc_u32 s11, s19, s9
	v_lshlrev_b32_e32 v1, 4, v0
	s_lshl_b64 s[14:15], s[14:15], 1
	v_mov_b32_e32 v2, s11
	v_add_co_u32_e32 v32, vcc, s10, v1
	s_add_u32 s14, s6, s14
	v_addc_co_u32_e32 v33, vcc, 0, v2, vcc
	s_addc_u32 s15, s7, s15
	v_lshlrev_b32_e32 v6, 3, v0
	v_mov_b32_e32 v2, s15
	v_add_co_u32_e32 v30, vcc, s14, v6
	v_addc_co_u32_e32 v31, vcc, 0, v2, vcc
	global_load_dwordx2 v[34:35], v6, s[14:15]
	global_load_dwordx4 v[2:5], v1, s[10:11]
	s_movk_i32 s21, 0x1000
	v_add_co_u32_e32 v6, vcc, s21, v30
	s_movk_i32 s20, 0x2000
	v_addc_co_u32_e32 v7, vcc, 0, v31, vcc
	global_load_dwordx2 v[36:37], v[6:7], off
	v_add_co_u32_e32 v6, vcc, s20, v32
	v_addc_co_u32_e32 v7, vcc, 0, v33, vcc
	global_load_dwordx4 v[6:9], v[6:7], off
	v_or_b32_e32 v10, 0x400, v0
	v_lshlrev_b32_e32 v50, 4, v10
	v_lshlrev_b32_e32 v14, 3, v10
	global_load_dwordx4 v[10:13], v50, s[10:11]
	global_load_dwordx2 v[38:39], v14, s[14:15]
	s_movk_i32 s22, 0x3000
	v_add_co_u32_e32 v14, vcc, s22, v30
	s_movk_i32 s21, 0x6000
	v_addc_co_u32_e32 v15, vcc, 0, v31, vcc
	global_load_dwordx2 v[40:41], v[14:15], off
	v_add_co_u32_e32 v14, vcc, s21, v32
	v_addc_co_u32_e32 v15, vcc, 0, v33, vcc
	global_load_dwordx4 v[14:17], v[14:15], off
	v_or_b32_e32 v18, 0x800, v0
	v_lshlrev_b32_e32 v51, 4, v18
	v_lshlrev_b32_e32 v22, 3, v18
	global_load_dwordx4 v[18:21], v51, s[10:11]
	global_load_dwordx2 v[42:43], v22, s[14:15]
	s_movk_i32 s23, 0x5000
	v_add_co_u32_e32 v22, vcc, s23, v30
	s_mov_b32 s22, 0xa000
	v_addc_co_u32_e32 v23, vcc, 0, v31, vcc
	global_load_dwordx2 v[44:45], v[22:23], off
	v_add_co_u32_e32 v22, vcc, s22, v32
	v_addc_co_u32_e32 v23, vcc, 0, v33, vcc
	global_load_dwordx4 v[22:25], v[22:23], off
	v_or_b32_e32 v26, 0xc00, v0
	v_lshlrev_b32_e32 v52, 4, v26
	v_lshlrev_b32_e32 v48, 3, v26
	global_load_dwordx4 v[26:29], v52, s[10:11]
	global_load_dwordx2 v[46:47], v48, s[14:15]
	s_movk_i32 s11, 0x7000
	v_add_co_u32_e32 v30, vcc, s11, v30
	s_mov_b32 s10, 0xe000
	v_addc_co_u32_e32 v31, vcc, 0, v31, vcc
	global_load_dwordx2 v[48:49], v[30:31], off
	v_add_co_u32_e32 v30, vcc, s10, v32
	v_addc_co_u32_e32 v31, vcc, 0, v33, vcc
	global_load_dwordx4 v[30:33], v[30:31], off
	s_brev_b32 s10, -2
	s_add_u32 s8, s16, s8
	s_addc_u32 s9, s17, s9
	v_mov_b32_e32 v53, s9
	v_add_co_u32_e32 v54, vcc, s8, v1
	v_addc_co_u32_e32 v53, vcc, 0, v53, vcc
	s_waitcnt vmcnt(15)
	v_lshrrev_b32_e32 v55, 16, v34
	v_lshlrev_b32_e32 v34, 16, v34
	s_waitcnt vmcnt(14)
	v_bfi_b32 v2, s10, v2, v34
	v_lshlrev_b32_e32 v34, 16, v55
	v_bfi_b32 v3, s10, v3, v34
	v_lshrrev_b32_e32 v34, 16, v35
	v_lshlrev_b32_e32 v34, 16, v34
	v_bfi_b32 v5, s10, v5, v34
	s_waitcnt vmcnt(13)
	v_lshrrev_b32_e32 v34, 16, v36
	v_lshlrev_b32_e32 v34, 16, v34
	v_lshlrev_b32_e32 v35, 16, v35
	v_bfi_b32 v4, s10, v4, v35
	v_lshlrev_b32_e32 v35, 16, v36
	s_waitcnt vmcnt(12)
	v_bfi_b32 v7, s10, v7, v34
	v_lshrrev_b32_e32 v34, 16, v37
	v_lshlrev_b32_e32 v34, 16, v34
	v_bfi_b32 v9, s10, v9, v34
	s_waitcnt vmcnt(10)
	v_lshrrev_b32_e32 v34, 16, v38
	v_lshlrev_b32_e32 v34, 16, v34
	v_bfi_b32 v11, s10, v11, v34
	v_lshrrev_b32_e32 v34, 16, v39
	v_lshlrev_b32_e32 v34, 16, v34
	v_bfi_b32 v13, s10, v13, v34
	v_bfi_b32 v6, s10, v6, v35
	s_waitcnt vmcnt(9)
	v_lshrrev_b32_e32 v34, 16, v40
	v_lshlrev_b32_e32 v34, 16, v34
	v_lshlrev_b32_e32 v35, 16, v37
	v_bfi_b32 v8, s10, v8, v35
	v_lshlrev_b32_e32 v35, 16, v38
	s_waitcnt vmcnt(8)
	v_bfi_b32 v15, s10, v15, v34
	v_lshrrev_b32_e32 v34, 16, v41
	v_lshlrev_b32_e32 v34, 16, v34
	v_bfi_b32 v17, s10, v17, v34
	s_waitcnt vmcnt(6)
	v_lshrrev_b32_e32 v34, 16, v42
	v_lshlrev_b32_e32 v34, 16, v34
	v_bfi_b32 v19, s10, v19, v34
	v_lshrrev_b32_e32 v34, 16, v43
	v_lshlrev_b32_e32 v34, 16, v34
	v_bfi_b32 v21, s10, v21, v34
	v_bfi_b32 v10, s10, v10, v35
	s_waitcnt vmcnt(5)
	v_lshrrev_b32_e32 v34, 16, v44
	v_lshlrev_b32_e32 v35, 16, v39
	v_lshlrev_b32_e32 v34, 16, v34
	v_bfi_b32 v12, s10, v12, v35
	v_lshlrev_b32_e32 v35, 16, v40
	s_waitcnt vmcnt(4)
	v_bfi_b32 v23, s10, v23, v34
	v_lshrrev_b32_e32 v34, 16, v45
	v_bfi_b32 v14, s10, v14, v35
	v_lshlrev_b32_e32 v35, 16, v41
	v_lshlrev_b32_e32 v34, 16, v34
	v_bfi_b32 v16, s10, v16, v35
	v_lshlrev_b32_e32 v35, 16, v42
	v_bfi_b32 v25, s10, v25, v34
	s_waitcnt vmcnt(2)
	v_lshrrev_b32_e32 v34, 16, v46
	v_bfi_b32 v18, s10, v18, v35
	v_lshlrev_b32_e32 v35, 16, v43
	v_lshlrev_b32_e32 v34, 16, v34
	global_store_dwordx4 v1, v[2:5], s[8:9]
	v_bfi_b32 v20, s10, v20, v35
	v_add_co_u32_e32 v2, vcc, s20, v54
	v_lshlrev_b32_e32 v35, 16, v44
	v_bfi_b32 v27, s10, v27, v34
	v_lshrrev_b32_e32 v34, 16, v47
	v_addc_co_u32_e32 v3, vcc, 0, v53, vcc
	v_bfi_b32 v22, s10, v22, v35
	v_lshlrev_b32_e32 v35, 16, v45
	v_lshlrev_b32_e32 v34, 16, v34
	global_store_dwordx4 v[2:3], v[6:9], off
	global_store_dwordx4 v50, v[10:13], s[8:9]
	v_add_co_u32_e32 v2, vcc, s21, v54
	v_bfi_b32 v24, s10, v24, v35
	v_lshlrev_b32_e32 v35, 16, v46
	v_bfi_b32 v29, s10, v29, v34
	s_waitcnt vmcnt(4)
	v_lshrrev_b32_e32 v34, 16, v48
	v_addc_co_u32_e32 v3, vcc, 0, v53, vcc
	v_bfi_b32 v26, s10, v26, v35
	v_lshlrev_b32_e32 v35, 16, v47
	v_lshlrev_b32_e32 v34, 16, v34
	global_store_dwordx4 v[2:3], v[14:17], off
	global_store_dwordx4 v51, v[18:21], s[8:9]
	v_add_co_u32_e32 v2, vcc, 0xa000, v54
	v_bfi_b32 v28, s10, v28, v35
	v_lshlrev_b32_e32 v35, 16, v48
	s_waitcnt vmcnt(5)
	v_bfi_b32 v31, s10, v31, v34
	v_lshrrev_b32_e32 v34, 16, v49
	v_addc_co_u32_e32 v3, vcc, 0, v53, vcc
	v_bfi_b32 v30, s10, v30, v35
	v_lshlrev_b32_e32 v35, 16, v49
	v_lshlrev_b32_e32 v34, 16, v34
	global_store_dwordx4 v[2:3], v[22:25], off
	global_store_dwordx4 v52, v[26:29], s[8:9]
	v_add_co_u32_e32 v2, vcc, 0xe000, v54
	v_bfi_b32 v32, s10, v32, v35
	v_bfi_b32 v33, s10, v33, v34
	v_addc_co_u32_e32 v3, vcc, 0, v53, vcc
	global_store_dwordx4 v[2:3], v[30:33], off
	s_cbranch_execnz .LBB105_2
.LBB105_4:
	s_load_dword s10, s[4:5], 0x24
	s_load_dwordx4 s[20:23], s[4:5], 0x28
	s_add_u32 s8, s4, 56
	s_addc_u32 s9, s5, 0
	v_mov_b32_e32 v31, v0
	s_waitcnt lgkmcnt(0)
	v_lshrrev_b16_e64 v8, 8, s10
	v_mov_b32_e32 v0, s16
	v_mov_b32_e32 v1, s17
	;; [unrolled: 1-line block ×12, first 2 shown]
	s_getpc_b64 s[4:5]
	s_add_u32 s4, s4, _ZN2at6native25elementwise_kernel_helperILb1ENS0_13BinaryFunctorIfffZZZNS0_20copysign_kernel_cudaERNS_18TensorIteratorBaseEENKUlvE_clEvENKUlvE0_clEvEUlffE_EENS0_6memory8policies11unroll_baseILi512ESt5arrayIPcLm3EE23TrivialOffsetCalculatorILi2EjESF_ILi1EjENS9_12LoadWithCastILi2EEENS9_13StoreWithCastILi1EEELi32ELi1EEEEEvT0_T1_@rel32@lo+4
	s_addc_u32 s5, s5, _ZN2at6native25elementwise_kernel_helperILb1ENS0_13BinaryFunctorIfffZZZNS0_20copysign_kernel_cudaERNS_18TensorIteratorBaseEENKUlvE_clEvENKUlvE0_clEvEUlffE_EENS0_6memory8policies11unroll_baseILi512ESt5arrayIPcLm3EE23TrivialOffsetCalculatorILi2EjESF_ILi1EjENS9_12LoadWithCastILi2EEENS9_13StoreWithCastILi1EEELi32ELi1EEEEEvT0_T1_@rel32@hi+12
	s_swappc_b64 s[30:31], s[4:5]
	s_endpgm
	.section	.rodata,"a",@progbits
	.p2align	6, 0x0
	.amdhsa_kernel _ZN2at6native39vectorized_templated_elementwise_kernelILi4ENS0_13BinaryFunctorIfffZZZNS0_20copysign_kernel_cudaERNS_18TensorIteratorBaseEENKUlvE_clEvENKUlvE0_clEvEUlffE_EESt5arrayIPcLm3EE23TrivialOffsetCalculatorILi2EjESC_ILi1EjENS0_6memory12LoadWithCastILi2EEENSF_13StoreWithCastILi1EEEfJfN3c104HalfEEEEviT0_T1_T2_T3_T4_T5_
		.amdhsa_group_segment_fixed_size 0
		.amdhsa_private_segment_fixed_size 288
		.amdhsa_kernarg_size 312
		.amdhsa_user_sgpr_count 8
		.amdhsa_user_sgpr_private_segment_buffer 1
		.amdhsa_user_sgpr_dispatch_ptr 0
		.amdhsa_user_sgpr_queue_ptr 0
		.amdhsa_user_sgpr_kernarg_segment_ptr 1
		.amdhsa_user_sgpr_dispatch_id 0
		.amdhsa_user_sgpr_flat_scratch_init 1
		.amdhsa_user_sgpr_kernarg_preload_length 0
		.amdhsa_user_sgpr_kernarg_preload_offset 0
		.amdhsa_user_sgpr_private_segment_size 0
		.amdhsa_uses_dynamic_stack 0
		.amdhsa_system_sgpr_private_segment_wavefront_offset 1
		.amdhsa_system_sgpr_workgroup_id_x 1
		.amdhsa_system_sgpr_workgroup_id_y 0
		.amdhsa_system_sgpr_workgroup_id_z 0
		.amdhsa_system_sgpr_workgroup_info 0
		.amdhsa_system_vgpr_workitem_id 0
		.amdhsa_next_free_vgpr 120
		.amdhsa_next_free_sgpr 98
		.amdhsa_accum_offset 120
		.amdhsa_reserve_vcc 1
		.amdhsa_reserve_flat_scratch 1
		.amdhsa_float_round_mode_32 0
		.amdhsa_float_round_mode_16_64 0
		.amdhsa_float_denorm_mode_32 3
		.amdhsa_float_denorm_mode_16_64 3
		.amdhsa_dx10_clamp 1
		.amdhsa_ieee_mode 1
		.amdhsa_fp16_overflow 0
		.amdhsa_tg_split 0
		.amdhsa_exception_fp_ieee_invalid_op 0
		.amdhsa_exception_fp_denorm_src 0
		.amdhsa_exception_fp_ieee_div_zero 0
		.amdhsa_exception_fp_ieee_overflow 0
		.amdhsa_exception_fp_ieee_underflow 0
		.amdhsa_exception_fp_ieee_inexact 0
		.amdhsa_exception_int_div_zero 0
	.end_amdhsa_kernel
	.section	.text._ZN2at6native39vectorized_templated_elementwise_kernelILi4ENS0_13BinaryFunctorIfffZZZNS0_20copysign_kernel_cudaERNS_18TensorIteratorBaseEENKUlvE_clEvENKUlvE0_clEvEUlffE_EESt5arrayIPcLm3EE23TrivialOffsetCalculatorILi2EjESC_ILi1EjENS0_6memory12LoadWithCastILi2EEENSF_13StoreWithCastILi1EEEfJfN3c104HalfEEEEviT0_T1_T2_T3_T4_T5_,"axG",@progbits,_ZN2at6native39vectorized_templated_elementwise_kernelILi4ENS0_13BinaryFunctorIfffZZZNS0_20copysign_kernel_cudaERNS_18TensorIteratorBaseEENKUlvE_clEvENKUlvE0_clEvEUlffE_EESt5arrayIPcLm3EE23TrivialOffsetCalculatorILi2EjESC_ILi1EjENS0_6memory12LoadWithCastILi2EEENSF_13StoreWithCastILi1EEEfJfN3c104HalfEEEEviT0_T1_T2_T3_T4_T5_,comdat
.Lfunc_end105:
	.size	_ZN2at6native39vectorized_templated_elementwise_kernelILi4ENS0_13BinaryFunctorIfffZZZNS0_20copysign_kernel_cudaERNS_18TensorIteratorBaseEENKUlvE_clEvENKUlvE0_clEvEUlffE_EESt5arrayIPcLm3EE23TrivialOffsetCalculatorILi2EjESC_ILi1EjENS0_6memory12LoadWithCastILi2EEENSF_13StoreWithCastILi1EEEfJfN3c104HalfEEEEviT0_T1_T2_T3_T4_T5_, .Lfunc_end105-_ZN2at6native39vectorized_templated_elementwise_kernelILi4ENS0_13BinaryFunctorIfffZZZNS0_20copysign_kernel_cudaERNS_18TensorIteratorBaseEENKUlvE_clEvENKUlvE0_clEvEUlffE_EESt5arrayIPcLm3EE23TrivialOffsetCalculatorILi2EjESC_ILi1EjENS0_6memory12LoadWithCastILi2EEENSF_13StoreWithCastILi1EEEfJfN3c104HalfEEEEviT0_T1_T2_T3_T4_T5_
                                        ; -- End function
	.section	.AMDGPU.csdata,"",@progbits
; Kernel info:
; codeLenInByte = 1188
; NumSgprs: 104
; NumVgprs: 120
; NumAgprs: 0
; TotalNumVgprs: 120
; ScratchSize: 288
; MemoryBound: 0
; FloatMode: 240
; IeeeMode: 1
; LDSByteSize: 0 bytes/workgroup (compile time only)
; SGPRBlocks: 12
; VGPRBlocks: 14
; NumSGPRsForWavesPerEU: 104
; NumVGPRsForWavesPerEU: 120
; AccumOffset: 120
; Occupancy: 4
; WaveLimiterHint : 0
; COMPUTE_PGM_RSRC2:SCRATCH_EN: 1
; COMPUTE_PGM_RSRC2:USER_SGPR: 8
; COMPUTE_PGM_RSRC2:TRAP_HANDLER: 0
; COMPUTE_PGM_RSRC2:TGID_X_EN: 1
; COMPUTE_PGM_RSRC2:TGID_Y_EN: 0
; COMPUTE_PGM_RSRC2:TGID_Z_EN: 0
; COMPUTE_PGM_RSRC2:TIDIG_COMP_CNT: 0
; COMPUTE_PGM_RSRC3_GFX90A:ACCUM_OFFSET: 29
; COMPUTE_PGM_RSRC3_GFX90A:TG_SPLIT: 0
	.section	.text._ZN2at6native39vectorized_templated_elementwise_kernelILi2ENS0_13BinaryFunctorIfffZZZNS0_20copysign_kernel_cudaERNS_18TensorIteratorBaseEENKUlvE_clEvENKUlvE0_clEvEUlffE_EESt5arrayIPcLm3EE23TrivialOffsetCalculatorILi2EjESC_ILi1EjENS0_6memory12LoadWithCastILi2EEENSF_13StoreWithCastILi1EEEfJfN3c104HalfEEEEviT0_T1_T2_T3_T4_T5_,"axG",@progbits,_ZN2at6native39vectorized_templated_elementwise_kernelILi2ENS0_13BinaryFunctorIfffZZZNS0_20copysign_kernel_cudaERNS_18TensorIteratorBaseEENKUlvE_clEvENKUlvE0_clEvEUlffE_EESt5arrayIPcLm3EE23TrivialOffsetCalculatorILi2EjESC_ILi1EjENS0_6memory12LoadWithCastILi2EEENSF_13StoreWithCastILi1EEEfJfN3c104HalfEEEEviT0_T1_T2_T3_T4_T5_,comdat
	.globl	_ZN2at6native39vectorized_templated_elementwise_kernelILi2ENS0_13BinaryFunctorIfffZZZNS0_20copysign_kernel_cudaERNS_18TensorIteratorBaseEENKUlvE_clEvENKUlvE0_clEvEUlffE_EESt5arrayIPcLm3EE23TrivialOffsetCalculatorILi2EjESC_ILi1EjENS0_6memory12LoadWithCastILi2EEENSF_13StoreWithCastILi1EEEfJfN3c104HalfEEEEviT0_T1_T2_T3_T4_T5_ ; -- Begin function _ZN2at6native39vectorized_templated_elementwise_kernelILi2ENS0_13BinaryFunctorIfffZZZNS0_20copysign_kernel_cudaERNS_18TensorIteratorBaseEENKUlvE_clEvENKUlvE0_clEvEUlffE_EESt5arrayIPcLm3EE23TrivialOffsetCalculatorILi2EjESC_ILi1EjENS0_6memory12LoadWithCastILi2EEENSF_13StoreWithCastILi1EEEfJfN3c104HalfEEEEviT0_T1_T2_T3_T4_T5_
	.p2align	8
	.type	_ZN2at6native39vectorized_templated_elementwise_kernelILi2ENS0_13BinaryFunctorIfffZZZNS0_20copysign_kernel_cudaERNS_18TensorIteratorBaseEENKUlvE_clEvENKUlvE0_clEvEUlffE_EESt5arrayIPcLm3EE23TrivialOffsetCalculatorILi2EjESC_ILi1EjENS0_6memory12LoadWithCastILi2EEENSF_13StoreWithCastILi1EEEfJfN3c104HalfEEEEviT0_T1_T2_T3_T4_T5_,@function
_ZN2at6native39vectorized_templated_elementwise_kernelILi2ENS0_13BinaryFunctorIfffZZZNS0_20copysign_kernel_cudaERNS_18TensorIteratorBaseEENKUlvE_clEvENKUlvE0_clEvEUlffE_EESt5arrayIPcLm3EE23TrivialOffsetCalculatorILi2EjESC_ILi1EjENS0_6memory12LoadWithCastILi2EEENSF_13StoreWithCastILi1EEEfJfN3c104HalfEEEEviT0_T1_T2_T3_T4_T5_: ; @_ZN2at6native39vectorized_templated_elementwise_kernelILi2ENS0_13BinaryFunctorIfffZZZNS0_20copysign_kernel_cudaERNS_18TensorIteratorBaseEENKUlvE_clEvENKUlvE0_clEvEUlffE_EESt5arrayIPcLm3EE23TrivialOffsetCalculatorILi2EjESC_ILi1EjENS0_6memory12LoadWithCastILi2EEENSF_13StoreWithCastILi1EEEfJfN3c104HalfEEEEviT0_T1_T2_T3_T4_T5_
; %bb.0:
	s_add_u32 flat_scratch_lo, s6, s9
	s_addc_u32 flat_scratch_hi, s7, 0
	s_add_u32 s0, s0, s9
	s_mov_b32 s12, s8
	s_load_dword s8, s[4:5], 0x38
	s_load_dwordx2 s[6:7], s[4:5], 0x18
	s_load_dword s9, s[4:5], 0x0
	s_load_dwordx4 s[16:19], s[4:5], 0x8
	s_addc_u32 s1, s1, 0
	s_not_b32 s10, s12
	s_waitcnt lgkmcnt(0)
	s_add_i32 s8, s8, s10
	s_lshl_b32 s14, s8, 14
	s_sub_i32 s13, s9, s14
	s_cmpk_gt_i32 s13, 0x3fff
	s_mov_b64 s[8:9], -1
	s_mov_b32 s32, 0
	s_cbranch_scc1 .LBB106_3
; %bb.1:
	s_andn2_b64 vcc, exec, s[8:9]
	s_cbranch_vccz .LBB106_4
.LBB106_2:
	s_endpgm
.LBB106_3:
	s_ashr_i32 s15, s14, 31
	s_lshl_b64 s[8:9], s[14:15], 2
	s_add_u32 s10, s18, s8
	s_addc_u32 s11, s19, s9
	s_lshl_b64 s[14:15], s[14:15], 1
	s_add_u32 s14, s6, s14
	s_addc_u32 s15, s7, s15
	v_lshlrev_b32_e32 v1, 2, v0
	global_load_dword v22, v1, s[14:15]
	v_lshlrev_b32_e32 v34, 3, v0
	v_mov_b32_e32 v10, s11
	v_add_co_u32_e32 v43, vcc, s10, v34
	s_movk_i32 s20, 0x1000
	v_addc_co_u32_e32 v44, vcc, 0, v10, vcc
	v_add_co_u32_e32 v10, vcc, s20, v43
	s_movk_i32 s22, 0x3000
	v_addc_co_u32_e32 v11, vcc, 0, v44, vcc
	v_add_co_u32_e32 v12, vcc, s22, v43
	s_movk_i32 s23, 0x5000
	v_addc_co_u32_e32 v13, vcc, 0, v44, vcc
	v_add_co_u32_e32 v14, vcc, s23, v43
	v_or_b32_e32 v2, 0x400, v0
	v_or_b32_e32 v3, 0x800, v0
	;; [unrolled: 1-line block ×7, first 2 shown]
	v_addc_co_u32_e32 v15, vcc, 0, v44, vcc
	v_lshlrev_b32_e32 v35, 3, v2
	v_lshlrev_b32_e32 v36, 3, v3
	;; [unrolled: 1-line block ×14, first 2 shown]
	global_load_dwordx2 v[2:3], v34, s[10:11]
	global_load_dwordx2 v[4:5], v35, s[10:11]
	;; [unrolled: 1-line block ×4, first 2 shown]
	v_mov_b32_e32 v23, s15
	global_load_dword v45, v1, s[14:15] offset:2048
	global_load_dword v46, v16, s[14:15]
	global_load_dword v47, v17, s[14:15]
	;; [unrolled: 1-line block ×6, first 2 shown]
	v_add_co_u32_e32 v1, vcc, s14, v1
	v_addc_co_u32_e32 v32, vcc, 0, v23, vcc
	global_load_dwordx2 v[16:17], v[10:11], off
	global_load_dwordx2 v[18:19], v[12:13], off
	;; [unrolled: 1-line block ×3, first 2 shown]
	v_add_co_u32_e32 v10, vcc, s20, v1
	s_movk_i32 s24, 0x2000
	v_addc_co_u32_e32 v11, vcc, 0, v32, vcc
	v_add_co_u32_e32 v12, vcc, s24, v1
	v_addc_co_u32_e32 v13, vcc, 0, v32, vcc
	global_load_dword v53, v[10:11], off offset:2048
	global_load_dword v54, v[12:13], off offset:2048
	s_movk_i32 s25, 0x7000
	v_add_co_u32_e32 v10, vcc, s25, v43
	v_addc_co_u32_e32 v11, vcc, 0, v44, vcc
	v_add_co_u32_e32 v12, vcc, s22, v1
	v_addc_co_u32_e32 v13, vcc, 0, v32, vcc
	s_mov_b32 s26, 0x9000
	global_load_dwordx2 v[10:11], v[10:11], off
	s_nop 0
	global_load_dword v57, v[12:13], off offset:2048
	global_load_dwordx2 v[14:15], v38, s[10:11]
	v_add_co_u32_e32 v12, vcc, s26, v43
	v_addc_co_u32_e32 v13, vcc, 0, v44, vcc
	s_movk_i32 s24, 0x4000
	global_load_dwordx2 v[12:13], v[12:13], off
	s_mov_b32 s27, 0xd000
	s_waitcnt vmcnt(20)
	v_lshrrev_b32_e32 v55, 16, v22
	v_lshlrev_b32_e32 v56, 16, v22
	v_add_co_u32_e32 v22, vcc, s24, v1
	v_addc_co_u32_e32 v23, vcc, 0, v32, vcc
	s_mov_b32 s24, 0xb000
	global_load_dword v58, v[22:23], off offset:2048
	v_add_co_u32_e32 v22, vcc, s24, v43
	v_addc_co_u32_e32 v23, vcc, 0, v44, vcc
	global_load_dwordx2 v[22:23], v[22:23], off
	v_add_co_u32_e32 v24, vcc, s23, v1
	v_addc_co_u32_e32 v25, vcc, 0, v32, vcc
	global_load_dword v59, v[24:25], off offset:2048
	global_load_dwordx2 v[26:27], v39, s[10:11]
	global_load_dwordx2 v[28:29], v40, s[10:11]
	v_add_co_u32_e32 v24, vcc, s27, v43
	v_addc_co_u32_e32 v25, vcc, 0, v44, vcc
	s_movk_i32 s27, 0x6000
	v_add_co_u32_e32 v30, vcc, s27, v1
	v_addc_co_u32_e32 v31, vcc, 0, v32, vcc
	global_load_dword v60, v[30:31], off offset:2048
	v_add_co_u32_e32 v30, vcc, s25, v1
	global_load_dwordx2 v[24:25], v[24:25], off
	v_addc_co_u32_e32 v31, vcc, 0, v32, vcc
	global_load_dwordx2 v[32:33], v41, s[10:11]
	global_load_dword v1, v42, s[14:15]
	s_mov_b32 s10, 0xf000
	global_load_dword v42, v[30:31], off offset:2048
	v_add_co_u32_e32 v30, vcc, s10, v43
	v_addc_co_u32_e32 v31, vcc, 0, v44, vcc
	global_load_dwordx2 v[30:31], v[30:31], off
	s_add_u32 s8, s16, s8
	s_brev_b32 s21, -2
	s_addc_u32 s9, s17, s9
	v_lshlrev_b32_e32 v43, 16, v55
	v_mov_b32_e32 v52, s9
	s_waitcnt vmcnt(30)
	v_bfi_b32 v3, s21, v3, v43
	v_add_co_u32_e32 v43, vcc, s8, v34
	v_addc_co_u32_e32 v44, vcc, 0, v52, vcc
	s_waitcnt vmcnt(26)
	v_lshrrev_b32_e32 v52, 16, v45
	v_lshlrev_b32_e32 v45, 16, v45
	s_waitcnt vmcnt(19)
	v_bfi_b32 v16, s21, v16, v45
	v_lshrrev_b32_e32 v45, 16, v46
	v_lshlrev_b32_e32 v45, 16, v45
	v_bfi_b32 v5, s21, v5, v45
	v_bfi_b32 v2, s21, v2, v56
	v_lshlrev_b32_e32 v52, 16, v52
	s_waitcnt vmcnt(16)
	v_lshrrev_b32_e32 v45, 16, v53
	v_lshlrev_b32_e32 v45, 16, v45
	v_bfi_b32 v19, s21, v19, v45
	v_lshrrev_b32_e32 v45, 16, v47
	v_lshlrev_b32_e32 v45, 16, v45
	v_bfi_b32 v7, s21, v7, v45
	s_waitcnt vmcnt(15)
	v_lshrrev_b32_e32 v45, 16, v54
	v_lshlrev_b32_e32 v45, 16, v45
	v_bfi_b32 v21, s21, v21, v45
	v_lshrrev_b32_e32 v45, 16, v48
	v_lshlrev_b32_e32 v45, 16, v45
	v_bfi_b32 v9, s21, v9, v45
	s_waitcnt vmcnt(13)
	v_lshrrev_b32_e32 v45, 16, v57
	v_lshlrev_b32_e32 v45, 16, v45
	v_bfi_b32 v11, s21, v11, v45
	v_lshrrev_b32_e32 v45, 16, v49
	v_lshlrev_b32_e32 v45, 16, v45
	global_store_dwordx2 v34, v[2:3], s[8:9]
	v_add_co_u32_e32 v2, vcc, s20, v43
	v_bfi_b32 v17, s21, v17, v52
	v_lshlrev_b32_e32 v46, 16, v46
	s_waitcnt vmcnt(13)
	v_bfi_b32 v15, s21, v15, v45
	v_addc_co_u32_e32 v3, vcc, 0, v44, vcc
	v_bfi_b32 v4, s21, v4, v46
	v_lshlrev_b32_e32 v46, 16, v53
	global_store_dwordx2 v[2:3], v[16:17], off
	global_store_dwordx2 v35, v[4:5], s[8:9]
	s_waitcnt vmcnt(13)
	v_lshrrev_b32_e32 v45, 16, v58
	v_lshlrev_b32_e32 v45, 16, v45
	v_add_co_u32_e32 v2, vcc, s22, v43
	v_bfi_b32 v18, s21, v18, v46
	v_lshlrev_b32_e32 v46, 16, v47
	v_bfi_b32 v13, s21, v13, v45
	v_lshrrev_b32_e32 v45, 16, v50
	v_addc_co_u32_e32 v3, vcc, 0, v44, vcc
	v_bfi_b32 v6, s21, v6, v46
	v_lshlrev_b32_e32 v46, 16, v54
	v_lshlrev_b32_e32 v45, 16, v45
	global_store_dwordx2 v[2:3], v[18:19], off
	global_store_dwordx2 v36, v[6:7], s[8:9]
	v_add_co_u32_e32 v2, vcc, s23, v43
	v_bfi_b32 v20, s21, v20, v46
	v_lshlrev_b32_e32 v46, 16, v48
	s_waitcnt vmcnt(12)
	v_bfi_b32 v27, s21, v27, v45
	v_lshrrev_b32_e32 v45, 16, v59
	v_addc_co_u32_e32 v3, vcc, 0, v44, vcc
	v_bfi_b32 v8, s21, v8, v46
	v_lshlrev_b32_e32 v46, 16, v57
	v_lshlrev_b32_e32 v45, 16, v45
	global_store_dwordx2 v[2:3], v[20:21], off
	global_store_dwordx2 v37, v[8:9], s[8:9]
	v_add_co_u32_e32 v2, vcc, s25, v43
	v_bfi_b32 v10, s21, v10, v46
	v_lshlrev_b32_e32 v46, 16, v49
	v_bfi_b32 v23, s21, v23, v45
	v_lshrrev_b32_e32 v45, 16, v51
	v_addc_co_u32_e32 v3, vcc, 0, v44, vcc
	v_bfi_b32 v14, s21, v14, v46
	v_lshlrev_b32_e32 v46, 16, v58
	v_lshlrev_b32_e32 v45, 16, v45
	global_store_dwordx2 v[2:3], v[10:11], off
	global_store_dwordx2 v38, v[14:15], s[8:9]
	v_add_co_u32_e32 v2, vcc, s26, v43
	v_bfi_b32 v12, s21, v12, v46
	v_lshlrev_b32_e32 v46, 16, v50
	s_waitcnt vmcnt(15)
	v_bfi_b32 v29, s21, v29, v45
	s_waitcnt vmcnt(14)
	v_lshrrev_b32_e32 v45, 16, v60
	v_addc_co_u32_e32 v3, vcc, 0, v44, vcc
	v_bfi_b32 v26, s21, v26, v46
	v_lshlrev_b32_e32 v46, 16, v59
	v_lshlrev_b32_e32 v45, 16, v45
	global_store_dwordx2 v[2:3], v[12:13], off
	global_store_dwordx2 v39, v[26:27], s[8:9]
	v_add_co_u32_e32 v2, vcc, s24, v43
	v_bfi_b32 v22, s21, v22, v46
	v_lshlrev_b32_e32 v46, 16, v51
	s_waitcnt vmcnt(15)
	v_bfi_b32 v25, s21, v25, v45
	s_waitcnt vmcnt(13)
	v_lshrrev_b32_e32 v45, 16, v1
	v_lshlrev_b32_e32 v1, 16, v1
	v_addc_co_u32_e32 v3, vcc, 0, v44, vcc
	v_bfi_b32 v28, s21, v28, v46
	v_lshlrev_b32_e32 v46, 16, v60
	v_bfi_b32 v32, s21, v32, v1
	v_lshlrev_b32_e32 v1, 16, v45
	global_store_dwordx2 v[2:3], v[22:23], off
	global_store_dwordx2 v40, v[28:29], s[8:9]
	v_add_co_u32_e32 v2, vcc, 0xd000, v43
	v_bfi_b32 v24, s21, v24, v46
	v_bfi_b32 v33, s21, v33, v1
	s_waitcnt vmcnt(14)
	v_lshrrev_b32_e32 v1, 16, v42
	v_addc_co_u32_e32 v3, vcc, 0, v44, vcc
	v_lshlrev_b32_e32 v42, 16, v42
	v_lshlrev_b32_e32 v1, 16, v1
	global_store_dwordx2 v[2:3], v[24:25], off
	global_store_dwordx2 v41, v[32:33], s[8:9]
	v_add_co_u32_e32 v2, vcc, 0xf000, v43
	s_waitcnt vmcnt(15)
	v_bfi_b32 v30, s21, v30, v42
	v_bfi_b32 v31, s21, v31, v1
	v_addc_co_u32_e32 v3, vcc, 0, v44, vcc
	global_store_dwordx2 v[2:3], v[30:31], off
	s_cbranch_execnz .LBB106_2
.LBB106_4:
	s_load_dword s10, s[4:5], 0x24
	s_load_dwordx4 s[20:23], s[4:5], 0x28
	s_add_u32 s8, s4, 56
	s_addc_u32 s9, s5, 0
	v_mov_b32_e32 v31, v0
	s_waitcnt lgkmcnt(0)
	v_lshrrev_b16_e64 v8, 8, s10
	v_mov_b32_e32 v0, s16
	v_mov_b32_e32 v1, s17
	;; [unrolled: 1-line block ×12, first 2 shown]
	s_getpc_b64 s[4:5]
	s_add_u32 s4, s4, _ZN2at6native25elementwise_kernel_helperILb1ENS0_13BinaryFunctorIfffZZZNS0_20copysign_kernel_cudaERNS_18TensorIteratorBaseEENKUlvE_clEvENKUlvE0_clEvEUlffE_EENS0_6memory8policies11unroll_baseILi512ESt5arrayIPcLm3EE23TrivialOffsetCalculatorILi2EjESF_ILi1EjENS9_12LoadWithCastILi2EEENS9_13StoreWithCastILi1EEELi32ELi1EEEEEvT0_T1_@rel32@lo+4
	s_addc_u32 s5, s5, _ZN2at6native25elementwise_kernel_helperILb1ENS0_13BinaryFunctorIfffZZZNS0_20copysign_kernel_cudaERNS_18TensorIteratorBaseEENKUlvE_clEvENKUlvE0_clEvEUlffE_EENS0_6memory8policies11unroll_baseILi512ESt5arrayIPcLm3EE23TrivialOffsetCalculatorILi2EjESF_ILi1EjENS9_12LoadWithCastILi2EEENS9_13StoreWithCastILi1EEELi32ELi1EEEEEvT0_T1_@rel32@hi+12
	s_swappc_b64 s[30:31], s[4:5]
	s_endpgm
	.section	.rodata,"a",@progbits
	.p2align	6, 0x0
	.amdhsa_kernel _ZN2at6native39vectorized_templated_elementwise_kernelILi2ENS0_13BinaryFunctorIfffZZZNS0_20copysign_kernel_cudaERNS_18TensorIteratorBaseEENKUlvE_clEvENKUlvE0_clEvEUlffE_EESt5arrayIPcLm3EE23TrivialOffsetCalculatorILi2EjESC_ILi1EjENS0_6memory12LoadWithCastILi2EEENSF_13StoreWithCastILi1EEEfJfN3c104HalfEEEEviT0_T1_T2_T3_T4_T5_
		.amdhsa_group_segment_fixed_size 0
		.amdhsa_private_segment_fixed_size 288
		.amdhsa_kernarg_size 312
		.amdhsa_user_sgpr_count 8
		.amdhsa_user_sgpr_private_segment_buffer 1
		.amdhsa_user_sgpr_dispatch_ptr 0
		.amdhsa_user_sgpr_queue_ptr 0
		.amdhsa_user_sgpr_kernarg_segment_ptr 1
		.amdhsa_user_sgpr_dispatch_id 0
		.amdhsa_user_sgpr_flat_scratch_init 1
		.amdhsa_user_sgpr_kernarg_preload_length 0
		.amdhsa_user_sgpr_kernarg_preload_offset 0
		.amdhsa_user_sgpr_private_segment_size 0
		.amdhsa_uses_dynamic_stack 0
		.amdhsa_system_sgpr_private_segment_wavefront_offset 1
		.amdhsa_system_sgpr_workgroup_id_x 1
		.amdhsa_system_sgpr_workgroup_id_y 0
		.amdhsa_system_sgpr_workgroup_id_z 0
		.amdhsa_system_sgpr_workgroup_info 0
		.amdhsa_system_vgpr_workitem_id 0
		.amdhsa_next_free_vgpr 120
		.amdhsa_next_free_sgpr 98
		.amdhsa_accum_offset 120
		.amdhsa_reserve_vcc 1
		.amdhsa_reserve_flat_scratch 1
		.amdhsa_float_round_mode_32 0
		.amdhsa_float_round_mode_16_64 0
		.amdhsa_float_denorm_mode_32 3
		.amdhsa_float_denorm_mode_16_64 3
		.amdhsa_dx10_clamp 1
		.amdhsa_ieee_mode 1
		.amdhsa_fp16_overflow 0
		.amdhsa_tg_split 0
		.amdhsa_exception_fp_ieee_invalid_op 0
		.amdhsa_exception_fp_denorm_src 0
		.amdhsa_exception_fp_ieee_div_zero 0
		.amdhsa_exception_fp_ieee_overflow 0
		.amdhsa_exception_fp_ieee_underflow 0
		.amdhsa_exception_fp_ieee_inexact 0
		.amdhsa_exception_int_div_zero 0
	.end_amdhsa_kernel
	.section	.text._ZN2at6native39vectorized_templated_elementwise_kernelILi2ENS0_13BinaryFunctorIfffZZZNS0_20copysign_kernel_cudaERNS_18TensorIteratorBaseEENKUlvE_clEvENKUlvE0_clEvEUlffE_EESt5arrayIPcLm3EE23TrivialOffsetCalculatorILi2EjESC_ILi1EjENS0_6memory12LoadWithCastILi2EEENSF_13StoreWithCastILi1EEEfJfN3c104HalfEEEEviT0_T1_T2_T3_T4_T5_,"axG",@progbits,_ZN2at6native39vectorized_templated_elementwise_kernelILi2ENS0_13BinaryFunctorIfffZZZNS0_20copysign_kernel_cudaERNS_18TensorIteratorBaseEENKUlvE_clEvENKUlvE0_clEvEUlffE_EESt5arrayIPcLm3EE23TrivialOffsetCalculatorILi2EjESC_ILi1EjENS0_6memory12LoadWithCastILi2EEENSF_13StoreWithCastILi1EEEfJfN3c104HalfEEEEviT0_T1_T2_T3_T4_T5_,comdat
.Lfunc_end106:
	.size	_ZN2at6native39vectorized_templated_elementwise_kernelILi2ENS0_13BinaryFunctorIfffZZZNS0_20copysign_kernel_cudaERNS_18TensorIteratorBaseEENKUlvE_clEvENKUlvE0_clEvEUlffE_EESt5arrayIPcLm3EE23TrivialOffsetCalculatorILi2EjESC_ILi1EjENS0_6memory12LoadWithCastILi2EEENSF_13StoreWithCastILi1EEEfJfN3c104HalfEEEEviT0_T1_T2_T3_T4_T5_, .Lfunc_end106-_ZN2at6native39vectorized_templated_elementwise_kernelILi2ENS0_13BinaryFunctorIfffZZZNS0_20copysign_kernel_cudaERNS_18TensorIteratorBaseEENKUlvE_clEvENKUlvE0_clEvEUlffE_EESt5arrayIPcLm3EE23TrivialOffsetCalculatorILi2EjESC_ILi1EjENS0_6memory12LoadWithCastILi2EEENSF_13StoreWithCastILi1EEEfJfN3c104HalfEEEEviT0_T1_T2_T3_T4_T5_
                                        ; -- End function
	.section	.AMDGPU.csdata,"",@progbits
; Kernel info:
; codeLenInByte = 1568
; NumSgprs: 104
; NumVgprs: 120
; NumAgprs: 0
; TotalNumVgprs: 120
; ScratchSize: 288
; MemoryBound: 0
; FloatMode: 240
; IeeeMode: 1
; LDSByteSize: 0 bytes/workgroup (compile time only)
; SGPRBlocks: 12
; VGPRBlocks: 14
; NumSGPRsForWavesPerEU: 104
; NumVGPRsForWavesPerEU: 120
; AccumOffset: 120
; Occupancy: 4
; WaveLimiterHint : 0
; COMPUTE_PGM_RSRC2:SCRATCH_EN: 1
; COMPUTE_PGM_RSRC2:USER_SGPR: 8
; COMPUTE_PGM_RSRC2:TRAP_HANDLER: 0
; COMPUTE_PGM_RSRC2:TGID_X_EN: 1
; COMPUTE_PGM_RSRC2:TGID_Y_EN: 0
; COMPUTE_PGM_RSRC2:TGID_Z_EN: 0
; COMPUTE_PGM_RSRC2:TIDIG_COMP_CNT: 0
; COMPUTE_PGM_RSRC3_GFX90A:ACCUM_OFFSET: 29
; COMPUTE_PGM_RSRC3_GFX90A:TG_SPLIT: 0
	.section	.text._ZN2at6native39vectorized_templated_elementwise_kernelILi8ENS0_13BinaryFunctorIfffZZZNS0_20copysign_kernel_cudaERNS_18TensorIteratorBaseEENKUlvE_clEvENKUlvE0_clEvEUlffE_EESt5arrayIPcLm3EE23TrivialOffsetCalculatorILi2EjESC_ILi1EjENS0_6memory12LoadWithCastILi2EEENSF_13StoreWithCastILi1EEEfJN3c104HalfEfEEEviT0_T1_T2_T3_T4_T5_,"axG",@progbits,_ZN2at6native39vectorized_templated_elementwise_kernelILi8ENS0_13BinaryFunctorIfffZZZNS0_20copysign_kernel_cudaERNS_18TensorIteratorBaseEENKUlvE_clEvENKUlvE0_clEvEUlffE_EESt5arrayIPcLm3EE23TrivialOffsetCalculatorILi2EjESC_ILi1EjENS0_6memory12LoadWithCastILi2EEENSF_13StoreWithCastILi1EEEfJN3c104HalfEfEEEviT0_T1_T2_T3_T4_T5_,comdat
	.globl	_ZN2at6native39vectorized_templated_elementwise_kernelILi8ENS0_13BinaryFunctorIfffZZZNS0_20copysign_kernel_cudaERNS_18TensorIteratorBaseEENKUlvE_clEvENKUlvE0_clEvEUlffE_EESt5arrayIPcLm3EE23TrivialOffsetCalculatorILi2EjESC_ILi1EjENS0_6memory12LoadWithCastILi2EEENSF_13StoreWithCastILi1EEEfJN3c104HalfEfEEEviT0_T1_T2_T3_T4_T5_ ; -- Begin function _ZN2at6native39vectorized_templated_elementwise_kernelILi8ENS0_13BinaryFunctorIfffZZZNS0_20copysign_kernel_cudaERNS_18TensorIteratorBaseEENKUlvE_clEvENKUlvE0_clEvEUlffE_EESt5arrayIPcLm3EE23TrivialOffsetCalculatorILi2EjESC_ILi1EjENS0_6memory12LoadWithCastILi2EEENSF_13StoreWithCastILi1EEEfJN3c104HalfEfEEEviT0_T1_T2_T3_T4_T5_
	.p2align	8
	.type	_ZN2at6native39vectorized_templated_elementwise_kernelILi8ENS0_13BinaryFunctorIfffZZZNS0_20copysign_kernel_cudaERNS_18TensorIteratorBaseEENKUlvE_clEvENKUlvE0_clEvEUlffE_EESt5arrayIPcLm3EE23TrivialOffsetCalculatorILi2EjESC_ILi1EjENS0_6memory12LoadWithCastILi2EEENSF_13StoreWithCastILi1EEEfJN3c104HalfEfEEEviT0_T1_T2_T3_T4_T5_,@function
_ZN2at6native39vectorized_templated_elementwise_kernelILi8ENS0_13BinaryFunctorIfffZZZNS0_20copysign_kernel_cudaERNS_18TensorIteratorBaseEENKUlvE_clEvENKUlvE0_clEvEUlffE_EESt5arrayIPcLm3EE23TrivialOffsetCalculatorILi2EjESC_ILi1EjENS0_6memory12LoadWithCastILi2EEENSF_13StoreWithCastILi1EEEfJN3c104HalfEfEEEviT0_T1_T2_T3_T4_T5_: ; @_ZN2at6native39vectorized_templated_elementwise_kernelILi8ENS0_13BinaryFunctorIfffZZZNS0_20copysign_kernel_cudaERNS_18TensorIteratorBaseEENKUlvE_clEvENKUlvE0_clEvEUlffE_EESt5arrayIPcLm3EE23TrivialOffsetCalculatorILi2EjESC_ILi1EjENS0_6memory12LoadWithCastILi2EEENSF_13StoreWithCastILi1EEEfJN3c104HalfEfEEEviT0_T1_T2_T3_T4_T5_
; %bb.0:
	s_add_u32 flat_scratch_lo, s6, s9
	s_addc_u32 flat_scratch_hi, s7, 0
	s_add_u32 s0, s0, s9
	s_mov_b32 s12, s8
	s_load_dword s8, s[4:5], 0x38
	s_load_dwordx2 s[6:7], s[4:5], 0x18
	s_load_dword s9, s[4:5], 0x0
	s_load_dwordx4 s[16:19], s[4:5], 0x8
	s_addc_u32 s1, s1, 0
	s_not_b32 s10, s12
	s_waitcnt lgkmcnt(0)
	s_add_i32 s8, s8, s10
	s_lshl_b32 s8, s8, 14
	s_sub_i32 s13, s9, s8
	s_cmpk_gt_i32 s13, 0x3fff
	s_mov_b64 s[10:11], -1
	s_mov_b32 s32, 0
	s_cbranch_scc1 .LBB107_3
; %bb.1:
	s_andn2_b64 vcc, exec, s[10:11]
	s_cbranch_vccz .LBB107_4
.LBB107_2:
	s_endpgm
.LBB107_3:
	s_ashr_i32 s9, s8, 31
	s_lshl_b64 s[10:11], s[8:9], 1
	s_add_u32 s10, s18, s10
	s_addc_u32 s11, s19, s11
	v_lshlrev_b32_e32 v1, 4, v0
	v_mov_b32_e32 v2, s11
	v_add_co_u32_e32 v38, vcc, s10, v1
	v_addc_co_u32_e32 v39, vcc, 0, v2, vcc
	s_lshl_b64 s[8:9], s[8:9], 2
	global_load_dwordx4 v[2:5], v1, s[10:11]
	s_movk_i32 s20, 0x2000
	s_add_u32 s14, s6, s8
	v_add_co_u32_e32 v18, vcc, s20, v38
	s_addc_u32 s15, s7, s9
	v_lshlrev_b32_e32 v1, 5, v0
	v_addc_co_u32_e32 v19, vcc, 0, v39, vcc
	global_load_dwordx4 v[6:9], v1, s[14:15]
	global_load_dwordx4 v[10:13], v[18:19], off
	global_load_dwordx4 v[14:17], v1, s[14:15] offset:16
	v_mov_b32_e32 v18, s15
	v_add_co_u32_e32 v42, vcc, s14, v1
	v_addc_co_u32_e32 v43, vcc, 0, v18, vcc
	s_movk_i32 s20, 0x4000
	v_add_co_u32_e32 v26, vcc, s20, v42
	v_addc_co_u32_e32 v27, vcc, 0, v43, vcc
	v_or_b32_e32 v30, 0x400, v0
	global_load_dwordx4 v[18:21], v[26:27], off
	global_load_dwordx4 v[22:25], v[26:27], off offset:16
	v_lshlrev_b32_e32 v26, 4, v30
	global_load_dwordx4 v[26:29], v26, s[10:11]
	s_movk_i32 s11, 0x6000
	v_add_co_u32_e32 v38, vcc, s11, v38
	v_lshlrev_b32_e32 v52, 5, v30
	v_addc_co_u32_e32 v39, vcc, 0, v39, vcc
	global_load_dwordx4 v[30:33], v52, s[14:15]
	global_load_dwordx4 v[34:37], v52, s[14:15] offset:16
	s_mov_b32 s10, 0xc000
	global_load_dwordx4 v[38:41], v[38:39], off
	v_add_co_u32_e32 v50, vcc, s10, v42
	v_addc_co_u32_e32 v51, vcc, 0, v43, vcc
	global_load_dwordx4 v[42:45], v[50:51], off
	global_load_dwordx4 v[46:49], v[50:51], off offset:16
	s_brev_b32 s10, -2
	s_add_u32 s8, s16, s8
	s_addc_u32 s9, s17, s9
	v_mov_b32_e32 v50, s9
	v_add_co_u32_e32 v51, vcc, s8, v1
	v_addc_co_u32_e32 v50, vcc, 0, v50, vcc
	s_waitcnt vmcnt(11)
	v_cvt_f32_f16_sdwa v53, v2 dst_sel:DWORD dst_unused:UNUSED_PAD src0_sel:WORD_1
	v_cvt_f32_f16_sdwa v54, v3 dst_sel:DWORD dst_unused:UNUSED_PAD src0_sel:WORD_1
	v_cvt_f32_f16_e32 v55, v3
	v_cvt_f32_f16_sdwa v56, v4 dst_sel:DWORD dst_unused:UNUSED_PAD src0_sel:WORD_1
	v_cvt_f32_f16_e32 v57, v4
	;; [unrolled: 2-line block ×3, first 2 shown]
	v_cvt_f32_f16_e32 v2, v2
	s_waitcnt vmcnt(10)
	v_bfi_b32 v3, s10, v53, v7
	s_waitcnt vmcnt(9)
	v_cvt_f32_f16_sdwa v53, v10 dst_sel:DWORD dst_unused:UNUSED_PAD src0_sel:WORD_1
	v_bfi_b32 v4, s10, v55, v8
	v_cvt_f32_f16_e32 v10, v10
	v_bfi_b32 v5, s10, v54, v9
	v_cvt_f32_f16_sdwa v54, v11 dst_sel:DWORD dst_unused:UNUSED_PAD src0_sel:WORD_1
	v_cvt_f32_f16_e32 v55, v11
	v_cvt_f32_f16_sdwa v60, v12 dst_sel:DWORD dst_unused:UNUSED_PAD src0_sel:WORD_1
	v_cvt_f32_f16_e32 v61, v12
	;; [unrolled: 2-line block ×3, first 2 shown]
	v_bfi_b32 v2, s10, v2, v6
	s_waitcnt vmcnt(7)
	v_bfi_b32 v10, s10, v10, v18
	v_bfi_b32 v11, s10, v53, v19
	;; [unrolled: 1-line block ×4, first 2 shown]
	s_waitcnt vmcnt(5)
	v_cvt_f32_f16_e32 v18, v26
	v_cvt_f32_f16_sdwa v19, v26 dst_sel:DWORD dst_unused:UNUSED_PAD src0_sel:WORD_1
	v_cvt_f32_f16_e32 v20, v27
	v_cvt_f32_f16_sdwa v21, v27 dst_sel:DWORD dst_unused:UNUSED_PAD src0_sel:WORD_1
	v_bfi_b32 v6, s10, v57, v14
	v_bfi_b32 v7, s10, v56, v15
	;; [unrolled: 1-line block ×8, first 2 shown]
	v_cvt_f32_f16_e32 v22, v28
	v_cvt_f32_f16_sdwa v23, v28 dst_sel:DWORD dst_unused:UNUSED_PAD src0_sel:WORD_1
	v_cvt_f32_f16_e32 v24, v29
	v_cvt_f32_f16_sdwa v25, v29 dst_sel:DWORD dst_unused:UNUSED_PAD src0_sel:WORD_1
	s_waitcnt vmcnt(2)
	v_cvt_f32_f16_e32 v26, v38
	v_cvt_f32_f16_sdwa v27, v38 dst_sel:DWORD dst_unused:UNUSED_PAD src0_sel:WORD_1
	v_cvt_f32_f16_e32 v28, v39
	v_cvt_f32_f16_sdwa v29, v39 dst_sel:DWORD dst_unused:UNUSED_PAD src0_sel:WORD_1
	v_bfi_b32 v18, s10, v18, v30
	v_bfi_b32 v19, s10, v19, v31
	;; [unrolled: 1-line block ×4, first 2 shown]
	v_cvt_f32_f16_e32 v30, v40
	v_cvt_f32_f16_sdwa v31, v40 dst_sel:DWORD dst_unused:UNUSED_PAD src0_sel:WORD_1
	v_cvt_f32_f16_e32 v32, v41
	v_cvt_f32_f16_sdwa v33, v41 dst_sel:DWORD dst_unused:UNUSED_PAD src0_sel:WORD_1
	global_store_dwordx4 v1, v[2:5], s[8:9]
	global_store_dwordx4 v1, v[6:9], s[8:9] offset:16
	v_add_co_u32_e32 v2, vcc, s20, v51
	v_addc_co_u32_e32 v3, vcc, 0, v50, vcc
	v_bfi_b32 v22, s10, v22, v34
	v_bfi_b32 v23, s10, v23, v35
	;; [unrolled: 1-line block ×4, first 2 shown]
	global_store_dwordx4 v[2:3], v[10:13], off
	global_store_dwordx4 v[2:3], v[14:17], off offset:16
	global_store_dwordx4 v52, v[18:21], s[8:9]
	global_store_dwordx4 v52, v[22:25], s[8:9] offset:16
	v_add_co_u32_e32 v2, vcc, 0xc000, v51
	s_waitcnt vmcnt(7)
	v_bfi_b32 v26, s10, v26, v42
	v_bfi_b32 v27, s10, v27, v43
	;; [unrolled: 1-line block ×4, first 2 shown]
	v_addc_co_u32_e32 v3, vcc, 0, v50, vcc
	s_waitcnt vmcnt(6)
	v_bfi_b32 v30, s10, v30, v46
	v_bfi_b32 v31, s10, v31, v47
	v_bfi_b32 v32, s10, v32, v48
	v_bfi_b32 v33, s10, v33, v49
	global_store_dwordx4 v[2:3], v[26:29], off
	global_store_dwordx4 v[2:3], v[30:33], off offset:16
	s_cbranch_execnz .LBB107_2
.LBB107_4:
	s_load_dword s10, s[4:5], 0x24
	s_load_dwordx4 s[20:23], s[4:5], 0x28
	s_add_u32 s8, s4, 56
	s_addc_u32 s9, s5, 0
	v_mov_b32_e32 v31, v0
	s_waitcnt lgkmcnt(0)
	v_lshrrev_b16_e64 v8, 8, s10
	v_mov_b32_e32 v0, s16
	v_mov_b32_e32 v1, s17
	;; [unrolled: 1-line block ×12, first 2 shown]
	s_getpc_b64 s[4:5]
	s_add_u32 s4, s4, _ZN2at6native25elementwise_kernel_helperILb1ENS0_13BinaryFunctorIfffZZZNS0_20copysign_kernel_cudaERNS_18TensorIteratorBaseEENKUlvE_clEvENKUlvE0_clEvEUlffE_EENS0_6memory8policies11unroll_baseILi512ESt5arrayIPcLm3EE23TrivialOffsetCalculatorILi2EjESF_ILi1EjENS9_12LoadWithCastILi2EEENS9_13StoreWithCastILi1EEELi32ELi1EEEEEvT0_T1_@rel32@lo+4
	s_addc_u32 s5, s5, _ZN2at6native25elementwise_kernel_helperILb1ENS0_13BinaryFunctorIfffZZZNS0_20copysign_kernel_cudaERNS_18TensorIteratorBaseEENKUlvE_clEvENKUlvE0_clEvEUlffE_EENS0_6memory8policies11unroll_baseILi512ESt5arrayIPcLm3EE23TrivialOffsetCalculatorILi2EjESF_ILi1EjENS9_12LoadWithCastILi2EEENS9_13StoreWithCastILi1EEELi32ELi1EEEEEvT0_T1_@rel32@hi+12
	s_swappc_b64 s[30:31], s[4:5]
	s_endpgm
	.section	.rodata,"a",@progbits
	.p2align	6, 0x0
	.amdhsa_kernel _ZN2at6native39vectorized_templated_elementwise_kernelILi8ENS0_13BinaryFunctorIfffZZZNS0_20copysign_kernel_cudaERNS_18TensorIteratorBaseEENKUlvE_clEvENKUlvE0_clEvEUlffE_EESt5arrayIPcLm3EE23TrivialOffsetCalculatorILi2EjESC_ILi1EjENS0_6memory12LoadWithCastILi2EEENSF_13StoreWithCastILi1EEEfJN3c104HalfEfEEEviT0_T1_T2_T3_T4_T5_
		.amdhsa_group_segment_fixed_size 0
		.amdhsa_private_segment_fixed_size 288
		.amdhsa_kernarg_size 312
		.amdhsa_user_sgpr_count 8
		.amdhsa_user_sgpr_private_segment_buffer 1
		.amdhsa_user_sgpr_dispatch_ptr 0
		.amdhsa_user_sgpr_queue_ptr 0
		.amdhsa_user_sgpr_kernarg_segment_ptr 1
		.amdhsa_user_sgpr_dispatch_id 0
		.amdhsa_user_sgpr_flat_scratch_init 1
		.amdhsa_user_sgpr_kernarg_preload_length 0
		.amdhsa_user_sgpr_kernarg_preload_offset 0
		.amdhsa_user_sgpr_private_segment_size 0
		.amdhsa_uses_dynamic_stack 0
		.amdhsa_system_sgpr_private_segment_wavefront_offset 1
		.amdhsa_system_sgpr_workgroup_id_x 1
		.amdhsa_system_sgpr_workgroup_id_y 0
		.amdhsa_system_sgpr_workgroup_id_z 0
		.amdhsa_system_sgpr_workgroup_info 0
		.amdhsa_system_vgpr_workitem_id 0
		.amdhsa_next_free_vgpr 120
		.amdhsa_next_free_sgpr 98
		.amdhsa_accum_offset 120
		.amdhsa_reserve_vcc 1
		.amdhsa_reserve_flat_scratch 1
		.amdhsa_float_round_mode_32 0
		.amdhsa_float_round_mode_16_64 0
		.amdhsa_float_denorm_mode_32 3
		.amdhsa_float_denorm_mode_16_64 3
		.amdhsa_dx10_clamp 1
		.amdhsa_ieee_mode 1
		.amdhsa_fp16_overflow 0
		.amdhsa_tg_split 0
		.amdhsa_exception_fp_ieee_invalid_op 0
		.amdhsa_exception_fp_denorm_src 0
		.amdhsa_exception_fp_ieee_div_zero 0
		.amdhsa_exception_fp_ieee_overflow 0
		.amdhsa_exception_fp_ieee_underflow 0
		.amdhsa_exception_fp_ieee_inexact 0
		.amdhsa_exception_int_div_zero 0
	.end_amdhsa_kernel
	.section	.text._ZN2at6native39vectorized_templated_elementwise_kernelILi8ENS0_13BinaryFunctorIfffZZZNS0_20copysign_kernel_cudaERNS_18TensorIteratorBaseEENKUlvE_clEvENKUlvE0_clEvEUlffE_EESt5arrayIPcLm3EE23TrivialOffsetCalculatorILi2EjESC_ILi1EjENS0_6memory12LoadWithCastILi2EEENSF_13StoreWithCastILi1EEEfJN3c104HalfEfEEEviT0_T1_T2_T3_T4_T5_,"axG",@progbits,_ZN2at6native39vectorized_templated_elementwise_kernelILi8ENS0_13BinaryFunctorIfffZZZNS0_20copysign_kernel_cudaERNS_18TensorIteratorBaseEENKUlvE_clEvENKUlvE0_clEvEUlffE_EESt5arrayIPcLm3EE23TrivialOffsetCalculatorILi2EjESC_ILi1EjENS0_6memory12LoadWithCastILi2EEENSF_13StoreWithCastILi1EEEfJN3c104HalfEfEEEviT0_T1_T2_T3_T4_T5_,comdat
.Lfunc_end107:
	.size	_ZN2at6native39vectorized_templated_elementwise_kernelILi8ENS0_13BinaryFunctorIfffZZZNS0_20copysign_kernel_cudaERNS_18TensorIteratorBaseEENKUlvE_clEvENKUlvE0_clEvEUlffE_EESt5arrayIPcLm3EE23TrivialOffsetCalculatorILi2EjESC_ILi1EjENS0_6memory12LoadWithCastILi2EEENSF_13StoreWithCastILi1EEEfJN3c104HalfEfEEEviT0_T1_T2_T3_T4_T5_, .Lfunc_end107-_ZN2at6native39vectorized_templated_elementwise_kernelILi8ENS0_13BinaryFunctorIfffZZZNS0_20copysign_kernel_cudaERNS_18TensorIteratorBaseEENKUlvE_clEvENKUlvE0_clEvEUlffE_EESt5arrayIPcLm3EE23TrivialOffsetCalculatorILi2EjESC_ILi1EjENS0_6memory12LoadWithCastILi2EEENSF_13StoreWithCastILi1EEEfJN3c104HalfEfEEEviT0_T1_T2_T3_T4_T5_
                                        ; -- End function
	.section	.AMDGPU.csdata,"",@progbits
; Kernel info:
; codeLenInByte = 1032
; NumSgprs: 104
; NumVgprs: 120
; NumAgprs: 0
; TotalNumVgprs: 120
; ScratchSize: 288
; MemoryBound: 0
; FloatMode: 240
; IeeeMode: 1
; LDSByteSize: 0 bytes/workgroup (compile time only)
; SGPRBlocks: 12
; VGPRBlocks: 14
; NumSGPRsForWavesPerEU: 104
; NumVGPRsForWavesPerEU: 120
; AccumOffset: 120
; Occupancy: 4
; WaveLimiterHint : 0
; COMPUTE_PGM_RSRC2:SCRATCH_EN: 1
; COMPUTE_PGM_RSRC2:USER_SGPR: 8
; COMPUTE_PGM_RSRC2:TRAP_HANDLER: 0
; COMPUTE_PGM_RSRC2:TGID_X_EN: 1
; COMPUTE_PGM_RSRC2:TGID_Y_EN: 0
; COMPUTE_PGM_RSRC2:TGID_Z_EN: 0
; COMPUTE_PGM_RSRC2:TIDIG_COMP_CNT: 0
; COMPUTE_PGM_RSRC3_GFX90A:ACCUM_OFFSET: 29
; COMPUTE_PGM_RSRC3_GFX90A:TG_SPLIT: 0
	.section	.text._ZN2at6native39vectorized_templated_elementwise_kernelILi4ENS0_13BinaryFunctorIfffZZZNS0_20copysign_kernel_cudaERNS_18TensorIteratorBaseEENKUlvE_clEvENKUlvE0_clEvEUlffE_EESt5arrayIPcLm3EE23TrivialOffsetCalculatorILi2EjESC_ILi1EjENS0_6memory12LoadWithCastILi2EEENSF_13StoreWithCastILi1EEEfJN3c104HalfEfEEEviT0_T1_T2_T3_T4_T5_,"axG",@progbits,_ZN2at6native39vectorized_templated_elementwise_kernelILi4ENS0_13BinaryFunctorIfffZZZNS0_20copysign_kernel_cudaERNS_18TensorIteratorBaseEENKUlvE_clEvENKUlvE0_clEvEUlffE_EESt5arrayIPcLm3EE23TrivialOffsetCalculatorILi2EjESC_ILi1EjENS0_6memory12LoadWithCastILi2EEENSF_13StoreWithCastILi1EEEfJN3c104HalfEfEEEviT0_T1_T2_T3_T4_T5_,comdat
	.globl	_ZN2at6native39vectorized_templated_elementwise_kernelILi4ENS0_13BinaryFunctorIfffZZZNS0_20copysign_kernel_cudaERNS_18TensorIteratorBaseEENKUlvE_clEvENKUlvE0_clEvEUlffE_EESt5arrayIPcLm3EE23TrivialOffsetCalculatorILi2EjESC_ILi1EjENS0_6memory12LoadWithCastILi2EEENSF_13StoreWithCastILi1EEEfJN3c104HalfEfEEEviT0_T1_T2_T3_T4_T5_ ; -- Begin function _ZN2at6native39vectorized_templated_elementwise_kernelILi4ENS0_13BinaryFunctorIfffZZZNS0_20copysign_kernel_cudaERNS_18TensorIteratorBaseEENKUlvE_clEvENKUlvE0_clEvEUlffE_EESt5arrayIPcLm3EE23TrivialOffsetCalculatorILi2EjESC_ILi1EjENS0_6memory12LoadWithCastILi2EEENSF_13StoreWithCastILi1EEEfJN3c104HalfEfEEEviT0_T1_T2_T3_T4_T5_
	.p2align	8
	.type	_ZN2at6native39vectorized_templated_elementwise_kernelILi4ENS0_13BinaryFunctorIfffZZZNS0_20copysign_kernel_cudaERNS_18TensorIteratorBaseEENKUlvE_clEvENKUlvE0_clEvEUlffE_EESt5arrayIPcLm3EE23TrivialOffsetCalculatorILi2EjESC_ILi1EjENS0_6memory12LoadWithCastILi2EEENSF_13StoreWithCastILi1EEEfJN3c104HalfEfEEEviT0_T1_T2_T3_T4_T5_,@function
_ZN2at6native39vectorized_templated_elementwise_kernelILi4ENS0_13BinaryFunctorIfffZZZNS0_20copysign_kernel_cudaERNS_18TensorIteratorBaseEENKUlvE_clEvENKUlvE0_clEvEUlffE_EESt5arrayIPcLm3EE23TrivialOffsetCalculatorILi2EjESC_ILi1EjENS0_6memory12LoadWithCastILi2EEENSF_13StoreWithCastILi1EEEfJN3c104HalfEfEEEviT0_T1_T2_T3_T4_T5_: ; @_ZN2at6native39vectorized_templated_elementwise_kernelILi4ENS0_13BinaryFunctorIfffZZZNS0_20copysign_kernel_cudaERNS_18TensorIteratorBaseEENKUlvE_clEvENKUlvE0_clEvEUlffE_EESt5arrayIPcLm3EE23TrivialOffsetCalculatorILi2EjESC_ILi1EjENS0_6memory12LoadWithCastILi2EEENSF_13StoreWithCastILi1EEEfJN3c104HalfEfEEEviT0_T1_T2_T3_T4_T5_
; %bb.0:
	s_add_u32 flat_scratch_lo, s6, s9
	s_addc_u32 flat_scratch_hi, s7, 0
	s_add_u32 s0, s0, s9
	s_mov_b32 s12, s8
	s_load_dword s8, s[4:5], 0x38
	s_load_dwordx2 s[6:7], s[4:5], 0x18
	s_load_dword s9, s[4:5], 0x0
	s_load_dwordx4 s[16:19], s[4:5], 0x8
	s_addc_u32 s1, s1, 0
	s_not_b32 s10, s12
	s_waitcnt lgkmcnt(0)
	s_add_i32 s8, s8, s10
	s_lshl_b32 s8, s8, 14
	s_sub_i32 s13, s9, s8
	s_cmpk_gt_i32 s13, 0x3fff
	s_mov_b64 s[10:11], -1
	s_mov_b32 s32, 0
	s_cbranch_scc1 .LBB108_3
; %bb.1:
	s_andn2_b64 vcc, exec, s[10:11]
	s_cbranch_vccz .LBB108_4
.LBB108_2:
	s_endpgm
.LBB108_3:
	s_ashr_i32 s9, s8, 31
	s_lshl_b64 s[10:11], s[8:9], 1
	s_add_u32 s10, s18, s10
	s_addc_u32 s11, s19, s11
	v_lshlrev_b32_e32 v1, 3, v0
	s_lshl_b64 s[8:9], s[8:9], 2
	v_mov_b32_e32 v2, s11
	v_add_co_u32_e32 v30, vcc, s10, v1
	s_add_u32 s14, s6, s8
	v_addc_co_u32_e32 v31, vcc, 0, v2, vcc
	s_addc_u32 s15, s7, s9
	v_lshlrev_b32_e32 v50, 4, v0
	v_mov_b32_e32 v2, s15
	v_add_co_u32_e32 v32, vcc, s14, v50
	v_addc_co_u32_e32 v33, vcc, 0, v2, vcc
	global_load_dwordx2 v[34:35], v1, s[10:11]
	global_load_dwordx4 v[2:5], v50, s[14:15]
	s_movk_i32 s20, 0x1000
	v_add_co_u32_e32 v6, vcc, s20, v30
	v_addc_co_u32_e32 v7, vcc, 0, v31, vcc
	global_load_dwordx2 v[36:37], v[6:7], off
	s_movk_i32 s20, 0x2000
	v_add_co_u32_e32 v6, vcc, s20, v32
	v_or_b32_e32 v10, 0x400, v0
	v_addc_co_u32_e32 v7, vcc, 0, v33, vcc
	v_lshlrev_b32_e32 v14, 3, v10
	global_load_dwordx4 v[6:9], v[6:7], off
	v_lshlrev_b32_e32 v51, 4, v10
	global_load_dwordx2 v[38:39], v14, s[10:11]
	global_load_dwordx4 v[10:13], v51, s[14:15]
	s_movk_i32 s21, 0x3000
	v_add_co_u32_e32 v14, vcc, s21, v30
	v_addc_co_u32_e32 v15, vcc, 0, v31, vcc
	global_load_dwordx2 v[40:41], v[14:15], off
	s_movk_i32 s21, 0x6000
	v_add_co_u32_e32 v14, vcc, s21, v32
	v_or_b32_e32 v18, 0x800, v0
	v_addc_co_u32_e32 v15, vcc, 0, v33, vcc
	v_lshlrev_b32_e32 v22, 3, v18
	global_load_dwordx4 v[14:17], v[14:15], off
	v_lshlrev_b32_e32 v52, 4, v18
	global_load_dwordx2 v[42:43], v22, s[10:11]
	global_load_dwordx4 v[18:21], v52, s[14:15]
	s_movk_i32 s22, 0x5000
	v_add_co_u32_e32 v22, vcc, s22, v30
	v_addc_co_u32_e32 v23, vcc, 0, v31, vcc
	global_load_dwordx2 v[44:45], v[22:23], off
	s_mov_b32 s22, 0xa000
	v_add_co_u32_e32 v22, vcc, s22, v32
	v_or_b32_e32 v1, 0xc00, v0
	v_addc_co_u32_e32 v23, vcc, 0, v33, vcc
	v_lshlrev_b32_e32 v48, 3, v1
	global_load_dwordx4 v[22:25], v[22:23], off
	v_lshlrev_b32_e32 v1, 4, v1
	global_load_dwordx2 v[46:47], v48, s[10:11]
	global_load_dwordx4 v[26:29], v1, s[14:15]
	s_movk_i32 s10, 0x7000
	v_add_co_u32_e32 v30, vcc, s10, v30
	v_addc_co_u32_e32 v31, vcc, 0, v31, vcc
	global_load_dwordx2 v[48:49], v[30:31], off
	s_mov_b32 s10, 0xe000
	v_add_co_u32_e32 v30, vcc, s10, v32
	v_addc_co_u32_e32 v31, vcc, 0, v33, vcc
	global_load_dwordx4 v[30:33], v[30:31], off
	s_brev_b32 s10, -2
	s_add_u32 s8, s16, s8
	s_addc_u32 s9, s17, s9
	v_mov_b32_e32 v53, s9
	v_add_co_u32_e32 v54, vcc, s8, v50
	v_addc_co_u32_e32 v53, vcc, 0, v53, vcc
	s_waitcnt vmcnt(15)
	v_cvt_f32_f16_sdwa v55, v34 dst_sel:DWORD dst_unused:UNUSED_PAD src0_sel:WORD_1
	v_cvt_f32_f16_e32 v34, v34
	v_cvt_f32_f16_e32 v56, v35
	v_cvt_f32_f16_sdwa v35, v35 dst_sel:DWORD dst_unused:UNUSED_PAD src0_sel:WORD_1
	s_waitcnt vmcnt(14)
	v_bfi_b32 v3, s10, v55, v3
	v_bfi_b32 v2, s10, v34, v2
	;; [unrolled: 1-line block ×4, first 2 shown]
	s_waitcnt vmcnt(13)
	v_cvt_f32_f16_e32 v34, v36
	v_cvt_f32_f16_sdwa v35, v36 dst_sel:DWORD dst_unused:UNUSED_PAD src0_sel:WORD_1
	v_cvt_f32_f16_e32 v36, v37
	v_cvt_f32_f16_sdwa v37, v37 dst_sel:DWORD dst_unused:UNUSED_PAD src0_sel:WORD_1
	global_store_dwordx4 v50, v[2:5], s[8:9]
	s_waitcnt vmcnt(13)
	v_bfi_b32 v6, s10, v34, v6
	v_bfi_b32 v7, s10, v35, v7
	v_bfi_b32 v8, s10, v36, v8
	v_bfi_b32 v9, s10, v37, v9
	s_waitcnt vmcnt(12)
	v_cvt_f32_f16_e32 v34, v38
	v_cvt_f32_f16_sdwa v35, v38 dst_sel:DWORD dst_unused:UNUSED_PAD src0_sel:WORD_1
	v_cvt_f32_f16_e32 v36, v39
	v_cvt_f32_f16_sdwa v37, v39 dst_sel:DWORD dst_unused:UNUSED_PAD src0_sel:WORD_1
	s_waitcnt vmcnt(11)
	v_bfi_b32 v10, s10, v34, v10
	v_bfi_b32 v11, s10, v35, v11
	v_bfi_b32 v12, s10, v36, v12
	v_bfi_b32 v13, s10, v37, v13
	s_waitcnt vmcnt(10)
	v_cvt_f32_f16_e32 v34, v40
	v_cvt_f32_f16_sdwa v35, v40 dst_sel:DWORD dst_unused:UNUSED_PAD src0_sel:WORD_1
	v_cvt_f32_f16_e32 v36, v41
	v_cvt_f32_f16_sdwa v37, v41 dst_sel:DWORD dst_unused:UNUSED_PAD src0_sel:WORD_1
	;; [unrolled: 10-line block ×5, first 2 shown]
	v_add_co_u32_e32 v2, vcc, s20, v54
	v_addc_co_u32_e32 v3, vcc, 0, v53, vcc
	global_store_dwordx4 v[2:3], v[6:9], off
	global_store_dwordx4 v51, v[10:13], s[8:9]
	v_add_co_u32_e32 v2, vcc, s21, v54
	s_waitcnt vmcnt(5)
	v_bfi_b32 v26, s10, v34, v26
	v_bfi_b32 v27, s10, v35, v27
	;; [unrolled: 1-line block ×4, first 2 shown]
	s_waitcnt vmcnt(4)
	v_cvt_f32_f16_e32 v34, v48
	v_cvt_f32_f16_sdwa v35, v48 dst_sel:DWORD dst_unused:UNUSED_PAD src0_sel:WORD_1
	v_cvt_f32_f16_e32 v36, v49
	v_cvt_f32_f16_sdwa v37, v49 dst_sel:DWORD dst_unused:UNUSED_PAD src0_sel:WORD_1
	v_addc_co_u32_e32 v3, vcc, 0, v53, vcc
	global_store_dwordx4 v[2:3], v[14:17], off
	global_store_dwordx4 v52, v[18:21], s[8:9]
	v_add_co_u32_e32 v2, vcc, 0xa000, v54
	v_addc_co_u32_e32 v3, vcc, 0, v53, vcc
	global_store_dwordx4 v[2:3], v[22:25], off
	global_store_dwordx4 v1, v[26:29], s[8:9]
	v_add_co_u32_e32 v2, vcc, 0xe000, v54
	s_waitcnt vmcnt(7)
	v_bfi_b32 v30, s10, v34, v30
	v_bfi_b32 v31, s10, v35, v31
	;; [unrolled: 1-line block ×4, first 2 shown]
	v_addc_co_u32_e32 v3, vcc, 0, v53, vcc
	global_store_dwordx4 v[2:3], v[30:33], off
	s_cbranch_execnz .LBB108_2
.LBB108_4:
	s_load_dword s10, s[4:5], 0x24
	s_load_dwordx4 s[20:23], s[4:5], 0x28
	s_add_u32 s8, s4, 56
	s_addc_u32 s9, s5, 0
	v_mov_b32_e32 v31, v0
	s_waitcnt lgkmcnt(0)
	v_lshrrev_b16_e64 v8, 8, s10
	v_mov_b32_e32 v0, s16
	v_mov_b32_e32 v1, s17
	;; [unrolled: 1-line block ×12, first 2 shown]
	s_getpc_b64 s[4:5]
	s_add_u32 s4, s4, _ZN2at6native25elementwise_kernel_helperILb1ENS0_13BinaryFunctorIfffZZZNS0_20copysign_kernel_cudaERNS_18TensorIteratorBaseEENKUlvE_clEvENKUlvE0_clEvEUlffE_EENS0_6memory8policies11unroll_baseILi512ESt5arrayIPcLm3EE23TrivialOffsetCalculatorILi2EjESF_ILi1EjENS9_12LoadWithCastILi2EEENS9_13StoreWithCastILi1EEELi32ELi1EEEEEvT0_T1_@rel32@lo+4
	s_addc_u32 s5, s5, _ZN2at6native25elementwise_kernel_helperILb1ENS0_13BinaryFunctorIfffZZZNS0_20copysign_kernel_cudaERNS_18TensorIteratorBaseEENKUlvE_clEvENKUlvE0_clEvEUlffE_EENS0_6memory8policies11unroll_baseILi512ESt5arrayIPcLm3EE23TrivialOffsetCalculatorILi2EjESF_ILi1EjENS9_12LoadWithCastILi2EEENS9_13StoreWithCastILi1EEELi32ELi1EEEEEvT0_T1_@rel32@hi+12
	s_swappc_b64 s[30:31], s[4:5]
	s_endpgm
	.section	.rodata,"a",@progbits
	.p2align	6, 0x0
	.amdhsa_kernel _ZN2at6native39vectorized_templated_elementwise_kernelILi4ENS0_13BinaryFunctorIfffZZZNS0_20copysign_kernel_cudaERNS_18TensorIteratorBaseEENKUlvE_clEvENKUlvE0_clEvEUlffE_EESt5arrayIPcLm3EE23TrivialOffsetCalculatorILi2EjESC_ILi1EjENS0_6memory12LoadWithCastILi2EEENSF_13StoreWithCastILi1EEEfJN3c104HalfEfEEEviT0_T1_T2_T3_T4_T5_
		.amdhsa_group_segment_fixed_size 0
		.amdhsa_private_segment_fixed_size 288
		.amdhsa_kernarg_size 312
		.amdhsa_user_sgpr_count 8
		.amdhsa_user_sgpr_private_segment_buffer 1
		.amdhsa_user_sgpr_dispatch_ptr 0
		.amdhsa_user_sgpr_queue_ptr 0
		.amdhsa_user_sgpr_kernarg_segment_ptr 1
		.amdhsa_user_sgpr_dispatch_id 0
		.amdhsa_user_sgpr_flat_scratch_init 1
		.amdhsa_user_sgpr_kernarg_preload_length 0
		.amdhsa_user_sgpr_kernarg_preload_offset 0
		.amdhsa_user_sgpr_private_segment_size 0
		.amdhsa_uses_dynamic_stack 0
		.amdhsa_system_sgpr_private_segment_wavefront_offset 1
		.amdhsa_system_sgpr_workgroup_id_x 1
		.amdhsa_system_sgpr_workgroup_id_y 0
		.amdhsa_system_sgpr_workgroup_id_z 0
		.amdhsa_system_sgpr_workgroup_info 0
		.amdhsa_system_vgpr_workitem_id 0
		.amdhsa_next_free_vgpr 120
		.amdhsa_next_free_sgpr 98
		.amdhsa_accum_offset 120
		.amdhsa_reserve_vcc 1
		.amdhsa_reserve_flat_scratch 1
		.amdhsa_float_round_mode_32 0
		.amdhsa_float_round_mode_16_64 0
		.amdhsa_float_denorm_mode_32 3
		.amdhsa_float_denorm_mode_16_64 3
		.amdhsa_dx10_clamp 1
		.amdhsa_ieee_mode 1
		.amdhsa_fp16_overflow 0
		.amdhsa_tg_split 0
		.amdhsa_exception_fp_ieee_invalid_op 0
		.amdhsa_exception_fp_denorm_src 0
		.amdhsa_exception_fp_ieee_div_zero 0
		.amdhsa_exception_fp_ieee_overflow 0
		.amdhsa_exception_fp_ieee_underflow 0
		.amdhsa_exception_fp_ieee_inexact 0
		.amdhsa_exception_int_div_zero 0
	.end_amdhsa_kernel
	.section	.text._ZN2at6native39vectorized_templated_elementwise_kernelILi4ENS0_13BinaryFunctorIfffZZZNS0_20copysign_kernel_cudaERNS_18TensorIteratorBaseEENKUlvE_clEvENKUlvE0_clEvEUlffE_EESt5arrayIPcLm3EE23TrivialOffsetCalculatorILi2EjESC_ILi1EjENS0_6memory12LoadWithCastILi2EEENSF_13StoreWithCastILi1EEEfJN3c104HalfEfEEEviT0_T1_T2_T3_T4_T5_,"axG",@progbits,_ZN2at6native39vectorized_templated_elementwise_kernelILi4ENS0_13BinaryFunctorIfffZZZNS0_20copysign_kernel_cudaERNS_18TensorIteratorBaseEENKUlvE_clEvENKUlvE0_clEvEUlffE_EESt5arrayIPcLm3EE23TrivialOffsetCalculatorILi2EjESC_ILi1EjENS0_6memory12LoadWithCastILi2EEENSF_13StoreWithCastILi1EEEfJN3c104HalfEfEEEviT0_T1_T2_T3_T4_T5_,comdat
.Lfunc_end108:
	.size	_ZN2at6native39vectorized_templated_elementwise_kernelILi4ENS0_13BinaryFunctorIfffZZZNS0_20copysign_kernel_cudaERNS_18TensorIteratorBaseEENKUlvE_clEvENKUlvE0_clEvEUlffE_EESt5arrayIPcLm3EE23TrivialOffsetCalculatorILi2EjESC_ILi1EjENS0_6memory12LoadWithCastILi2EEENSF_13StoreWithCastILi1EEEfJN3c104HalfEfEEEviT0_T1_T2_T3_T4_T5_, .Lfunc_end108-_ZN2at6native39vectorized_templated_elementwise_kernelILi4ENS0_13BinaryFunctorIfffZZZNS0_20copysign_kernel_cudaERNS_18TensorIteratorBaseEENKUlvE_clEvENKUlvE0_clEvEUlffE_EESt5arrayIPcLm3EE23TrivialOffsetCalculatorILi2EjESC_ILi1EjENS0_6memory12LoadWithCastILi2EEENSF_13StoreWithCastILi1EEEfJN3c104HalfEfEEEviT0_T1_T2_T3_T4_T5_
                                        ; -- End function
	.section	.AMDGPU.csdata,"",@progbits
; Kernel info:
; codeLenInByte = 1200
; NumSgprs: 104
; NumVgprs: 120
; NumAgprs: 0
; TotalNumVgprs: 120
; ScratchSize: 288
; MemoryBound: 0
; FloatMode: 240
; IeeeMode: 1
; LDSByteSize: 0 bytes/workgroup (compile time only)
; SGPRBlocks: 12
; VGPRBlocks: 14
; NumSGPRsForWavesPerEU: 104
; NumVGPRsForWavesPerEU: 120
; AccumOffset: 120
; Occupancy: 4
; WaveLimiterHint : 0
; COMPUTE_PGM_RSRC2:SCRATCH_EN: 1
; COMPUTE_PGM_RSRC2:USER_SGPR: 8
; COMPUTE_PGM_RSRC2:TRAP_HANDLER: 0
; COMPUTE_PGM_RSRC2:TGID_X_EN: 1
; COMPUTE_PGM_RSRC2:TGID_Y_EN: 0
; COMPUTE_PGM_RSRC2:TGID_Z_EN: 0
; COMPUTE_PGM_RSRC2:TIDIG_COMP_CNT: 0
; COMPUTE_PGM_RSRC3_GFX90A:ACCUM_OFFSET: 29
; COMPUTE_PGM_RSRC3_GFX90A:TG_SPLIT: 0
	.section	.text._ZN2at6native39vectorized_templated_elementwise_kernelILi2ENS0_13BinaryFunctorIfffZZZNS0_20copysign_kernel_cudaERNS_18TensorIteratorBaseEENKUlvE_clEvENKUlvE0_clEvEUlffE_EESt5arrayIPcLm3EE23TrivialOffsetCalculatorILi2EjESC_ILi1EjENS0_6memory12LoadWithCastILi2EEENSF_13StoreWithCastILi1EEEfJN3c104HalfEfEEEviT0_T1_T2_T3_T4_T5_,"axG",@progbits,_ZN2at6native39vectorized_templated_elementwise_kernelILi2ENS0_13BinaryFunctorIfffZZZNS0_20copysign_kernel_cudaERNS_18TensorIteratorBaseEENKUlvE_clEvENKUlvE0_clEvEUlffE_EESt5arrayIPcLm3EE23TrivialOffsetCalculatorILi2EjESC_ILi1EjENS0_6memory12LoadWithCastILi2EEENSF_13StoreWithCastILi1EEEfJN3c104HalfEfEEEviT0_T1_T2_T3_T4_T5_,comdat
	.globl	_ZN2at6native39vectorized_templated_elementwise_kernelILi2ENS0_13BinaryFunctorIfffZZZNS0_20copysign_kernel_cudaERNS_18TensorIteratorBaseEENKUlvE_clEvENKUlvE0_clEvEUlffE_EESt5arrayIPcLm3EE23TrivialOffsetCalculatorILi2EjESC_ILi1EjENS0_6memory12LoadWithCastILi2EEENSF_13StoreWithCastILi1EEEfJN3c104HalfEfEEEviT0_T1_T2_T3_T4_T5_ ; -- Begin function _ZN2at6native39vectorized_templated_elementwise_kernelILi2ENS0_13BinaryFunctorIfffZZZNS0_20copysign_kernel_cudaERNS_18TensorIteratorBaseEENKUlvE_clEvENKUlvE0_clEvEUlffE_EESt5arrayIPcLm3EE23TrivialOffsetCalculatorILi2EjESC_ILi1EjENS0_6memory12LoadWithCastILi2EEENSF_13StoreWithCastILi1EEEfJN3c104HalfEfEEEviT0_T1_T2_T3_T4_T5_
	.p2align	8
	.type	_ZN2at6native39vectorized_templated_elementwise_kernelILi2ENS0_13BinaryFunctorIfffZZZNS0_20copysign_kernel_cudaERNS_18TensorIteratorBaseEENKUlvE_clEvENKUlvE0_clEvEUlffE_EESt5arrayIPcLm3EE23TrivialOffsetCalculatorILi2EjESC_ILi1EjENS0_6memory12LoadWithCastILi2EEENSF_13StoreWithCastILi1EEEfJN3c104HalfEfEEEviT0_T1_T2_T3_T4_T5_,@function
_ZN2at6native39vectorized_templated_elementwise_kernelILi2ENS0_13BinaryFunctorIfffZZZNS0_20copysign_kernel_cudaERNS_18TensorIteratorBaseEENKUlvE_clEvENKUlvE0_clEvEUlffE_EESt5arrayIPcLm3EE23TrivialOffsetCalculatorILi2EjESC_ILi1EjENS0_6memory12LoadWithCastILi2EEENSF_13StoreWithCastILi1EEEfJN3c104HalfEfEEEviT0_T1_T2_T3_T4_T5_: ; @_ZN2at6native39vectorized_templated_elementwise_kernelILi2ENS0_13BinaryFunctorIfffZZZNS0_20copysign_kernel_cudaERNS_18TensorIteratorBaseEENKUlvE_clEvENKUlvE0_clEvEUlffE_EESt5arrayIPcLm3EE23TrivialOffsetCalculatorILi2EjESC_ILi1EjENS0_6memory12LoadWithCastILi2EEENSF_13StoreWithCastILi1EEEfJN3c104HalfEfEEEviT0_T1_T2_T3_T4_T5_
; %bb.0:
	s_add_u32 flat_scratch_lo, s6, s9
	s_addc_u32 flat_scratch_hi, s7, 0
	s_add_u32 s0, s0, s9
	s_mov_b32 s12, s8
	s_load_dword s8, s[4:5], 0x38
	s_load_dwordx2 s[6:7], s[4:5], 0x18
	s_load_dword s9, s[4:5], 0x0
	s_load_dwordx4 s[16:19], s[4:5], 0x8
	s_addc_u32 s1, s1, 0
	s_not_b32 s10, s12
	s_waitcnt lgkmcnt(0)
	s_add_i32 s8, s8, s10
	s_lshl_b32 s10, s8, 14
	s_sub_i32 s13, s9, s10
	s_cmpk_gt_i32 s13, 0x3fff
	s_mov_b64 s[8:9], -1
	s_mov_b32 s32, 0
	s_cbranch_scc1 .LBB109_3
; %bb.1:
	s_andn2_b64 vcc, exec, s[8:9]
	s_cbranch_vccz .LBB109_4
.LBB109_2:
	s_endpgm
.LBB109_3:
	s_ashr_i32 s11, s10, 31
	s_lshl_b64 s[8:9], s[10:11], 1
	s_add_u32 s8, s18, s8
	s_addc_u32 s9, s19, s9
	v_lshlrev_b32_e32 v1, 2, v0
	s_lshl_b64 s[10:11], s[10:11], 2
	v_mov_b32_e32 v2, s9
	v_add_co_u32_e32 v34, vcc, s8, v1
	s_add_u32 s14, s6, s10
	v_addc_co_u32_e32 v35, vcc, 0, v2, vcc
	s_addc_u32 s15, s7, s11
	v_lshlrev_b32_e32 v37, 3, v0
	v_mov_b32_e32 v9, s15
	v_add_co_u32_e32 v38, vcc, s14, v37
	v_or_b32_e32 v2, 0x400, v0
	s_movk_i32 s20, 0x1000
	v_addc_co_u32_e32 v39, vcc, 0, v9, vcc
	v_lshlrev_b32_e32 v20, 2, v2
	v_or_b32_e32 v3, 0x800, v0
	v_lshlrev_b32_e32 v40, 3, v2
	v_add_co_u32_e32 v2, vcc, s20, v38
	v_lshlrev_b32_e32 v21, 2, v3
	v_or_b32_e32 v4, 0xc00, v0
	v_lshlrev_b32_e32 v41, 3, v3
	v_addc_co_u32_e32 v3, vcc, 0, v39, vcc
	v_lshlrev_b32_e32 v22, 2, v4
	v_or_b32_e32 v5, 0x1000, v0
	v_lshlrev_b32_e32 v42, 3, v4
	v_add_co_u32_e32 v4, vcc, s20, v34
	v_lshlrev_b32_e32 v23, 2, v5
	v_lshlrev_b32_e32 v43, 3, v5
	v_addc_co_u32_e32 v5, vcc, 0, v35, vcc
	s_movk_i32 s21, 0x3000
	global_load_dword v47, v1, s[8:9]
	global_load_dword v48, v1, s[8:9] offset:2048
	v_or_b32_e32 v6, 0x1400, v0
	global_load_dword v1, v[4:5], off offset:2048
	v_add_co_u32_e32 v4, vcc, s21, v38
	v_addc_co_u32_e32 v5, vcc, 0, v39, vcc
	s_movk_i32 s22, 0x2000
	v_lshlrev_b32_e32 v28, 2, v6
	v_or_b32_e32 v7, 0x1800, v0
	v_lshlrev_b32_e32 v44, 3, v6
	v_add_co_u32_e32 v6, vcc, s22, v34
	v_lshlrev_b32_e32 v29, 2, v7
	v_lshlrev_b32_e32 v45, 3, v7
	v_addc_co_u32_e32 v7, vcc, 0, v35, vcc
	s_movk_i32 s22, 0x5000
	global_load_dword v49, v[6:7], off offset:2048
	v_add_co_u32_e32 v6, vcc, s22, v38
	v_or_b32_e32 v8, 0x1c00, v0
	v_addc_co_u32_e32 v7, vcc, 0, v39, vcc
	v_lshlrev_b32_e32 v36, 2, v8
	v_lshlrev_b32_e32 v46, 3, v8
	global_load_dwordx2 v[2:3], v[2:3], off
	s_movk_i32 s23, 0x7000
	global_load_dwordx2 v[4:5], v[4:5], off
	s_nop 0
	global_load_dwordx2 v[8:9], v[6:7], off
	global_load_dwordx2 v[10:11], v37, s[14:15]
	global_load_dwordx2 v[12:13], v40, s[14:15]
	;; [unrolled: 1-line block ×4, first 2 shown]
	v_add_co_u32_e32 v6, vcc, s21, v34
	v_addc_co_u32_e32 v7, vcc, 0, v35, vcc
	global_load_dword v50, v[6:7], off offset:2048
	v_add_co_u32_e32 v6, vcc, s23, v38
	v_addc_co_u32_e32 v7, vcc, 0, v39, vcc
	global_load_dwordx2 v[18:19], v[6:7], off
	global_load_dword v51, v20, s[8:9]
	global_load_dword v52, v21, s[8:9]
	;; [unrolled: 1-line block ×4, first 2 shown]
	s_movk_i32 s24, 0x4000
	v_add_co_u32_e32 v6, vcc, s24, v34
	v_addc_co_u32_e32 v7, vcc, 0, v35, vcc
	s_mov_b32 s24, 0x9000
	global_load_dword v55, v[6:7], off offset:2048
	v_add_co_u32_e32 v6, vcc, s24, v38
	v_addc_co_u32_e32 v7, vcc, 0, v39, vcc
	global_load_dwordx2 v[20:21], v[6:7], off
	global_load_dwordx2 v[22:23], v43, s[14:15]
	global_load_dwordx2 v[24:25], v44, s[14:15]
	v_add_co_u32_e32 v6, vcc, s22, v34
	v_addc_co_u32_e32 v7, vcc, 0, v35, vcc
	s_mov_b32 s25, 0xb000
	global_load_dword v56, v[6:7], off offset:2048
	v_add_co_u32_e32 v6, vcc, s25, v38
	v_addc_co_u32_e32 v7, vcc, 0, v39, vcc
	global_load_dwordx2 v[26:27], v[6:7], off
	global_load_dword v57, v28, s[8:9]
	global_load_dword v58, v29, s[8:9]
	s_movk_i32 s26, 0x6000
	v_add_co_u32_e32 v6, vcc, s26, v34
	v_addc_co_u32_e32 v7, vcc, 0, v35, vcc
	s_mov_b32 s26, 0xd000
	global_load_dword v59, v[6:7], off offset:2048
	v_add_co_u32_e32 v6, vcc, s26, v38
	v_addc_co_u32_e32 v7, vcc, 0, v39, vcc
	global_load_dwordx2 v[28:29], v[6:7], off
	global_load_dword v60, v36, s[8:9]
	global_load_dwordx2 v[30:31], v45, s[14:15]
	global_load_dwordx2 v[32:33], v46, s[14:15]
	v_add_co_u32_e32 v6, vcc, s23, v34
	v_addc_co_u32_e32 v7, vcc, 0, v35, vcc
	global_load_dword v34, v[6:7], off offset:2048
	s_mov_b32 s8, 0xf000
	v_add_co_u32_e32 v6, vcc, s8, v38
	v_addc_co_u32_e32 v7, vcc, 0, v39, vcc
	global_load_dwordx2 v[6:7], v[6:7], off
	s_waitcnt vmcnt(31)
	v_cvt_f32_f16_e32 v35, v47
	v_cvt_f32_f16_sdwa v36, v47 dst_sel:DWORD dst_unused:UNUSED_PAD src0_sel:WORD_1
	s_add_u32 s8, s16, s10
	s_brev_b32 s10, -2
	s_waitcnt vmcnt(29)
	v_cvt_f32_f16_e32 v47, v1
	v_cvt_f32_f16_sdwa v1, v1 dst_sel:DWORD dst_unused:UNUSED_PAD src0_sel:WORD_1
	s_addc_u32 s9, s17, s11
	v_mov_b32_e32 v38, s9
	v_add_co_u32_e32 v39, vcc, s8, v37
	v_addc_co_u32_e32 v38, vcc, 0, v38, vcc
	s_waitcnt vmcnt(24)
	v_bfi_b32 v10, s10, v35, v10
	v_cvt_f32_f16_e32 v35, v48
	v_bfi_b32 v11, s10, v36, v11
	v_cvt_f32_f16_sdwa v36, v48 dst_sel:DWORD dst_unused:UNUSED_PAD src0_sel:WORD_1
	v_bfi_b32 v5, s10, v1, v5
	v_bfi_b32 v2, s10, v35, v2
	;; [unrolled: 1-line block ×4, first 2 shown]
	v_cvt_f32_f16_sdwa v47, v49 dst_sel:DWORD dst_unused:UNUSED_PAD src0_sel:WORD_1
	global_store_dwordx2 v37, v[10:11], s[8:9]
	s_waitcnt vmcnt(19)
	v_cvt_f32_f16_e32 v35, v51
	v_cvt_f32_f16_sdwa v36, v51 dst_sel:DWORD dst_unused:UNUSED_PAD src0_sel:WORD_1
	s_waitcnt vmcnt(18)
	v_cvt_f32_f16_e32 v1, v52
	v_bfi_b32 v9, s10, v47, v9
	v_bfi_b32 v12, s10, v35, v12
	v_cvt_f32_f16_sdwa v35, v52 dst_sel:DWORD dst_unused:UNUSED_PAD src0_sel:WORD_1
	v_bfi_b32 v13, s10, v36, v13
	v_cvt_f32_f16_e32 v36, v49
	v_bfi_b32 v14, s10, v1, v14
	v_bfi_b32 v15, s10, v35, v15
	s_waitcnt vmcnt(17)
	v_cvt_f32_f16_e32 v1, v53
	v_cvt_f32_f16_sdwa v35, v53 dst_sel:DWORD dst_unused:UNUSED_PAD src0_sel:WORD_1
	v_bfi_b32 v8, s10, v36, v8
	v_cvt_f32_f16_e32 v36, v50
	v_cvt_f32_f16_sdwa v47, v50 dst_sel:DWORD dst_unused:UNUSED_PAD src0_sel:WORD_1
	v_bfi_b32 v16, s10, v1, v16
	v_bfi_b32 v17, s10, v35, v17
	s_waitcnt vmcnt(16)
	v_cvt_f32_f16_e32 v1, v54
	v_cvt_f32_f16_sdwa v35, v54 dst_sel:DWORD dst_unused:UNUSED_PAD src0_sel:WORD_1
	v_bfi_b32 v18, s10, v36, v18
	s_waitcnt vmcnt(15)
	v_cvt_f32_f16_e32 v36, v55
	v_add_co_u32_e32 v10, vcc, s20, v39
	v_bfi_b32 v19, s10, v47, v19
	v_cvt_f32_f16_sdwa v47, v55 dst_sel:DWORD dst_unused:UNUSED_PAD src0_sel:WORD_1
	v_addc_co_u32_e32 v11, vcc, 0, v38, vcc
	s_waitcnt vmcnt(13)
	v_bfi_b32 v22, s10, v1, v22
	v_bfi_b32 v23, s10, v35, v23
	s_waitcnt vmcnt(9)
	v_cvt_f32_f16_e32 v1, v57
	v_cvt_f32_f16_sdwa v35, v57 dst_sel:DWORD dst_unused:UNUSED_PAD src0_sel:WORD_1
	global_store_dwordx2 v[10:11], v[2:3], off
	global_store_dwordx2 v40, v[12:13], s[8:9]
	v_add_co_u32_e32 v2, vcc, s21, v39
	v_bfi_b32 v20, s10, v36, v20
	v_cvt_f32_f16_e32 v36, v56
	v_addc_co_u32_e32 v3, vcc, 0, v38, vcc
	global_store_dwordx2 v[2:3], v[4:5], off
	global_store_dwordx2 v41, v[14:15], s[8:9]
	v_add_co_u32_e32 v2, vcc, s22, v39
	v_bfi_b32 v21, s10, v47, v21
	v_cvt_f32_f16_sdwa v47, v56 dst_sel:DWORD dst_unused:UNUSED_PAD src0_sel:WORD_1
	v_addc_co_u32_e32 v3, vcc, 0, v38, vcc
	v_bfi_b32 v24, s10, v1, v24
	v_bfi_b32 v25, s10, v35, v25
	s_waitcnt vmcnt(12)
	v_cvt_f32_f16_e32 v1, v58
	v_cvt_f32_f16_sdwa v35, v58 dst_sel:DWORD dst_unused:UNUSED_PAD src0_sel:WORD_1
	global_store_dwordx2 v[2:3], v[8:9], off
	global_store_dwordx2 v42, v[16:17], s[8:9]
	v_add_co_u32_e32 v2, vcc, s23, v39
	v_bfi_b32 v26, s10, v36, v26
	s_waitcnt vmcnt(13)
	v_cvt_f32_f16_e32 v36, v59
	v_addc_co_u32_e32 v3, vcc, 0, v38, vcc
	global_store_dwordx2 v[2:3], v[18:19], off
	global_store_dwordx2 v43, v[22:23], s[8:9]
	v_add_co_u32_e32 v2, vcc, s24, v39
	v_bfi_b32 v27, s10, v47, v27
	v_cvt_f32_f16_sdwa v47, v59 dst_sel:DWORD dst_unused:UNUSED_PAD src0_sel:WORD_1
	v_addc_co_u32_e32 v3, vcc, 0, v38, vcc
	s_waitcnt vmcnt(12)
	v_bfi_b32 v30, s10, v1, v30
	v_bfi_b32 v31, s10, v35, v31
	v_cvt_f32_f16_e32 v1, v60
	v_cvt_f32_f16_sdwa v35, v60 dst_sel:DWORD dst_unused:UNUSED_PAD src0_sel:WORD_1
	global_store_dwordx2 v[2:3], v[20:21], off
	global_store_dwordx2 v44, v[24:25], s[8:9]
	v_add_co_u32_e32 v2, vcc, s25, v39
	v_bfi_b32 v28, s10, v36, v28
	s_waitcnt vmcnt(12)
	v_cvt_f32_f16_e32 v36, v34
	v_cvt_f32_f16_sdwa v34, v34 dst_sel:DWORD dst_unused:UNUSED_PAD src0_sel:WORD_1
	v_addc_co_u32_e32 v3, vcc, 0, v38, vcc
	global_store_dwordx2 v[2:3], v[26:27], off
	global_store_dwordx2 v45, v[30:31], s[8:9]
	v_add_co_u32_e32 v2, vcc, 0xd000, v39
	v_bfi_b32 v29, s10, v47, v29
	v_addc_co_u32_e32 v3, vcc, 0, v38, vcc
	v_bfi_b32 v32, s10, v1, v32
	v_bfi_b32 v33, s10, v35, v33
	global_store_dwordx2 v[2:3], v[28:29], off
	global_store_dwordx2 v46, v[32:33], s[8:9]
	v_add_co_u32_e32 v2, vcc, 0xf000, v39
	s_waitcnt vmcnt(15)
	v_bfi_b32 v6, s10, v36, v6
	v_bfi_b32 v7, s10, v34, v7
	v_addc_co_u32_e32 v3, vcc, 0, v38, vcc
	global_store_dwordx2 v[2:3], v[6:7], off
	s_cbranch_execnz .LBB109_2
.LBB109_4:
	s_load_dword s10, s[4:5], 0x24
	s_load_dwordx4 s[20:23], s[4:5], 0x28
	s_add_u32 s8, s4, 56
	s_addc_u32 s9, s5, 0
	v_mov_b32_e32 v31, v0
	s_waitcnt lgkmcnt(0)
	v_lshrrev_b16_e64 v8, 8, s10
	v_mov_b32_e32 v0, s16
	v_mov_b32_e32 v1, s17
	;; [unrolled: 1-line block ×12, first 2 shown]
	s_getpc_b64 s[4:5]
	s_add_u32 s4, s4, _ZN2at6native25elementwise_kernel_helperILb1ENS0_13BinaryFunctorIfffZZZNS0_20copysign_kernel_cudaERNS_18TensorIteratorBaseEENKUlvE_clEvENKUlvE0_clEvEUlffE_EENS0_6memory8policies11unroll_baseILi512ESt5arrayIPcLm3EE23TrivialOffsetCalculatorILi2EjESF_ILi1EjENS9_12LoadWithCastILi2EEENS9_13StoreWithCastILi1EEELi32ELi1EEEEEvT0_T1_@rel32@lo+4
	s_addc_u32 s5, s5, _ZN2at6native25elementwise_kernel_helperILb1ENS0_13BinaryFunctorIfffZZZNS0_20copysign_kernel_cudaERNS_18TensorIteratorBaseEENKUlvE_clEvENKUlvE0_clEvEUlffE_EENS0_6memory8policies11unroll_baseILi512ESt5arrayIPcLm3EE23TrivialOffsetCalculatorILi2EjESF_ILi1EjENS9_12LoadWithCastILi2EEENS9_13StoreWithCastILi1EEELi32ELi1EEEEEvT0_T1_@rel32@hi+12
	s_swappc_b64 s[30:31], s[4:5]
	s_endpgm
	.section	.rodata,"a",@progbits
	.p2align	6, 0x0
	.amdhsa_kernel _ZN2at6native39vectorized_templated_elementwise_kernelILi2ENS0_13BinaryFunctorIfffZZZNS0_20copysign_kernel_cudaERNS_18TensorIteratorBaseEENKUlvE_clEvENKUlvE0_clEvEUlffE_EESt5arrayIPcLm3EE23TrivialOffsetCalculatorILi2EjESC_ILi1EjENS0_6memory12LoadWithCastILi2EEENSF_13StoreWithCastILi1EEEfJN3c104HalfEfEEEviT0_T1_T2_T3_T4_T5_
		.amdhsa_group_segment_fixed_size 0
		.amdhsa_private_segment_fixed_size 288
		.amdhsa_kernarg_size 312
		.amdhsa_user_sgpr_count 8
		.amdhsa_user_sgpr_private_segment_buffer 1
		.amdhsa_user_sgpr_dispatch_ptr 0
		.amdhsa_user_sgpr_queue_ptr 0
		.amdhsa_user_sgpr_kernarg_segment_ptr 1
		.amdhsa_user_sgpr_dispatch_id 0
		.amdhsa_user_sgpr_flat_scratch_init 1
		.amdhsa_user_sgpr_kernarg_preload_length 0
		.amdhsa_user_sgpr_kernarg_preload_offset 0
		.amdhsa_user_sgpr_private_segment_size 0
		.amdhsa_uses_dynamic_stack 0
		.amdhsa_system_sgpr_private_segment_wavefront_offset 1
		.amdhsa_system_sgpr_workgroup_id_x 1
		.amdhsa_system_sgpr_workgroup_id_y 0
		.amdhsa_system_sgpr_workgroup_id_z 0
		.amdhsa_system_sgpr_workgroup_info 0
		.amdhsa_system_vgpr_workitem_id 0
		.amdhsa_next_free_vgpr 120
		.amdhsa_next_free_sgpr 98
		.amdhsa_accum_offset 120
		.amdhsa_reserve_vcc 1
		.amdhsa_reserve_flat_scratch 1
		.amdhsa_float_round_mode_32 0
		.amdhsa_float_round_mode_16_64 0
		.amdhsa_float_denorm_mode_32 3
		.amdhsa_float_denorm_mode_16_64 3
		.amdhsa_dx10_clamp 1
		.amdhsa_ieee_mode 1
		.amdhsa_fp16_overflow 0
		.amdhsa_tg_split 0
		.amdhsa_exception_fp_ieee_invalid_op 0
		.amdhsa_exception_fp_denorm_src 0
		.amdhsa_exception_fp_ieee_div_zero 0
		.amdhsa_exception_fp_ieee_overflow 0
		.amdhsa_exception_fp_ieee_underflow 0
		.amdhsa_exception_fp_ieee_inexact 0
		.amdhsa_exception_int_div_zero 0
	.end_amdhsa_kernel
	.section	.text._ZN2at6native39vectorized_templated_elementwise_kernelILi2ENS0_13BinaryFunctorIfffZZZNS0_20copysign_kernel_cudaERNS_18TensorIteratorBaseEENKUlvE_clEvENKUlvE0_clEvEUlffE_EESt5arrayIPcLm3EE23TrivialOffsetCalculatorILi2EjESC_ILi1EjENS0_6memory12LoadWithCastILi2EEENSF_13StoreWithCastILi1EEEfJN3c104HalfEfEEEviT0_T1_T2_T3_T4_T5_,"axG",@progbits,_ZN2at6native39vectorized_templated_elementwise_kernelILi2ENS0_13BinaryFunctorIfffZZZNS0_20copysign_kernel_cudaERNS_18TensorIteratorBaseEENKUlvE_clEvENKUlvE0_clEvEUlffE_EESt5arrayIPcLm3EE23TrivialOffsetCalculatorILi2EjESC_ILi1EjENS0_6memory12LoadWithCastILi2EEENSF_13StoreWithCastILi1EEEfJN3c104HalfEfEEEviT0_T1_T2_T3_T4_T5_,comdat
.Lfunc_end109:
	.size	_ZN2at6native39vectorized_templated_elementwise_kernelILi2ENS0_13BinaryFunctorIfffZZZNS0_20copysign_kernel_cudaERNS_18TensorIteratorBaseEENKUlvE_clEvENKUlvE0_clEvEUlffE_EESt5arrayIPcLm3EE23TrivialOffsetCalculatorILi2EjESC_ILi1EjENS0_6memory12LoadWithCastILi2EEENSF_13StoreWithCastILi1EEEfJN3c104HalfEfEEEviT0_T1_T2_T3_T4_T5_, .Lfunc_end109-_ZN2at6native39vectorized_templated_elementwise_kernelILi2ENS0_13BinaryFunctorIfffZZZNS0_20copysign_kernel_cudaERNS_18TensorIteratorBaseEENKUlvE_clEvENKUlvE0_clEvEUlffE_EESt5arrayIPcLm3EE23TrivialOffsetCalculatorILi2EjESC_ILi1EjENS0_6memory12LoadWithCastILi2EEENSF_13StoreWithCastILi1EEEfJN3c104HalfEfEEEviT0_T1_T2_T3_T4_T5_
                                        ; -- End function
	.section	.AMDGPU.csdata,"",@progbits
; Kernel info:
; codeLenInByte = 1564
; NumSgprs: 104
; NumVgprs: 120
; NumAgprs: 0
; TotalNumVgprs: 120
; ScratchSize: 288
; MemoryBound: 0
; FloatMode: 240
; IeeeMode: 1
; LDSByteSize: 0 bytes/workgroup (compile time only)
; SGPRBlocks: 12
; VGPRBlocks: 14
; NumSGPRsForWavesPerEU: 104
; NumVGPRsForWavesPerEU: 120
; AccumOffset: 120
; Occupancy: 4
; WaveLimiterHint : 0
; COMPUTE_PGM_RSRC2:SCRATCH_EN: 1
; COMPUTE_PGM_RSRC2:USER_SGPR: 8
; COMPUTE_PGM_RSRC2:TRAP_HANDLER: 0
; COMPUTE_PGM_RSRC2:TGID_X_EN: 1
; COMPUTE_PGM_RSRC2:TGID_Y_EN: 0
; COMPUTE_PGM_RSRC2:TGID_Z_EN: 0
; COMPUTE_PGM_RSRC2:TIDIG_COMP_CNT: 0
; COMPUTE_PGM_RSRC3_GFX90A:ACCUM_OFFSET: 29
; COMPUTE_PGM_RSRC3_GFX90A:TG_SPLIT: 0
	.section	.text._ZN2at6native39vectorized_templated_elementwise_kernelILi8ENS0_13BinaryFunctorIfffZZZNS0_20copysign_kernel_cudaERNS_18TensorIteratorBaseEENKUlvE_clEvENKUlvE0_clEvEUlffE_EESt5arrayIPcLm3EE23TrivialOffsetCalculatorILi2EjESC_ILi1EjENS0_6memory12LoadWithCastILi2EEENSF_13StoreWithCastILi1EEEN3c104HalfEJSL_fEEEviT0_T1_T2_T3_T4_T5_,"axG",@progbits,_ZN2at6native39vectorized_templated_elementwise_kernelILi8ENS0_13BinaryFunctorIfffZZZNS0_20copysign_kernel_cudaERNS_18TensorIteratorBaseEENKUlvE_clEvENKUlvE0_clEvEUlffE_EESt5arrayIPcLm3EE23TrivialOffsetCalculatorILi2EjESC_ILi1EjENS0_6memory12LoadWithCastILi2EEENSF_13StoreWithCastILi1EEEN3c104HalfEJSL_fEEEviT0_T1_T2_T3_T4_T5_,comdat
	.globl	_ZN2at6native39vectorized_templated_elementwise_kernelILi8ENS0_13BinaryFunctorIfffZZZNS0_20copysign_kernel_cudaERNS_18TensorIteratorBaseEENKUlvE_clEvENKUlvE0_clEvEUlffE_EESt5arrayIPcLm3EE23TrivialOffsetCalculatorILi2EjESC_ILi1EjENS0_6memory12LoadWithCastILi2EEENSF_13StoreWithCastILi1EEEN3c104HalfEJSL_fEEEviT0_T1_T2_T3_T4_T5_ ; -- Begin function _ZN2at6native39vectorized_templated_elementwise_kernelILi8ENS0_13BinaryFunctorIfffZZZNS0_20copysign_kernel_cudaERNS_18TensorIteratorBaseEENKUlvE_clEvENKUlvE0_clEvEUlffE_EESt5arrayIPcLm3EE23TrivialOffsetCalculatorILi2EjESC_ILi1EjENS0_6memory12LoadWithCastILi2EEENSF_13StoreWithCastILi1EEEN3c104HalfEJSL_fEEEviT0_T1_T2_T3_T4_T5_
	.p2align	8
	.type	_ZN2at6native39vectorized_templated_elementwise_kernelILi8ENS0_13BinaryFunctorIfffZZZNS0_20copysign_kernel_cudaERNS_18TensorIteratorBaseEENKUlvE_clEvENKUlvE0_clEvEUlffE_EESt5arrayIPcLm3EE23TrivialOffsetCalculatorILi2EjESC_ILi1EjENS0_6memory12LoadWithCastILi2EEENSF_13StoreWithCastILi1EEEN3c104HalfEJSL_fEEEviT0_T1_T2_T3_T4_T5_,@function
_ZN2at6native39vectorized_templated_elementwise_kernelILi8ENS0_13BinaryFunctorIfffZZZNS0_20copysign_kernel_cudaERNS_18TensorIteratorBaseEENKUlvE_clEvENKUlvE0_clEvEUlffE_EESt5arrayIPcLm3EE23TrivialOffsetCalculatorILi2EjESC_ILi1EjENS0_6memory12LoadWithCastILi2EEENSF_13StoreWithCastILi1EEEN3c104HalfEJSL_fEEEviT0_T1_T2_T3_T4_T5_: ; @_ZN2at6native39vectorized_templated_elementwise_kernelILi8ENS0_13BinaryFunctorIfffZZZNS0_20copysign_kernel_cudaERNS_18TensorIteratorBaseEENKUlvE_clEvENKUlvE0_clEvEUlffE_EESt5arrayIPcLm3EE23TrivialOffsetCalculatorILi2EjESC_ILi1EjENS0_6memory12LoadWithCastILi2EEENSF_13StoreWithCastILi1EEEN3c104HalfEJSL_fEEEviT0_T1_T2_T3_T4_T5_
; %bb.0:
	s_add_u32 flat_scratch_lo, s6, s9
	s_addc_u32 flat_scratch_hi, s7, 0
	s_add_u32 s0, s0, s9
	s_mov_b32 s12, s8
	s_load_dword s8, s[4:5], 0x38
	s_load_dwordx2 s[6:7], s[4:5], 0x18
	s_load_dword s9, s[4:5], 0x0
	s_load_dwordx4 s[16:19], s[4:5], 0x8
	s_addc_u32 s1, s1, 0
	s_not_b32 s10, s12
	s_waitcnt lgkmcnt(0)
	s_add_i32 s8, s8, s10
	s_lshl_b32 s10, s8, 14
	s_sub_i32 s13, s9, s10
	s_cmpk_gt_i32 s13, 0x3fff
	s_mov_b64 s[8:9], -1
	s_mov_b32 s32, 0
	s_cbranch_scc1 .LBB110_3
; %bb.1:
	s_andn2_b64 vcc, exec, s[8:9]
	s_cbranch_vccz .LBB110_4
.LBB110_2:
	s_endpgm
.LBB110_3:
	s_ashr_i32 s11, s10, 31
	s_lshl_b64 s[8:9], s[10:11], 1
	s_add_u32 s14, s18, s8
	s_addc_u32 s15, s19, s9
	v_lshlrev_b32_e32 v1, 4, v0
	v_mov_b32_e32 v18, s15
	v_add_co_u32_e32 v22, vcc, s14, v1
	v_or_b32_e32 v36, 0x400, v0
	v_addc_co_u32_e32 v23, vcc, 0, v18, vcc
	v_lshlrev_b32_e32 v52, 4, v36
	v_add_co_u32_e32 v18, vcc, 0x2000, v22
	global_load_dwordx4 v[2:5], v1, s[14:15]
	global_load_dwordx4 v[6:9], v52, s[14:15]
	s_lshl_b64 s[10:11], s[10:11], 2
	v_addc_co_u32_e32 v19, vcc, 0, v23, vcc
	s_movk_i32 s14, 0x6000
	s_add_u32 s10, s6, s10
	v_add_co_u32_e32 v22, vcc, s14, v22
	s_addc_u32 s11, s7, s11
	v_lshlrev_b32_e32 v26, 5, v0
	v_addc_co_u32_e32 v23, vcc, 0, v23, vcc
	v_mov_b32_e32 v27, s11
	v_add_co_u32_e32 v42, vcc, s10, v26
	global_load_dwordx4 v[10:13], v26, s[10:11] offset:16
	global_load_dwordx4 v[14:17], v26, s[10:11]
	s_movk_i32 s14, 0x4000
	v_addc_co_u32_e32 v43, vcc, 0, v27, vcc
	v_add_co_u32_e32 v34, vcc, s14, v42
	v_addc_co_u32_e32 v35, vcc, 0, v43, vcc
	global_load_dwordx4 v[18:21], v[18:19], off
	v_lshlrev_b32_e32 v44, 5, v36
	global_load_dwordx4 v[22:25], v[22:23], off
	s_nop 0
	global_load_dwordx4 v[26:29], v[34:35], off
	global_load_dwordx4 v[30:33], v[34:35], off offset:16
	s_nop 0
	global_load_dwordx4 v[34:37], v44, s[10:11] offset:16
	global_load_dwordx4 v[38:41], v44, s[10:11]
	s_mov_b32 s11, 0xc000
	v_add_co_u32_e32 v50, vcc, s11, v42
	v_addc_co_u32_e32 v51, vcc, 0, v43, vcc
	global_load_dwordx4 v[42:45], v[50:51], off
	global_load_dwordx4 v[46:49], v[50:51], off offset:16
	s_movk_i32 s14, 0x7fff
	s_mov_b32 s15, 0x5040100
	s_add_u32 s8, s16, s8
	s_addc_u32 s9, s17, s9
	s_movk_i32 s10, 0x2000
	s_waitcnt vmcnt(11)
	v_lshrrev_b32_e32 v53, 16, v4
	v_lshrrev_b32_e32 v50, 16, v2
	;; [unrolled: 1-line block ×4, first 2 shown]
	s_waitcnt vmcnt(10)
	v_lshrrev_b32_e32 v56, 16, v7
	v_lshrrev_b32_e32 v55, 16, v6
	;; [unrolled: 1-line block ×4, first 2 shown]
	s_waitcnt vmcnt(9)
	v_lshrrev_b32_e32 v10, 16, v10
	v_lshrrev_b32_e32 v11, 16, v11
	s_waitcnt vmcnt(8)
	v_lshrrev_b32_e32 v14, 16, v14
	v_lshrrev_b32_e32 v15, 16, v15
	;; [unrolled: 1-line block ×6, first 2 shown]
	v_bfi_b32 v4, s14, v4, v10
	v_bfi_b32 v11, s14, v53, v11
	;; [unrolled: 1-line block ×6, first 2 shown]
	v_perm_b32 v4, v11, v4, s15
	v_bfi_b32 v11, s14, v50, v15
	v_bfi_b32 v17, s14, v51, v17
	v_perm_b32 v5, v13, v5, s15
	v_perm_b32 v3, v17, v3, s15
	;; [unrolled: 1-line block ×3, first 2 shown]
	s_waitcnt vmcnt(7)
	v_lshrrev_b32_e32 v10, 16, v19
	global_store_dwordx4 v1, v[2:5], s[8:9]
	v_lshrrev_b32_e32 v12, 16, v20
	s_waitcnt vmcnt(6)
	v_lshrrev_b32_e32 v4, 16, v29
	s_waitcnt vmcnt(5)
	v_lshrrev_b32_e32 v5, 16, v30
	v_mov_b32_e32 v50, s9
	v_add_co_u32_e32 v17, vcc, s8, v1
	v_lshrrev_b32_e32 v3, 16, v28
	v_bfi_b32 v4, s14, v10, v4
	v_bfi_b32 v10, s14, v20, v5
	v_lshrrev_b32_e32 v5, 16, v31
	v_lshrrev_b32_e32 v59, 16, v18
	;; [unrolled: 1-line block ×3, first 2 shown]
	v_addc_co_u32_e32 v50, vcc, 0, v50, vcc
	v_lshrrev_b32_e32 v1, 16, v26
	v_lshrrev_b32_e32 v2, 16, v27
	v_bfi_b32 v3, s14, v19, v3
	v_bfi_b32 v11, s14, v12, v5
	v_lshrrev_b32_e32 v5, 16, v32
	v_lshrrev_b32_e32 v12, 16, v33
	v_bfi_b32 v1, s14, v18, v1
	v_bfi_b32 v2, s14, v59, v2
	;; [unrolled: 1-line block ×4, first 2 shown]
	v_perm_b32 v3, v4, v3, s15
	v_perm_b32 v4, v11, v10, s15
	v_add_co_u32_e32 v10, vcc, s10, v17
	v_perm_b32 v2, v2, v1, s15
	v_perm_b32 v5, v12, v5, s15
	v_addc_co_u32_e32 v11, vcc, 0, v50, vcc
	global_store_dwordx4 v[10:11], v[2:5], off
	s_waitcnt vmcnt(4)
	v_lshrrev_b32_e32 v1, 16, v38
	v_lshrrev_b32_e32 v4, 16, v41
	v_bfi_b32 v1, s14, v6, v1
	v_lshrrev_b32_e32 v3, 16, v40
	v_bfi_b32 v6, s14, v56, v4
	v_lshrrev_b32_e32 v4, 16, v34
	v_lshrrev_b32_e32 v5, 16, v35
	;; [unrolled: 1-line block ×3, first 2 shown]
	v_bfi_b32 v3, s14, v7, v3
	v_bfi_b32 v4, s14, v8, v4
	;; [unrolled: 1-line block ×3, first 2 shown]
	v_lshrrev_b32_e32 v5, 16, v36
	v_lshrrev_b32_e32 v8, 16, v37
	v_bfi_b32 v2, s14, v55, v2
	v_bfi_b32 v5, s14, v9, v5
	;; [unrolled: 1-line block ×3, first 2 shown]
	v_perm_b32 v5, v8, v5, s15
	v_perm_b32 v4, v7, v4, s15
	;; [unrolled: 1-line block ×4, first 2 shown]
	global_store_dwordx4 v52, v[2:5], s[8:9]
	v_lshrrev_b32_e32 v13, 16, v23
	s_waitcnt vmcnt(3)
	v_lshrrev_b32_e32 v5, 16, v46
	v_lshrrev_b32_e32 v53, 16, v24
	;; [unrolled: 1-line block ×4, first 2 shown]
	v_bfi_b32 v6, s14, v24, v5
	v_lshrrev_b32_e32 v5, 16, v47
	v_lshrrev_b32_e32 v16, 16, v22
	;; [unrolled: 1-line block ×5, first 2 shown]
	v_bfi_b32 v3, s14, v23, v3
	v_bfi_b32 v4, s14, v13, v4
	;; [unrolled: 1-line block ×3, first 2 shown]
	v_lshrrev_b32_e32 v5, 16, v48
	v_lshrrev_b32_e32 v8, 16, v49
	v_bfi_b32 v1, s14, v22, v1
	v_bfi_b32 v2, s14, v16, v2
	;; [unrolled: 1-line block ×4, first 2 shown]
	v_perm_b32 v3, v4, v3, s15
	v_perm_b32 v4, v7, v6, s15
	v_add_co_u32_e32 v6, vcc, 0x6000, v17
	v_perm_b32 v2, v2, v1, s15
	v_perm_b32 v5, v8, v5, s15
	v_addc_co_u32_e32 v7, vcc, 0, v50, vcc
	global_store_dwordx4 v[6:7], v[2:5], off
	s_cbranch_execnz .LBB110_2
.LBB110_4:
	s_load_dword s10, s[4:5], 0x24
	s_load_dwordx4 s[20:23], s[4:5], 0x28
	s_add_u32 s8, s4, 56
	s_addc_u32 s9, s5, 0
	v_mov_b32_e32 v31, v0
	s_waitcnt lgkmcnt(0)
	v_lshrrev_b16_e64 v8, 8, s10
	v_mov_b32_e32 v0, s16
	v_mov_b32_e32 v1, s17
	;; [unrolled: 1-line block ×12, first 2 shown]
	s_getpc_b64 s[4:5]
	s_add_u32 s4, s4, _ZN2at6native25elementwise_kernel_helperILb1ENS0_13BinaryFunctorIfffZZZNS0_20copysign_kernel_cudaERNS_18TensorIteratorBaseEENKUlvE_clEvENKUlvE0_clEvEUlffE_EENS0_6memory8policies11unroll_baseILi512ESt5arrayIPcLm3EE23TrivialOffsetCalculatorILi2EjESF_ILi1EjENS9_12LoadWithCastILi2EEENS9_13StoreWithCastILi1EEELi32ELi1EEEEEvT0_T1_@rel32@lo+4
	s_addc_u32 s5, s5, _ZN2at6native25elementwise_kernel_helperILb1ENS0_13BinaryFunctorIfffZZZNS0_20copysign_kernel_cudaERNS_18TensorIteratorBaseEENKUlvE_clEvENKUlvE0_clEvEUlffE_EENS0_6memory8policies11unroll_baseILi512ESt5arrayIPcLm3EE23TrivialOffsetCalculatorILi2EjESF_ILi1EjENS9_12LoadWithCastILi2EEENS9_13StoreWithCastILi1EEELi32ELi1EEEEEvT0_T1_@rel32@hi+12
	s_swappc_b64 s[30:31], s[4:5]
	s_endpgm
	.section	.rodata,"a",@progbits
	.p2align	6, 0x0
	.amdhsa_kernel _ZN2at6native39vectorized_templated_elementwise_kernelILi8ENS0_13BinaryFunctorIfffZZZNS0_20copysign_kernel_cudaERNS_18TensorIteratorBaseEENKUlvE_clEvENKUlvE0_clEvEUlffE_EESt5arrayIPcLm3EE23TrivialOffsetCalculatorILi2EjESC_ILi1EjENS0_6memory12LoadWithCastILi2EEENSF_13StoreWithCastILi1EEEN3c104HalfEJSL_fEEEviT0_T1_T2_T3_T4_T5_
		.amdhsa_group_segment_fixed_size 0
		.amdhsa_private_segment_fixed_size 288
		.amdhsa_kernarg_size 312
		.amdhsa_user_sgpr_count 8
		.amdhsa_user_sgpr_private_segment_buffer 1
		.amdhsa_user_sgpr_dispatch_ptr 0
		.amdhsa_user_sgpr_queue_ptr 0
		.amdhsa_user_sgpr_kernarg_segment_ptr 1
		.amdhsa_user_sgpr_dispatch_id 0
		.amdhsa_user_sgpr_flat_scratch_init 1
		.amdhsa_user_sgpr_kernarg_preload_length 0
		.amdhsa_user_sgpr_kernarg_preload_offset 0
		.amdhsa_user_sgpr_private_segment_size 0
		.amdhsa_uses_dynamic_stack 0
		.amdhsa_system_sgpr_private_segment_wavefront_offset 1
		.amdhsa_system_sgpr_workgroup_id_x 1
		.amdhsa_system_sgpr_workgroup_id_y 0
		.amdhsa_system_sgpr_workgroup_id_z 0
		.amdhsa_system_sgpr_workgroup_info 0
		.amdhsa_system_vgpr_workitem_id 0
		.amdhsa_next_free_vgpr 120
		.amdhsa_next_free_sgpr 98
		.amdhsa_accum_offset 120
		.amdhsa_reserve_vcc 1
		.amdhsa_reserve_flat_scratch 1
		.amdhsa_float_round_mode_32 0
		.amdhsa_float_round_mode_16_64 0
		.amdhsa_float_denorm_mode_32 3
		.amdhsa_float_denorm_mode_16_64 3
		.amdhsa_dx10_clamp 1
		.amdhsa_ieee_mode 1
		.amdhsa_fp16_overflow 0
		.amdhsa_tg_split 0
		.amdhsa_exception_fp_ieee_invalid_op 0
		.amdhsa_exception_fp_denorm_src 0
		.amdhsa_exception_fp_ieee_div_zero 0
		.amdhsa_exception_fp_ieee_overflow 0
		.amdhsa_exception_fp_ieee_underflow 0
		.amdhsa_exception_fp_ieee_inexact 0
		.amdhsa_exception_int_div_zero 0
	.end_amdhsa_kernel
	.section	.text._ZN2at6native39vectorized_templated_elementwise_kernelILi8ENS0_13BinaryFunctorIfffZZZNS0_20copysign_kernel_cudaERNS_18TensorIteratorBaseEENKUlvE_clEvENKUlvE0_clEvEUlffE_EESt5arrayIPcLm3EE23TrivialOffsetCalculatorILi2EjESC_ILi1EjENS0_6memory12LoadWithCastILi2EEENSF_13StoreWithCastILi1EEEN3c104HalfEJSL_fEEEviT0_T1_T2_T3_T4_T5_,"axG",@progbits,_ZN2at6native39vectorized_templated_elementwise_kernelILi8ENS0_13BinaryFunctorIfffZZZNS0_20copysign_kernel_cudaERNS_18TensorIteratorBaseEENKUlvE_clEvENKUlvE0_clEvEUlffE_EESt5arrayIPcLm3EE23TrivialOffsetCalculatorILi2EjESC_ILi1EjENS0_6memory12LoadWithCastILi2EEENSF_13StoreWithCastILi1EEEN3c104HalfEJSL_fEEEviT0_T1_T2_T3_T4_T5_,comdat
.Lfunc_end110:
	.size	_ZN2at6native39vectorized_templated_elementwise_kernelILi8ENS0_13BinaryFunctorIfffZZZNS0_20copysign_kernel_cudaERNS_18TensorIteratorBaseEENKUlvE_clEvENKUlvE0_clEvEUlffE_EESt5arrayIPcLm3EE23TrivialOffsetCalculatorILi2EjESC_ILi1EjENS0_6memory12LoadWithCastILi2EEENSF_13StoreWithCastILi1EEEN3c104HalfEJSL_fEEEviT0_T1_T2_T3_T4_T5_, .Lfunc_end110-_ZN2at6native39vectorized_templated_elementwise_kernelILi8ENS0_13BinaryFunctorIfffZZZNS0_20copysign_kernel_cudaERNS_18TensorIteratorBaseEENKUlvE_clEvENKUlvE0_clEvEUlffE_EESt5arrayIPcLm3EE23TrivialOffsetCalculatorILi2EjESC_ILi1EjENS0_6memory12LoadWithCastILi2EEENSF_13StoreWithCastILi1EEEN3c104HalfEJSL_fEEEviT0_T1_T2_T3_T4_T5_
                                        ; -- End function
	.section	.AMDGPU.csdata,"",@progbits
; Kernel info:
; codeLenInByte = 1152
; NumSgprs: 104
; NumVgprs: 120
; NumAgprs: 0
; TotalNumVgprs: 120
; ScratchSize: 288
; MemoryBound: 0
; FloatMode: 240
; IeeeMode: 1
; LDSByteSize: 0 bytes/workgroup (compile time only)
; SGPRBlocks: 12
; VGPRBlocks: 14
; NumSGPRsForWavesPerEU: 104
; NumVGPRsForWavesPerEU: 120
; AccumOffset: 120
; Occupancy: 4
; WaveLimiterHint : 0
; COMPUTE_PGM_RSRC2:SCRATCH_EN: 1
; COMPUTE_PGM_RSRC2:USER_SGPR: 8
; COMPUTE_PGM_RSRC2:TRAP_HANDLER: 0
; COMPUTE_PGM_RSRC2:TGID_X_EN: 1
; COMPUTE_PGM_RSRC2:TGID_Y_EN: 0
; COMPUTE_PGM_RSRC2:TGID_Z_EN: 0
; COMPUTE_PGM_RSRC2:TIDIG_COMP_CNT: 0
; COMPUTE_PGM_RSRC3_GFX90A:ACCUM_OFFSET: 29
; COMPUTE_PGM_RSRC3_GFX90A:TG_SPLIT: 0
	.section	.text._ZN2at6native39vectorized_templated_elementwise_kernelILi4ENS0_13BinaryFunctorIfffZZZNS0_20copysign_kernel_cudaERNS_18TensorIteratorBaseEENKUlvE_clEvENKUlvE0_clEvEUlffE_EESt5arrayIPcLm3EE23TrivialOffsetCalculatorILi2EjESC_ILi1EjENS0_6memory12LoadWithCastILi2EEENSF_13StoreWithCastILi1EEEN3c104HalfEJSL_fEEEviT0_T1_T2_T3_T4_T5_,"axG",@progbits,_ZN2at6native39vectorized_templated_elementwise_kernelILi4ENS0_13BinaryFunctorIfffZZZNS0_20copysign_kernel_cudaERNS_18TensorIteratorBaseEENKUlvE_clEvENKUlvE0_clEvEUlffE_EESt5arrayIPcLm3EE23TrivialOffsetCalculatorILi2EjESC_ILi1EjENS0_6memory12LoadWithCastILi2EEENSF_13StoreWithCastILi1EEEN3c104HalfEJSL_fEEEviT0_T1_T2_T3_T4_T5_,comdat
	.globl	_ZN2at6native39vectorized_templated_elementwise_kernelILi4ENS0_13BinaryFunctorIfffZZZNS0_20copysign_kernel_cudaERNS_18TensorIteratorBaseEENKUlvE_clEvENKUlvE0_clEvEUlffE_EESt5arrayIPcLm3EE23TrivialOffsetCalculatorILi2EjESC_ILi1EjENS0_6memory12LoadWithCastILi2EEENSF_13StoreWithCastILi1EEEN3c104HalfEJSL_fEEEviT0_T1_T2_T3_T4_T5_ ; -- Begin function _ZN2at6native39vectorized_templated_elementwise_kernelILi4ENS0_13BinaryFunctorIfffZZZNS0_20copysign_kernel_cudaERNS_18TensorIteratorBaseEENKUlvE_clEvENKUlvE0_clEvEUlffE_EESt5arrayIPcLm3EE23TrivialOffsetCalculatorILi2EjESC_ILi1EjENS0_6memory12LoadWithCastILi2EEENSF_13StoreWithCastILi1EEEN3c104HalfEJSL_fEEEviT0_T1_T2_T3_T4_T5_
	.p2align	8
	.type	_ZN2at6native39vectorized_templated_elementwise_kernelILi4ENS0_13BinaryFunctorIfffZZZNS0_20copysign_kernel_cudaERNS_18TensorIteratorBaseEENKUlvE_clEvENKUlvE0_clEvEUlffE_EESt5arrayIPcLm3EE23TrivialOffsetCalculatorILi2EjESC_ILi1EjENS0_6memory12LoadWithCastILi2EEENSF_13StoreWithCastILi1EEEN3c104HalfEJSL_fEEEviT0_T1_T2_T3_T4_T5_,@function
_ZN2at6native39vectorized_templated_elementwise_kernelILi4ENS0_13BinaryFunctorIfffZZZNS0_20copysign_kernel_cudaERNS_18TensorIteratorBaseEENKUlvE_clEvENKUlvE0_clEvEUlffE_EESt5arrayIPcLm3EE23TrivialOffsetCalculatorILi2EjESC_ILi1EjENS0_6memory12LoadWithCastILi2EEENSF_13StoreWithCastILi1EEEN3c104HalfEJSL_fEEEviT0_T1_T2_T3_T4_T5_: ; @_ZN2at6native39vectorized_templated_elementwise_kernelILi4ENS0_13BinaryFunctorIfffZZZNS0_20copysign_kernel_cudaERNS_18TensorIteratorBaseEENKUlvE_clEvENKUlvE0_clEvEUlffE_EESt5arrayIPcLm3EE23TrivialOffsetCalculatorILi2EjESC_ILi1EjENS0_6memory12LoadWithCastILi2EEENSF_13StoreWithCastILi1EEEN3c104HalfEJSL_fEEEviT0_T1_T2_T3_T4_T5_
; %bb.0:
	s_add_u32 flat_scratch_lo, s6, s9
	s_addc_u32 flat_scratch_hi, s7, 0
	s_add_u32 s0, s0, s9
	s_mov_b32 s12, s8
	s_load_dword s8, s[4:5], 0x38
	s_load_dwordx2 s[6:7], s[4:5], 0x18
	s_load_dword s9, s[4:5], 0x0
	s_load_dwordx4 s[16:19], s[4:5], 0x8
	s_addc_u32 s1, s1, 0
	s_not_b32 s10, s12
	s_waitcnt lgkmcnt(0)
	s_add_i32 s8, s8, s10
	s_lshl_b32 s10, s8, 14
	s_sub_i32 s13, s9, s10
	s_cmpk_gt_i32 s13, 0x3fff
	s_mov_b64 s[8:9], -1
	s_mov_b32 s32, 0
	s_cbranch_scc1 .LBB111_3
; %bb.1:
	s_andn2_b64 vcc, exec, s[8:9]
	s_cbranch_vccz .LBB111_4
.LBB111_2:
	s_endpgm
.LBB111_3:
	s_ashr_i32 s11, s10, 31
	s_lshl_b64 s[8:9], s[10:11], 1
	s_add_u32 s14, s18, s8
	s_addc_u32 s15, s19, s9
	v_lshlrev_b32_e32 v1, 3, v0
	v_mov_b32_e32 v2, s15
	v_add_co_u32_e32 v10, vcc, s14, v1
	v_addc_co_u32_e32 v11, vcc, 0, v2, vcc
	v_add_co_u32_e32 v6, vcc, 0x1000, v10
	v_or_b32_e32 v18, 0x800, v0
	v_addc_co_u32_e32 v7, vcc, 0, v11, vcc
	v_lshlrev_b32_e32 v45, 3, v18
	s_lshl_b64 s[10:11], s[10:11], 2
	v_add_co_u32_e32 v8, vcc, 0x3000, v10
	global_load_dwordx2 v[26:27], v45, s[14:15]
	global_load_dwordx2 v[22:23], v1, s[14:15]
	s_add_u32 s10, s6, s10
	v_or_b32_e32 v12, 0x400, v0
	v_addc_co_u32_e32 v9, vcc, 0, v11, vcc
	s_addc_u32 s11, s7, s11
	v_lshlrev_b32_e32 v13, 4, v0
	v_lshlrev_b32_e32 v44, 3, v12
	global_load_dwordx4 v[2:5], v13, s[10:11]
	global_load_dwordx2 v[28:29], v[6:7], off
	global_load_dwordx2 v[30:31], v44, s[14:15]
	global_load_dwordx2 v[32:33], v[8:9], off
	v_add_co_u32_e32 v6, vcc, 0x5000, v10
	v_or_b32_e32 v42, 0xc00, v0
	v_addc_co_u32_e32 v7, vcc, 0, v11, vcc
	v_lshlrev_b32_e32 v46, 3, v42
	global_load_dwordx2 v[34:35], v[6:7], off
	global_load_dwordx2 v[36:37], v46, s[14:15]
	v_mov_b32_e32 v6, s11
	v_add_co_u32_e32 v40, vcc, s10, v13
	v_addc_co_u32_e32 v41, vcc, 0, v6, vcc
	s_movk_i32 s20, 0x2000
	v_add_co_u32_e32 v6, vcc, s20, v40
	v_addc_co_u32_e32 v7, vcc, 0, v41, vcc
	global_load_dwordx4 v[6:9], v[6:7], off
	v_add_co_u32_e32 v10, vcc, 0x7000, v10
	v_addc_co_u32_e32 v11, vcc, 0, v11, vcc
	global_load_dwordx2 v[38:39], v[10:11], off
	v_lshlrev_b32_e32 v10, 4, v12
	global_load_dwordx4 v[10:13], v10, s[10:11]
	s_movk_i32 s20, 0x6000
	v_add_co_u32_e32 v14, vcc, s20, v40
	v_addc_co_u32_e32 v15, vcc, 0, v41, vcc
	global_load_dwordx4 v[14:17], v[14:15], off
	v_lshlrev_b32_e32 v18, 4, v18
	global_load_dwordx4 v[18:21], v18, s[10:11]
	s_mov_b32 s21, 0xa000
	v_add_co_u32_e32 v24, vcc, s21, v40
	s_movk_i32 s21, 0x7fff
	v_addc_co_u32_e32 v25, vcc, 0, v41, vcc
	s_mov_b32 s22, 0xe000
	v_add_co_u32_e32 v40, vcc, s22, v40
	v_addc_co_u32_e32 v41, vcc, 0, v41, vcc
	s_add_u32 s8, s16, s8
	s_addc_u32 s9, s17, s9
	s_movk_i32 s14, 0x1000
	s_movk_i32 s15, 0x3000
	;; [unrolled: 1-line block ×3, first 2 shown]
	s_waitcnt vmcnt(12)
	v_lshrrev_b32_e32 v48, 16, v26
	s_waitcnt vmcnt(11)
	v_lshrrev_b32_e32 v43, 16, v22
	v_lshrrev_b32_e32 v47, 16, v23
	v_lshrrev_b32_e32 v49, 16, v27
	s_waitcnt vmcnt(10)
	v_lshrrev_b32_e32 v2, 16, v2
	v_bfi_b32 v57, s21, v22, v2
	v_lshrrev_b32_e32 v2, 16, v4
	v_bfi_b32 v58, s21, v23, v2
	global_load_dwordx4 v[22:25], v[24:25], off
	v_lshrrev_b32_e32 v2, 16, v3
	v_bfi_b32 v59, s21, v43, v2
	v_lshlrev_b32_e32 v2, 4, v42
	v_lshrrev_b32_e32 v3, 16, v5
	v_bfi_b32 v42, s21, v47, v3
	global_load_dwordx4 v[2:5], v2, s[10:11]
	s_mov_b32 s10, 0x5040100
	v_perm_b32 v43, v42, v58, s10
	v_perm_b32 v42, v59, v57, s10
	s_waitcnt vmcnt(11)
	v_lshrrev_b32_e32 v50, 16, v28
	v_lshrrev_b32_e32 v51, 16, v29
	s_waitcnt vmcnt(10)
	v_lshrrev_b32_e32 v52, 16, v30
	v_lshrrev_b32_e32 v53, 16, v31
	;; [unrolled: 3-line block ×5, first 2 shown]
	v_lshrrev_b32_e32 v62, 16, v8
	v_lshrrev_b32_e32 v63, 16, v9
	global_load_dwordx4 v[6:9], v[40:41], off
	v_mov_b32_e32 v40, s9
	global_store_dwordx2 v1, v[42:43], s[8:9]
	v_add_co_u32_e32 v1, vcc, s8, v1
	v_bfi_b32 v28, s21, v28, v47
	v_addc_co_u32_e32 v57, vcc, 0, v40, vcc
	v_bfi_b32 v40, s21, v50, v61
	v_bfi_b32 v29, s21, v29, v62
	;; [unrolled: 1-line block ×3, first 2 shown]
	v_perm_b32 v28, v40, v28, s10
	v_add_co_u32_e32 v40, vcc, s14, v1
	v_perm_b32 v29, v41, v29, s10
	v_addc_co_u32_e32 v41, vcc, 0, v57, vcc
	s_waitcnt vmcnt(6)
	v_lshrrev_b32_e32 v11, 16, v11
	global_store_dwordx2 v[40:41], v[28:29], off
	v_lshrrev_b32_e32 v10, 16, v10
	v_bfi_b32 v28, s21, v52, v11
	v_lshrrev_b32_e32 v11, 16, v12
	v_lshrrev_b32_e32 v12, 16, v13
	v_bfi_b32 v10, s21, v30, v10
	v_bfi_b32 v11, s21, v31, v11
	v_bfi_b32 v12, s21, v53, v12
	v_perm_b32 v11, v12, v11, s10
	v_perm_b32 v10, v28, v10, s10
	global_store_dwordx2 v44, v[10:11], s[8:9]
	s_waitcnt vmcnt(7)
	v_lshrrev_b32_e32 v10, 16, v14
	v_lshrrev_b32_e32 v11, 16, v15
	v_bfi_b32 v10, s21, v32, v10
	v_bfi_b32 v12, s21, v54, v11
	v_lshrrev_b32_e32 v11, 16, v16
	v_lshrrev_b32_e32 v13, 16, v17
	v_bfi_b32 v11, s21, v33, v11
	v_bfi_b32 v13, s21, v55, v13
	v_perm_b32 v10, v12, v10, s10
	v_add_co_u32_e32 v12, vcc, s15, v1
	v_perm_b32 v11, v13, v11, s10
	v_addc_co_u32_e32 v13, vcc, 0, v57, vcc
	global_store_dwordx2 v[12:13], v[10:11], off
	s_waitcnt vmcnt(7)
	v_lshrrev_b32_e32 v11, 16, v19
	v_lshrrev_b32_e32 v10, 16, v18
	v_bfi_b32 v12, s21, v48, v11
	v_lshrrev_b32_e32 v11, 16, v20
	v_lshrrev_b32_e32 v13, 16, v21
	v_bfi_b32 v10, s21, v26, v10
	v_bfi_b32 v11, s21, v27, v11
	;; [unrolled: 1-line block ×3, first 2 shown]
	v_perm_b32 v11, v13, v11, s10
	v_perm_b32 v10, v12, v10, s10
	global_store_dwordx2 v45, v[10:11], s[8:9]
	v_lshrrev_b32_e32 v64, 16, v36
	v_lshrrev_b32_e32 v42, 16, v37
	;; [unrolled: 1-line block ×3, first 2 shown]
	s_waitcnt vmcnt(7)
	v_lshrrev_b32_e32 v10, 16, v22
	v_lshrrev_b32_e32 v11, 16, v23
	v_bfi_b32 v10, s21, v34, v10
	v_bfi_b32 v12, s21, v56, v11
	v_lshrrev_b32_e32 v11, 16, v24
	v_lshrrev_b32_e32 v13, 16, v25
	v_bfi_b32 v11, s21, v35, v11
	v_bfi_b32 v13, s21, v60, v13
	v_perm_b32 v10, v12, v10, s10
	v_add_co_u32_e32 v12, vcc, s20, v1
	v_perm_b32 v11, v13, v11, s10
	v_addc_co_u32_e32 v13, vcc, 0, v57, vcc
	s_waitcnt vmcnt(6)
	v_lshrrev_b32_e32 v3, 16, v3
	global_store_dwordx2 v[12:13], v[10:11], off
	v_lshrrev_b32_e32 v2, 16, v2
	v_bfi_b32 v10, s21, v64, v3
	v_lshrrev_b32_e32 v3, 16, v4
	v_lshrrev_b32_e32 v4, 16, v5
	v_bfi_b32 v2, s21, v36, v2
	v_bfi_b32 v3, s21, v37, v3
	;; [unrolled: 1-line block ×3, first 2 shown]
	v_perm_b32 v3, v4, v3, s10
	v_perm_b32 v2, v10, v2, s10
	global_store_dwordx2 v46, v[2:3], s[8:9]
	s_waitcnt vmcnt(7)
	v_lshrrev_b32_e32 v2, 16, v6
	v_lshrrev_b32_e32 v3, 16, v7
	;; [unrolled: 1-line block ×3, first 2 shown]
	v_bfi_b32 v2, s21, v38, v2
	v_bfi_b32 v4, s21, v43, v3
	v_lshrrev_b32_e32 v3, 16, v8
	v_lshrrev_b32_e32 v5, 16, v9
	v_bfi_b32 v3, s21, v39, v3
	v_bfi_b32 v5, s21, v47, v5
	v_perm_b32 v2, v4, v2, s10
	v_add_co_u32_e32 v4, vcc, 0x7000, v1
	v_perm_b32 v3, v5, v3, s10
	v_addc_co_u32_e32 v5, vcc, 0, v57, vcc
	global_store_dwordx2 v[4:5], v[2:3], off
	s_cbranch_execnz .LBB111_2
.LBB111_4:
	s_load_dword s10, s[4:5], 0x24
	s_load_dwordx4 s[20:23], s[4:5], 0x28
	s_add_u32 s8, s4, 56
	s_addc_u32 s9, s5, 0
	v_mov_b32_e32 v31, v0
	s_waitcnt lgkmcnt(0)
	v_lshrrev_b16_e64 v8, 8, s10
	v_mov_b32_e32 v0, s16
	v_mov_b32_e32 v1, s17
	;; [unrolled: 1-line block ×12, first 2 shown]
	s_getpc_b64 s[4:5]
	s_add_u32 s4, s4, _ZN2at6native25elementwise_kernel_helperILb1ENS0_13BinaryFunctorIfffZZZNS0_20copysign_kernel_cudaERNS_18TensorIteratorBaseEENKUlvE_clEvENKUlvE0_clEvEUlffE_EENS0_6memory8policies11unroll_baseILi512ESt5arrayIPcLm3EE23TrivialOffsetCalculatorILi2EjESF_ILi1EjENS9_12LoadWithCastILi2EEENS9_13StoreWithCastILi1EEELi32ELi1EEEEEvT0_T1_@rel32@lo+4
	s_addc_u32 s5, s5, _ZN2at6native25elementwise_kernel_helperILb1ENS0_13BinaryFunctorIfffZZZNS0_20copysign_kernel_cudaERNS_18TensorIteratorBaseEENKUlvE_clEvENKUlvE0_clEvEUlffE_EENS0_6memory8policies11unroll_baseILi512ESt5arrayIPcLm3EE23TrivialOffsetCalculatorILi2EjESF_ILi1EjENS9_12LoadWithCastILi2EEENS9_13StoreWithCastILi1EEELi32ELi1EEEEEvT0_T1_@rel32@hi+12
	s_swappc_b64 s[30:31], s[4:5]
	s_endpgm
	.section	.rodata,"a",@progbits
	.p2align	6, 0x0
	.amdhsa_kernel _ZN2at6native39vectorized_templated_elementwise_kernelILi4ENS0_13BinaryFunctorIfffZZZNS0_20copysign_kernel_cudaERNS_18TensorIteratorBaseEENKUlvE_clEvENKUlvE0_clEvEUlffE_EESt5arrayIPcLm3EE23TrivialOffsetCalculatorILi2EjESC_ILi1EjENS0_6memory12LoadWithCastILi2EEENSF_13StoreWithCastILi1EEEN3c104HalfEJSL_fEEEviT0_T1_T2_T3_T4_T5_
		.amdhsa_group_segment_fixed_size 0
		.amdhsa_private_segment_fixed_size 288
		.amdhsa_kernarg_size 312
		.amdhsa_user_sgpr_count 8
		.amdhsa_user_sgpr_private_segment_buffer 1
		.amdhsa_user_sgpr_dispatch_ptr 0
		.amdhsa_user_sgpr_queue_ptr 0
		.amdhsa_user_sgpr_kernarg_segment_ptr 1
		.amdhsa_user_sgpr_dispatch_id 0
		.amdhsa_user_sgpr_flat_scratch_init 1
		.amdhsa_user_sgpr_kernarg_preload_length 0
		.amdhsa_user_sgpr_kernarg_preload_offset 0
		.amdhsa_user_sgpr_private_segment_size 0
		.amdhsa_uses_dynamic_stack 0
		.amdhsa_system_sgpr_private_segment_wavefront_offset 1
		.amdhsa_system_sgpr_workgroup_id_x 1
		.amdhsa_system_sgpr_workgroup_id_y 0
		.amdhsa_system_sgpr_workgroup_id_z 0
		.amdhsa_system_sgpr_workgroup_info 0
		.amdhsa_system_vgpr_workitem_id 0
		.amdhsa_next_free_vgpr 120
		.amdhsa_next_free_sgpr 98
		.amdhsa_accum_offset 120
		.amdhsa_reserve_vcc 1
		.amdhsa_reserve_flat_scratch 1
		.amdhsa_float_round_mode_32 0
		.amdhsa_float_round_mode_16_64 0
		.amdhsa_float_denorm_mode_32 3
		.amdhsa_float_denorm_mode_16_64 3
		.amdhsa_dx10_clamp 1
		.amdhsa_ieee_mode 1
		.amdhsa_fp16_overflow 0
		.amdhsa_tg_split 0
		.amdhsa_exception_fp_ieee_invalid_op 0
		.amdhsa_exception_fp_denorm_src 0
		.amdhsa_exception_fp_ieee_div_zero 0
		.amdhsa_exception_fp_ieee_overflow 0
		.amdhsa_exception_fp_ieee_underflow 0
		.amdhsa_exception_fp_ieee_inexact 0
		.amdhsa_exception_int_div_zero 0
	.end_amdhsa_kernel
	.section	.text._ZN2at6native39vectorized_templated_elementwise_kernelILi4ENS0_13BinaryFunctorIfffZZZNS0_20copysign_kernel_cudaERNS_18TensorIteratorBaseEENKUlvE_clEvENKUlvE0_clEvEUlffE_EESt5arrayIPcLm3EE23TrivialOffsetCalculatorILi2EjESC_ILi1EjENS0_6memory12LoadWithCastILi2EEENSF_13StoreWithCastILi1EEEN3c104HalfEJSL_fEEEviT0_T1_T2_T3_T4_T5_,"axG",@progbits,_ZN2at6native39vectorized_templated_elementwise_kernelILi4ENS0_13BinaryFunctorIfffZZZNS0_20copysign_kernel_cudaERNS_18TensorIteratorBaseEENKUlvE_clEvENKUlvE0_clEvEUlffE_EESt5arrayIPcLm3EE23TrivialOffsetCalculatorILi2EjESC_ILi1EjENS0_6memory12LoadWithCastILi2EEENSF_13StoreWithCastILi1EEEN3c104HalfEJSL_fEEEviT0_T1_T2_T3_T4_T5_,comdat
.Lfunc_end111:
	.size	_ZN2at6native39vectorized_templated_elementwise_kernelILi4ENS0_13BinaryFunctorIfffZZZNS0_20copysign_kernel_cudaERNS_18TensorIteratorBaseEENKUlvE_clEvENKUlvE0_clEvEUlffE_EESt5arrayIPcLm3EE23TrivialOffsetCalculatorILi2EjESC_ILi1EjENS0_6memory12LoadWithCastILi2EEENSF_13StoreWithCastILi1EEEN3c104HalfEJSL_fEEEviT0_T1_T2_T3_T4_T5_, .Lfunc_end111-_ZN2at6native39vectorized_templated_elementwise_kernelILi4ENS0_13BinaryFunctorIfffZZZNS0_20copysign_kernel_cudaERNS_18TensorIteratorBaseEENKUlvE_clEvENKUlvE0_clEvEUlffE_EESt5arrayIPcLm3EE23TrivialOffsetCalculatorILi2EjESC_ILi1EjENS0_6memory12LoadWithCastILi2EEENSF_13StoreWithCastILi1EEEN3c104HalfEJSL_fEEEviT0_T1_T2_T3_T4_T5_
                                        ; -- End function
	.section	.AMDGPU.csdata,"",@progbits
; Kernel info:
; codeLenInByte = 1336
; NumSgprs: 104
; NumVgprs: 120
; NumAgprs: 0
; TotalNumVgprs: 120
; ScratchSize: 288
; MemoryBound: 0
; FloatMode: 240
; IeeeMode: 1
; LDSByteSize: 0 bytes/workgroup (compile time only)
; SGPRBlocks: 12
; VGPRBlocks: 14
; NumSGPRsForWavesPerEU: 104
; NumVGPRsForWavesPerEU: 120
; AccumOffset: 120
; Occupancy: 4
; WaveLimiterHint : 0
; COMPUTE_PGM_RSRC2:SCRATCH_EN: 1
; COMPUTE_PGM_RSRC2:USER_SGPR: 8
; COMPUTE_PGM_RSRC2:TRAP_HANDLER: 0
; COMPUTE_PGM_RSRC2:TGID_X_EN: 1
; COMPUTE_PGM_RSRC2:TGID_Y_EN: 0
; COMPUTE_PGM_RSRC2:TGID_Z_EN: 0
; COMPUTE_PGM_RSRC2:TIDIG_COMP_CNT: 0
; COMPUTE_PGM_RSRC3_GFX90A:ACCUM_OFFSET: 29
; COMPUTE_PGM_RSRC3_GFX90A:TG_SPLIT: 0
	.section	.text._ZN2at6native39vectorized_templated_elementwise_kernelILi2ENS0_13BinaryFunctorIfffZZZNS0_20copysign_kernel_cudaERNS_18TensorIteratorBaseEENKUlvE_clEvENKUlvE0_clEvEUlffE_EESt5arrayIPcLm3EE23TrivialOffsetCalculatorILi2EjESC_ILi1EjENS0_6memory12LoadWithCastILi2EEENSF_13StoreWithCastILi1EEEN3c104HalfEJSL_fEEEviT0_T1_T2_T3_T4_T5_,"axG",@progbits,_ZN2at6native39vectorized_templated_elementwise_kernelILi2ENS0_13BinaryFunctorIfffZZZNS0_20copysign_kernel_cudaERNS_18TensorIteratorBaseEENKUlvE_clEvENKUlvE0_clEvEUlffE_EESt5arrayIPcLm3EE23TrivialOffsetCalculatorILi2EjESC_ILi1EjENS0_6memory12LoadWithCastILi2EEENSF_13StoreWithCastILi1EEEN3c104HalfEJSL_fEEEviT0_T1_T2_T3_T4_T5_,comdat
	.globl	_ZN2at6native39vectorized_templated_elementwise_kernelILi2ENS0_13BinaryFunctorIfffZZZNS0_20copysign_kernel_cudaERNS_18TensorIteratorBaseEENKUlvE_clEvENKUlvE0_clEvEUlffE_EESt5arrayIPcLm3EE23TrivialOffsetCalculatorILi2EjESC_ILi1EjENS0_6memory12LoadWithCastILi2EEENSF_13StoreWithCastILi1EEEN3c104HalfEJSL_fEEEviT0_T1_T2_T3_T4_T5_ ; -- Begin function _ZN2at6native39vectorized_templated_elementwise_kernelILi2ENS0_13BinaryFunctorIfffZZZNS0_20copysign_kernel_cudaERNS_18TensorIteratorBaseEENKUlvE_clEvENKUlvE0_clEvEUlffE_EESt5arrayIPcLm3EE23TrivialOffsetCalculatorILi2EjESC_ILi1EjENS0_6memory12LoadWithCastILi2EEENSF_13StoreWithCastILi1EEEN3c104HalfEJSL_fEEEviT0_T1_T2_T3_T4_T5_
	.p2align	8
	.type	_ZN2at6native39vectorized_templated_elementwise_kernelILi2ENS0_13BinaryFunctorIfffZZZNS0_20copysign_kernel_cudaERNS_18TensorIteratorBaseEENKUlvE_clEvENKUlvE0_clEvEUlffE_EESt5arrayIPcLm3EE23TrivialOffsetCalculatorILi2EjESC_ILi1EjENS0_6memory12LoadWithCastILi2EEENSF_13StoreWithCastILi1EEEN3c104HalfEJSL_fEEEviT0_T1_T2_T3_T4_T5_,@function
_ZN2at6native39vectorized_templated_elementwise_kernelILi2ENS0_13BinaryFunctorIfffZZZNS0_20copysign_kernel_cudaERNS_18TensorIteratorBaseEENKUlvE_clEvENKUlvE0_clEvEUlffE_EESt5arrayIPcLm3EE23TrivialOffsetCalculatorILi2EjESC_ILi1EjENS0_6memory12LoadWithCastILi2EEENSF_13StoreWithCastILi1EEEN3c104HalfEJSL_fEEEviT0_T1_T2_T3_T4_T5_: ; @_ZN2at6native39vectorized_templated_elementwise_kernelILi2ENS0_13BinaryFunctorIfffZZZNS0_20copysign_kernel_cudaERNS_18TensorIteratorBaseEENKUlvE_clEvENKUlvE0_clEvEUlffE_EESt5arrayIPcLm3EE23TrivialOffsetCalculatorILi2EjESC_ILi1EjENS0_6memory12LoadWithCastILi2EEENSF_13StoreWithCastILi1EEEN3c104HalfEJSL_fEEEviT0_T1_T2_T3_T4_T5_
; %bb.0:
	s_add_u32 flat_scratch_lo, s6, s9
	s_addc_u32 flat_scratch_hi, s7, 0
	s_add_u32 s0, s0, s9
	s_mov_b32 s12, s8
	s_load_dword s8, s[4:5], 0x38
	s_load_dwordx2 s[6:7], s[4:5], 0x18
	s_load_dword s9, s[4:5], 0x0
	s_load_dwordx4 s[16:19], s[4:5], 0x8
	s_addc_u32 s1, s1, 0
	s_not_b32 s10, s12
	s_waitcnt lgkmcnt(0)
	s_add_i32 s8, s8, s10
	s_lshl_b32 s14, s8, 14
	s_sub_i32 s13, s9, s14
	s_cmpk_gt_i32 s13, 0x3fff
	s_mov_b64 s[8:9], -1
	s_mov_b32 s32, 0
	s_cbranch_scc1 .LBB112_3
; %bb.1:
	s_andn2_b64 vcc, exec, s[8:9]
	s_cbranch_vccz .LBB112_4
.LBB112_2:
	s_endpgm
.LBB112_3:
	s_ashr_i32 s15, s14, 31
	s_lshl_b64 s[8:9], s[14:15], 1
	s_add_u32 s10, s18, s8
	s_addc_u32 s11, s19, s9
	v_lshlrev_b32_e32 v1, 2, v0
	v_mov_b32_e32 v2, s11
	v_add_co_u32_e32 v16, vcc, s10, v1
	v_addc_co_u32_e32 v17, vcc, 0, v2, vcc
	s_movk_i32 s24, 0x1000
	v_add_co_u32_e32 v2, vcc, s24, v16
	v_or_b32_e32 v4, 0x400, v0
	v_addc_co_u32_e32 v3, vcc, 0, v17, vcc
	v_or_b32_e32 v18, 0x800, v0
	s_movk_i32 s25, 0x2000
	s_lshl_b64 s[14:15], s[14:15], 2
	v_lshlrev_b32_e32 v34, 2, v4
	v_lshlrev_b32_e32 v35, 2, v18
	global_load_dword v36, v1, s[10:11]
	global_load_dword v37, v1, s[10:11] offset:2048
	global_load_dword v26, v34, s[10:11]
	global_load_dword v38, v[2:3], off offset:2048
	global_load_dword v39, v35, s[10:11]
	v_add_co_u32_e32 v2, vcc, s25, v16
	s_add_u32 s14, s6, s14
	v_addc_co_u32_e32 v3, vcc, 0, v17, vcc
	v_lshlrev_b32_e32 v10, 3, v0
	s_addc_u32 s15, s7, s15
	global_load_dword v40, v[2:3], off offset:2048
	v_mov_b32_e32 v2, s15
	v_add_co_u32_e32 v24, vcc, s14, v10
	v_addc_co_u32_e32 v25, vcc, 0, v2, vcc
	v_add_co_u32_e32 v2, vcc, s24, v24
	v_lshlrev_b32_e32 v11, 3, v4
	v_addc_co_u32_e32 v3, vcc, 0, v25, vcc
	global_load_dwordx2 v[4:5], v10, s[14:15]
	global_load_dwordx2 v[6:7], v[2:3], off
	global_load_dwordx2 v[8:9], v11, s[14:15]
	s_movk_i32 s23, 0x3000
	v_add_co_u32_e32 v2, vcc, s23, v16
	s_movk_i32 s22, 0x4000
	v_addc_co_u32_e32 v3, vcc, 0, v17, vcc
	v_add_co_u32_e32 v10, vcc, s22, v16
	s_movk_i32 s21, 0x5000
	v_addc_co_u32_e32 v11, vcc, 0, v17, vcc
	;; [unrolled: 3-line block ×3, first 2 shown]
	v_or_b32_e32 v19, 0xc00, v0
	v_add_co_u32_e32 v14, vcc, s20, v16
	v_lshlrev_b32_e32 v41, 2, v19
	v_addc_co_u32_e32 v15, vcc, 0, v17, vcc
	v_or_b32_e32 v22, 0x1000, v0
	global_load_dword v46, v41, s[10:11]
	global_load_dword v47, v[2:3], off offset:2048
	v_add_co_u32_e32 v2, vcc, s23, v24
	v_or_b32_e32 v23, 0x1400, v0
	v_or_b32_e32 v30, 0x1800, v0
	;; [unrolled: 1-line block ×3, first 2 shown]
	v_lshlrev_b32_e32 v42, 2, v22
	v_addc_co_u32_e32 v3, vcc, 0, v25, vcc
	v_lshlrev_b32_e32 v43, 2, v23
	v_lshlrev_b32_e32 v44, 2, v30
	;; [unrolled: 1-line block ×3, first 2 shown]
	global_load_dword v52, v42, s[10:11]
	global_load_dword v54, v[10:11], off offset:2048
	global_load_dword v55, v43, s[10:11]
	global_load_dword v56, v[12:13], off offset:2048
	;; [unrolled: 2-line block ×3, first 2 shown]
	global_load_dword v59, v45, s[10:11]
	s_movk_i32 s10, 0x7000
	global_load_dwordx2 v[2:3], v[2:3], off
	v_add_co_u32_e32 v10, vcc, s10, v16
	v_addc_co_u32_e32 v11, vcc, 0, v17, vcc
	global_load_dword v60, v[10:11], off offset:2048
	v_add_co_u32_e32 v10, vcc, s21, v24
	v_addc_co_u32_e32 v11, vcc, 0, v25, vcc
	v_lshlrev_b32_e32 v27, 3, v18
	v_add_co_u32_e32 v12, vcc, s10, v24
	v_lshlrev_b32_e32 v28, 3, v19
	v_addc_co_u32_e32 v13, vcc, 0, v25, vcc
	global_load_dwordx2 v[14:15], v27, s[14:15]
	global_load_dwordx2 v[16:17], v[10:11], off
	global_load_dwordx2 v[18:19], v28, s[14:15]
	global_load_dwordx2 v[20:21], v[12:13], off
	s_mov_b32 s10, 0x9000
	v_add_co_u32_e32 v10, vcc, s10, v24
	v_addc_co_u32_e32 v11, vcc, 0, v25, vcc
	s_mov_b32 s10, 0xb000
	v_add_co_u32_e32 v12, vcc, s10, v24
	v_addc_co_u32_e32 v13, vcc, 0, v25, vcc
	s_mov_b32 s10, 0xd000
	v_lshlrev_b32_e32 v33, 3, v22
	v_add_co_u32_e32 v22, vcc, s10, v24
	v_lshlrev_b32_e32 v61, 3, v23
	v_addc_co_u32_e32 v23, vcc, 0, v25, vcc
	s_mov_b32 s10, 0xf000
	v_add_co_u32_e32 v24, vcc, s10, v24
	s_movk_i32 s10, 0x7fff
	s_waitcnt vmcnt(21)
	v_lshrrev_b32_e32 v32, 16, v26
	s_mov_b32 s11, 0x5040100
	v_addc_co_u32_e32 v25, vcc, 0, v25, vcc
	s_waitcnt vmcnt(15)
	v_lshrrev_b32_e32 v8, 16, v8
	v_bfi_b32 v62, s10, v26, v8
	v_lshrrev_b32_e32 v63, 16, v9
	global_load_dwordx2 v[8:9], v33, s[14:15]
	global_load_dwordx2 v[26:27], v[10:11], off
	global_load_dwordx2 v[28:29], v61, s[14:15]
                                        ; kill: killed $vgpr10 killed $vgpr11
                                        ; kill: killed $vgpr61
                                        ; kill: killed $vgpr33
	s_nop 0
	global_load_dwordx2 v[10:11], v[12:13], off
	v_lshlrev_b32_e32 v61, 3, v30
	v_bfi_b32 v12, s10, v32, v63
	v_lshlrev_b32_e32 v64, 3, v31
	v_perm_b32 v62, v12, v62, s11
	global_load_dwordx2 v[12:13], v61, s[14:15]
	global_load_dwordx2 v[30:31], v[22:23], off
	global_load_dwordx2 v[32:33], v64, s[14:15]
                                        ; kill: killed $sgpr14 killed $sgpr15
                                        ; kill: killed $vgpr64
                                        ; kill: killed $vgpr61
                                        ; kill: killed $vgpr22 killed $vgpr23
	s_nop 0
	global_load_dwordx2 v[22:23], v[24:25], off
	v_lshrrev_b32_e32 v48, 16, v36
	v_lshrrev_b32_e32 v4, 16, v4
	;; [unrolled: 1-line block ×3, first 2 shown]
	s_add_u32 s8, s16, s8
	v_bfi_b32 v4, s10, v36, v4
	v_bfi_b32 v5, s10, v48, v5
	s_addc_u32 s9, s17, s9
	v_perm_b32 v4, v5, v4, s11
	v_lshrrev_b32_e32 v49, 16, v37
	global_store_dword v1, v4, s[8:9]
	v_lshrrev_b32_e32 v4, 16, v6
	v_lshrrev_b32_e32 v7, 16, v7
	v_bfi_b32 v4, s10, v37, v4
	v_bfi_b32 v7, s10, v49, v7
	v_perm_b32 v4, v7, v4, s11
	v_lshrrev_b32_e32 v50, 16, v38
	global_store_dword v1, v4, s[8:9] offset:2048
	v_add_co_u32_e32 v1, vcc, s8, v1
	v_lshrrev_b32_e32 v51, 16, v39
	v_lshrrev_b32_e32 v53, 16, v40
	s_waitcnt vmcnt(24)
	v_lshrrev_b32_e32 v24, 16, v46
	s_waitcnt vmcnt(23)
	v_lshrrev_b32_e32 v25, 16, v47
	global_store_dword v34, v62, s[8:9]
	s_waitcnt vmcnt(22)
	v_lshrrev_b32_e32 v36, 16, v54
	s_waitcnt vmcnt(21)
	v_lshrrev_b32_e32 v5, 16, v55
	v_lshrrev_b32_e32 v34, 16, v52
	s_waitcnt vmcnt(20)
	v_lshrrev_b32_e32 v6, 16, v56
	s_waitcnt vmcnt(19)
	;; [unrolled: 2-line block ×3, first 2 shown]
	v_lshrrev_b32_e32 v2, 16, v2
	v_bfi_b32 v2, s10, v38, v2
	v_lshrrev_b32_e32 v3, 16, v3
	v_mov_b32_e32 v38, s9
	v_addc_co_u32_e32 v38, vcc, 0, v38, vcc
	v_bfi_b32 v3, s10, v50, v3
	v_perm_b32 v49, v3, v2, s11
	v_add_co_u32_e32 v2, vcc, s24, v1
	v_addc_co_u32_e32 v3, vcc, 0, v38, vcc
	global_store_dword v[2:3], v49, off offset:2048
	s_waitcnt vmcnt(15)
	v_lshrrev_b32_e32 v2, 16, v14
	v_lshrrev_b32_e32 v3, 16, v15
	v_bfi_b32 v2, s10, v39, v2
	v_bfi_b32 v3, s10, v51, v3
	v_perm_b32 v2, v3, v2, s11
	global_store_dword v35, v2, s[8:9]
	s_waitcnt vmcnt(15)
	v_lshrrev_b32_e32 v2, 16, v16
	v_lshrrev_b32_e32 v3, 16, v17
	v_bfi_b32 v2, s10, v40, v2
	v_bfi_b32 v3, s10, v53, v3
	v_perm_b32 v14, v3, v2, s11
	v_add_co_u32_e32 v2, vcc, s25, v1
	v_addc_co_u32_e32 v3, vcc, 0, v38, vcc
	global_store_dword v[2:3], v14, off offset:2048
	s_waitcnt vmcnt(15)
	v_lshrrev_b32_e32 v2, 16, v18
	v_lshrrev_b32_e32 v3, 16, v19
	v_bfi_b32 v2, s10, v46, v2
	v_bfi_b32 v3, s10, v24, v3
	v_perm_b32 v2, v3, v2, s11
	global_store_dword v41, v2, s[8:9]
	s_waitcnt vmcnt(15)
	v_lshrrev_b32_e32 v2, 16, v20
	v_lshrrev_b32_e32 v3, 16, v21
	v_bfi_b32 v2, s10, v47, v2
	;; [unrolled: 16-line block ×4, first 2 shown]
	v_bfi_b32 v3, s10, v6, v3
	v_perm_b32 v5, v3, v2, s11
	v_add_co_u32_e32 v2, vcc, s21, v1
	v_addc_co_u32_e32 v3, vcc, 0, v38, vcc
	global_store_dword v[2:3], v5, off offset:2048
	s_waitcnt vmcnt(15)
	v_lshrrev_b32_e32 v2, 16, v12
	v_lshrrev_b32_e32 v3, 16, v13
	v_bfi_b32 v2, s10, v57, v2
	v_bfi_b32 v3, s10, v37, v3
	v_perm_b32 v2, v3, v2, s11
	v_lshrrev_b32_e32 v48, 16, v58
	global_store_dword v44, v2, s[8:9]
	s_waitcnt vmcnt(15)
	v_lshrrev_b32_e32 v2, 16, v30
	v_lshrrev_b32_e32 v3, 16, v31
	v_bfi_b32 v2, s10, v58, v2
	v_bfi_b32 v3, s10, v48, v3
	v_perm_b32 v5, v3, v2, s11
	v_add_co_u32_e32 v2, vcc, s20, v1
	v_addc_co_u32_e32 v3, vcc, 0, v38, vcc
	v_lshrrev_b32_e32 v7, 16, v59
	global_store_dword v[2:3], v5, off offset:2048
	s_waitcnt vmcnt(15)
	v_lshrrev_b32_e32 v2, 16, v32
	v_lshrrev_b32_e32 v3, 16, v33
	v_bfi_b32 v2, s10, v59, v2
	v_bfi_b32 v3, s10, v7, v3
	v_perm_b32 v2, v3, v2, s11
	v_lshrrev_b32_e32 v4, 16, v60
	global_store_dword v45, v2, s[8:9]
	s_waitcnt vmcnt(15)
	v_lshrrev_b32_e32 v2, 16, v22
	v_lshrrev_b32_e32 v3, 16, v23
	v_bfi_b32 v2, s10, v60, v2
	v_bfi_b32 v3, s10, v4, v3
	v_perm_b32 v4, v3, v2, s11
	v_add_co_u32_e32 v2, vcc, 0x7000, v1
	v_addc_co_u32_e32 v3, vcc, 0, v38, vcc
	global_store_dword v[2:3], v4, off offset:2048
	s_cbranch_execnz .LBB112_2
.LBB112_4:
	s_load_dword s10, s[4:5], 0x24
	s_load_dwordx4 s[20:23], s[4:5], 0x28
	s_add_u32 s8, s4, 56
	s_addc_u32 s9, s5, 0
	v_mov_b32_e32 v31, v0
	s_waitcnt lgkmcnt(0)
	v_lshrrev_b16_e64 v8, 8, s10
	v_mov_b32_e32 v0, s16
	v_mov_b32_e32 v1, s17
	;; [unrolled: 1-line block ×12, first 2 shown]
	s_getpc_b64 s[4:5]
	s_add_u32 s4, s4, _ZN2at6native25elementwise_kernel_helperILb1ENS0_13BinaryFunctorIfffZZZNS0_20copysign_kernel_cudaERNS_18TensorIteratorBaseEENKUlvE_clEvENKUlvE0_clEvEUlffE_EENS0_6memory8policies11unroll_baseILi512ESt5arrayIPcLm3EE23TrivialOffsetCalculatorILi2EjESF_ILi1EjENS9_12LoadWithCastILi2EEENS9_13StoreWithCastILi1EEELi32ELi1EEEEEvT0_T1_@rel32@lo+4
	s_addc_u32 s5, s5, _ZN2at6native25elementwise_kernel_helperILb1ENS0_13BinaryFunctorIfffZZZNS0_20copysign_kernel_cudaERNS_18TensorIteratorBaseEENKUlvE_clEvENKUlvE0_clEvEUlffE_EENS0_6memory8policies11unroll_baseILi512ESt5arrayIPcLm3EE23TrivialOffsetCalculatorILi2EjESF_ILi1EjENS9_12LoadWithCastILi2EEENS9_13StoreWithCastILi1EEELi32ELi1EEEEEvT0_T1_@rel32@hi+12
	s_swappc_b64 s[30:31], s[4:5]
	s_endpgm
	.section	.rodata,"a",@progbits
	.p2align	6, 0x0
	.amdhsa_kernel _ZN2at6native39vectorized_templated_elementwise_kernelILi2ENS0_13BinaryFunctorIfffZZZNS0_20copysign_kernel_cudaERNS_18TensorIteratorBaseEENKUlvE_clEvENKUlvE0_clEvEUlffE_EESt5arrayIPcLm3EE23TrivialOffsetCalculatorILi2EjESC_ILi1EjENS0_6memory12LoadWithCastILi2EEENSF_13StoreWithCastILi1EEEN3c104HalfEJSL_fEEEviT0_T1_T2_T3_T4_T5_
		.amdhsa_group_segment_fixed_size 0
		.amdhsa_private_segment_fixed_size 288
		.amdhsa_kernarg_size 312
		.amdhsa_user_sgpr_count 8
		.amdhsa_user_sgpr_private_segment_buffer 1
		.amdhsa_user_sgpr_dispatch_ptr 0
		.amdhsa_user_sgpr_queue_ptr 0
		.amdhsa_user_sgpr_kernarg_segment_ptr 1
		.amdhsa_user_sgpr_dispatch_id 0
		.amdhsa_user_sgpr_flat_scratch_init 1
		.amdhsa_user_sgpr_kernarg_preload_length 0
		.amdhsa_user_sgpr_kernarg_preload_offset 0
		.amdhsa_user_sgpr_private_segment_size 0
		.amdhsa_uses_dynamic_stack 0
		.amdhsa_system_sgpr_private_segment_wavefront_offset 1
		.amdhsa_system_sgpr_workgroup_id_x 1
		.amdhsa_system_sgpr_workgroup_id_y 0
		.amdhsa_system_sgpr_workgroup_id_z 0
		.amdhsa_system_sgpr_workgroup_info 0
		.amdhsa_system_vgpr_workitem_id 0
		.amdhsa_next_free_vgpr 120
		.amdhsa_next_free_sgpr 98
		.amdhsa_accum_offset 120
		.amdhsa_reserve_vcc 1
		.amdhsa_reserve_flat_scratch 1
		.amdhsa_float_round_mode_32 0
		.amdhsa_float_round_mode_16_64 0
		.amdhsa_float_denorm_mode_32 3
		.amdhsa_float_denorm_mode_16_64 3
		.amdhsa_dx10_clamp 1
		.amdhsa_ieee_mode 1
		.amdhsa_fp16_overflow 0
		.amdhsa_tg_split 0
		.amdhsa_exception_fp_ieee_invalid_op 0
		.amdhsa_exception_fp_denorm_src 0
		.amdhsa_exception_fp_ieee_div_zero 0
		.amdhsa_exception_fp_ieee_overflow 0
		.amdhsa_exception_fp_ieee_underflow 0
		.amdhsa_exception_fp_ieee_inexact 0
		.amdhsa_exception_int_div_zero 0
	.end_amdhsa_kernel
	.section	.text._ZN2at6native39vectorized_templated_elementwise_kernelILi2ENS0_13BinaryFunctorIfffZZZNS0_20copysign_kernel_cudaERNS_18TensorIteratorBaseEENKUlvE_clEvENKUlvE0_clEvEUlffE_EESt5arrayIPcLm3EE23TrivialOffsetCalculatorILi2EjESC_ILi1EjENS0_6memory12LoadWithCastILi2EEENSF_13StoreWithCastILi1EEEN3c104HalfEJSL_fEEEviT0_T1_T2_T3_T4_T5_,"axG",@progbits,_ZN2at6native39vectorized_templated_elementwise_kernelILi2ENS0_13BinaryFunctorIfffZZZNS0_20copysign_kernel_cudaERNS_18TensorIteratorBaseEENKUlvE_clEvENKUlvE0_clEvEUlffE_EESt5arrayIPcLm3EE23TrivialOffsetCalculatorILi2EjESC_ILi1EjENS0_6memory12LoadWithCastILi2EEENSF_13StoreWithCastILi1EEEN3c104HalfEJSL_fEEEviT0_T1_T2_T3_T4_T5_,comdat
.Lfunc_end112:
	.size	_ZN2at6native39vectorized_templated_elementwise_kernelILi2ENS0_13BinaryFunctorIfffZZZNS0_20copysign_kernel_cudaERNS_18TensorIteratorBaseEENKUlvE_clEvENKUlvE0_clEvEUlffE_EESt5arrayIPcLm3EE23TrivialOffsetCalculatorILi2EjESC_ILi1EjENS0_6memory12LoadWithCastILi2EEENSF_13StoreWithCastILi1EEEN3c104HalfEJSL_fEEEviT0_T1_T2_T3_T4_T5_, .Lfunc_end112-_ZN2at6native39vectorized_templated_elementwise_kernelILi2ENS0_13BinaryFunctorIfffZZZNS0_20copysign_kernel_cudaERNS_18TensorIteratorBaseEENKUlvE_clEvENKUlvE0_clEvEUlffE_EESt5arrayIPcLm3EE23TrivialOffsetCalculatorILi2EjESC_ILi1EjENS0_6memory12LoadWithCastILi2EEENSF_13StoreWithCastILi1EEEN3c104HalfEJSL_fEEEviT0_T1_T2_T3_T4_T5_
                                        ; -- End function
	.section	.AMDGPU.csdata,"",@progbits
; Kernel info:
; codeLenInByte = 1716
; NumSgprs: 104
; NumVgprs: 120
; NumAgprs: 0
; TotalNumVgprs: 120
; ScratchSize: 288
; MemoryBound: 0
; FloatMode: 240
; IeeeMode: 1
; LDSByteSize: 0 bytes/workgroup (compile time only)
; SGPRBlocks: 12
; VGPRBlocks: 14
; NumSGPRsForWavesPerEU: 104
; NumVGPRsForWavesPerEU: 120
; AccumOffset: 120
; Occupancy: 4
; WaveLimiterHint : 0
; COMPUTE_PGM_RSRC2:SCRATCH_EN: 1
; COMPUTE_PGM_RSRC2:USER_SGPR: 8
; COMPUTE_PGM_RSRC2:TRAP_HANDLER: 0
; COMPUTE_PGM_RSRC2:TGID_X_EN: 1
; COMPUTE_PGM_RSRC2:TGID_Y_EN: 0
; COMPUTE_PGM_RSRC2:TGID_Z_EN: 0
; COMPUTE_PGM_RSRC2:TIDIG_COMP_CNT: 0
; COMPUTE_PGM_RSRC3_GFX90A:ACCUM_OFFSET: 29
; COMPUTE_PGM_RSRC3_GFX90A:TG_SPLIT: 0
	.section	.text._ZN2at6native32elementwise_kernel_manual_unrollILi128ELi4EZNS0_15gpu_kernel_implINS0_13BinaryFunctorIfffZZZNS0_20copysign_kernel_cudaERNS_18TensorIteratorBaseEENKUlvE_clEvENKUlvE0_clEvEUlffE_EEEEvS5_RKT_EUlibE_EEviT1_,"axG",@progbits,_ZN2at6native32elementwise_kernel_manual_unrollILi128ELi4EZNS0_15gpu_kernel_implINS0_13BinaryFunctorIfffZZZNS0_20copysign_kernel_cudaERNS_18TensorIteratorBaseEENKUlvE_clEvENKUlvE0_clEvEUlffE_EEEEvS5_RKT_EUlibE_EEviT1_,comdat
	.globl	_ZN2at6native32elementwise_kernel_manual_unrollILi128ELi4EZNS0_15gpu_kernel_implINS0_13BinaryFunctorIfffZZZNS0_20copysign_kernel_cudaERNS_18TensorIteratorBaseEENKUlvE_clEvENKUlvE0_clEvEUlffE_EEEEvS5_RKT_EUlibE_EEviT1_ ; -- Begin function _ZN2at6native32elementwise_kernel_manual_unrollILi128ELi4EZNS0_15gpu_kernel_implINS0_13BinaryFunctorIfffZZZNS0_20copysign_kernel_cudaERNS_18TensorIteratorBaseEENKUlvE_clEvENKUlvE0_clEvEUlffE_EEEEvS5_RKT_EUlibE_EEviT1_
	.p2align	8
	.type	_ZN2at6native32elementwise_kernel_manual_unrollILi128ELi4EZNS0_15gpu_kernel_implINS0_13BinaryFunctorIfffZZZNS0_20copysign_kernel_cudaERNS_18TensorIteratorBaseEENKUlvE_clEvENKUlvE0_clEvEUlffE_EEEEvS5_RKT_EUlibE_EEviT1_,@function
_ZN2at6native32elementwise_kernel_manual_unrollILi128ELi4EZNS0_15gpu_kernel_implINS0_13BinaryFunctorIfffZZZNS0_20copysign_kernel_cudaERNS_18TensorIteratorBaseEENKUlvE_clEvENKUlvE0_clEvEUlffE_EEEEvS5_RKT_EUlibE_EEviT1_: ; @_ZN2at6native32elementwise_kernel_manual_unrollILi128ELi4EZNS0_15gpu_kernel_implINS0_13BinaryFunctorIfffZZZNS0_20copysign_kernel_cudaERNS_18TensorIteratorBaseEENKUlvE_clEvENKUlvE0_clEvEUlffE_EEEEvS5_RKT_EUlibE_EEviT1_
; %bb.0:
	v_mov_b32_e32 v1, 0
	global_load_ushort v4, v1, s[4:5] offset:45
	global_load_sbyte v6, v1, s[4:5] offset:47
	s_load_dword s33, s[4:5], 0x0
	s_load_dwordx4 s[8:11], s[4:5], 0x8
	s_load_dwordx2 s[2:3], s[4:5], 0x18
	s_load_dwordx4 s[12:15], s[4:5], 0x20
	v_lshl_or_b32 v5, s6, 9, v0
	v_or_b32_e32 v0, 0x180, v5
	s_mov_b64 s[16:17], 0
	s_waitcnt lgkmcnt(0)
	v_cmp_le_i32_e32 vcc, s33, v0
	s_mov_b64 s[6:7], 0
	s_waitcnt vmcnt(1)
	v_lshrrev_b32_e32 v7, 8, v4
	s_and_saveexec_b64 s[0:1], vcc
	s_xor_b64 s[4:5], exec, s[0:1]
	s_cbranch_execz .LBB113_1544
; %bb.1:
	v_cmp_gt_i32_e32 vcc, s33, v5
	s_mov_b64 s[0:1], -1
	s_mov_b64 s[26:27], 0
	s_mov_b64 s[20:21], 0
	;; [unrolled: 1-line block ×3, first 2 shown]
	s_and_saveexec_b64 s[22:23], vcc
	s_cbranch_execz .LBB113_383
; %bb.2:
	v_mul_lo_u32 v0, v5, s13
	v_ashrrev_i32_e32 v1, 31, v0
	v_mov_b32_e32 v2, s11
	v_add_co_u32_e32 v0, vcc, s10, v0
	v_addc_co_u32_e32 v1, vcc, v2, v1, vcc
	v_mov_b32_e32 v2, 11
	v_cmp_lt_i16_sdwa s[0:1], v7, v2 src0_sel:BYTE_0 src1_sel:DWORD
	s_and_b64 vcc, exec, s[0:1]
	s_cbranch_vccnz .LBB113_9
; %bb.3:
	v_mov_b32_e32 v2, 25
	v_cmp_gt_i16_sdwa s[0:1], v7, v2 src0_sel:BYTE_0 src1_sel:DWORD
	s_and_b64 vcc, exec, s[0:1]
	s_cbranch_vccz .LBB113_18
; %bb.4:
	v_mov_b32_e32 v2, 28
	v_cmp_gt_i16_sdwa s[0:1], v7, v2 src0_sel:BYTE_0 src1_sel:DWORD
	s_and_b64 vcc, exec, s[0:1]
	s_cbranch_vccz .LBB113_28
	;; [unrolled: 5-line block ×4, first 2 shown]
; %bb.7:
	v_mov_b32_e32 v2, 46
	v_cmp_eq_u16_sdwa s[0:1], v7, v2 src0_sel:BYTE_0 src1_sel:DWORD
	s_and_b64 vcc, exec, s[0:1]
	s_cbranch_vccz .LBB113_37
; %bb.8:
	global_load_dword v2, v[0:1], off
	s_mov_b64 s[0:1], -1
	s_waitcnt vmcnt(0)
	v_lshlrev_b32_e32 v3, 16, v2
	s_branch .LBB113_39
.LBB113_9:
                                        ; implicit-def: $vgpr3
	s_mov_b64 s[0:1], 0
	s_cbranch_execnz .LBB113_105
.LBB113_10:
	s_andn2_b64 vcc, exec, s[0:1]
	s_cbranch_vccnz .LBB113_152
.LBB113_11:
	v_mul_lo_u32 v0, v5, s14
	v_ashrrev_i32_e32 v1, 31, v0
	v_mov_b32_e32 v2, s3
	v_add_co_u32_e32 v0, vcc, s2, v0
	v_addc_co_u32_e32 v1, vcc, v2, v1, vcc
	v_mov_b32_e32 v2, 11
	s_waitcnt vmcnt(0)
	v_cmp_lt_i16_sdwa s[0:1], v6, v2 src0_sel:BYTE_0 src1_sel:DWORD
	s_and_b64 vcc, exec, s[0:1]
	s_cbranch_vccnz .LBB113_19
; %bb.12:
	v_mov_b32_e32 v2, 25
	v_cmp_gt_i16_sdwa s[0:1], v6, v2 src0_sel:BYTE_0 src1_sel:DWORD
	s_and_b64 vcc, exec, s[0:1]
	s_cbranch_vccz .LBB113_29
; %bb.13:
	v_mov_b32_e32 v2, 28
	v_cmp_gt_i16_sdwa s[0:1], v6, v2 src0_sel:BYTE_0 src1_sel:DWORD
	s_and_b64 vcc, exec, s[0:1]
	s_cbranch_vccz .LBB113_32
	;; [unrolled: 5-line block ×4, first 2 shown]
; %bb.16:
	v_mov_b32_e32 v2, 46
	v_cmp_eq_u16_sdwa s[0:1], v6, v2 src0_sel:BYTE_0 src1_sel:DWORD
	s_mov_b64 s[6:7], 0
	s_and_b64 vcc, exec, s[0:1]
	s_cbranch_vccz .LBB113_153
; %bb.17:
	global_load_dword v2, v[0:1], off
	s_mov_b64 s[0:1], -1
	s_mov_b64 s[18:19], 0
	s_waitcnt vmcnt(0)
	v_lshlrev_b32_e32 v2, 16, v2
	s_branch .LBB113_155
.LBB113_18:
	s_mov_b64 s[0:1], 0
                                        ; implicit-def: $vgpr3
	s_cbranch_execnz .LBB113_70
	s_branch .LBB113_104
.LBB113_19:
	s_mov_b64 s[18:19], 0
                                        ; implicit-def: $vgpr2
	s_mov_b64 s[0:1], 0
	s_cbranch_execnz .LBB113_332
.LBB113_20:
	s_andn2_b64 vcc, exec, s[0:1]
	s_cbranch_vccnz .LBB113_380
.LBB113_21:
	v_mul_lo_u32 v0, v5, s12
	v_ashrrev_i32_e32 v1, 31, v0
	v_mov_b32_e32 v8, s9
	v_add_co_u32_e32 v0, vcc, s8, v0
	s_brev_b32 s0, -2
	v_addc_co_u32_e32 v1, vcc, v8, v1, vcc
	v_mov_b32_e32 v8, 11
	s_waitcnt vmcnt(0)
	v_bfi_b32 v2, s0, v3, v2
	v_cmp_lt_i16_sdwa s[0:1], v4, v8 src0_sel:BYTE_0 src1_sel:DWORD
	s_and_b64 vcc, exec, s[0:1]
	s_cbranch_vccnz .LBB113_30
; %bb.22:
	v_mov_b32_e32 v8, 25
	v_cmp_gt_i16_sdwa s[0:1], v4, v8 src0_sel:BYTE_0 src1_sel:DWORD
	s_and_b64 vcc, exec, s[0:1]
	s_cbranch_vccz .LBB113_33
; %bb.23:
	v_mov_b32_e32 v8, 28
	v_cmp_gt_i16_sdwa s[0:1], v4, v8 src0_sel:BYTE_0 src1_sel:DWORD
	s_and_b64 vcc, exec, s[0:1]
	s_cbranch_vccz .LBB113_36
	;; [unrolled: 5-line block ×4, first 2 shown]
; %bb.26:
	v_mov_b32_e32 v8, 46
	v_cmp_eq_u16_sdwa s[6:7], v4, v8 src0_sel:BYTE_0 src1_sel:DWORD
	s_mov_b64 s[24:25], 0
	s_mov_b64 s[0:1], -1
	s_and_b64 vcc, exec, s[6:7]
	s_mov_b64 s[6:7], 0
	s_cbranch_vccz .LBB113_159
; %bb.27:
	v_bfe_u32 v8, v2, 16, 1
	s_movk_i32 s0, 0x7fff
	v_add3_u32 v8, v2, v8, s0
	v_lshrrev_b32_e32 v8, 16, v8
	v_mov_b32_e32 v9, 0x7fc0
	v_cmp_o_f32_e32 vcc, v2, v2
	v_cndmask_b32_e32 v8, v9, v8, vcc
	global_store_dword v[0:1], v8, off
	s_mov_b64 s[6:7], -1
	s_mov_b64 s[0:1], 0
	s_branch .LBB113_159
.LBB113_28:
	s_mov_b64 s[6:7], -1
	s_mov_b64 s[0:1], 0
                                        ; implicit-def: $vgpr3
	s_branch .LBB113_51
.LBB113_29:
	s_mov_b64 s[6:7], -1
	s_mov_b64 s[18:19], 0
	s_mov_b64 s[0:1], 0
                                        ; implicit-def: $vgpr2
	s_branch .LBB113_296
.LBB113_30:
	s_mov_b64 s[24:25], -1
	s_mov_b64 s[0:1], 0
	s_mov_b64 s[6:7], 0
	s_branch .LBB113_228
.LBB113_31:
	s_mov_b64 s[6:7], -1
	s_mov_b64 s[0:1], 0
                                        ; implicit-def: $vgpr3
	s_branch .LBB113_46
.LBB113_32:
	s_mov_b64 s[6:7], -1
	s_mov_b64 s[18:19], 0
	s_mov_b64 s[0:1], 0
                                        ; implicit-def: $vgpr2
	s_branch .LBB113_277
.LBB113_33:
	s_mov_b64 s[24:25], -1
	s_mov_b64 s[0:1], 0
	s_mov_b64 s[6:7], 0
	s_branch .LBB113_186
.LBB113_34:
	s_mov_b64 s[6:7], -1
	s_branch .LBB113_38
.LBB113_35:
	s_mov_b64 s[6:7], -1
	s_mov_b64 s[18:19], 0
	s_mov_b64 s[0:1], 0
                                        ; implicit-def: $vgpr2
	s_branch .LBB113_272
.LBB113_36:
	s_mov_b64 s[24:25], -1
	s_mov_b64 s[0:1], 0
	s_mov_b64 s[6:7], 0
	s_branch .LBB113_169
.LBB113_37:
	s_mov_b64 s[20:21], -1
.LBB113_38:
	s_mov_b64 s[0:1], 0
                                        ; implicit-def: $vgpr3
.LBB113_39:
	s_and_b64 vcc, exec, s[6:7]
	s_cbranch_vccz .LBB113_45
; %bb.40:
	v_mov_b32_e32 v2, 44
	v_cmp_eq_u16_sdwa s[6:7], v7, v2 src0_sel:BYTE_0 src1_sel:DWORD
	s_and_b64 vcc, exec, s[6:7]
	s_cbranch_vccz .LBB113_44
; %bb.41:
	global_load_ubyte v2, v[0:1], off
	s_movk_i32 s6, 0xff
	v_mov_b32_e32 v3, 0x7f800001
	v_mov_b32_e32 v8, 0x400000
	s_mov_b64 s[0:1], -1
	s_mov_b64 s[20:21], 0
	s_waitcnt vmcnt(0)
	v_lshlrev_b32_e32 v9, 23, v2
	v_cmp_ne_u32_e32 vcc, s6, v2
	v_cndmask_b32_e32 v3, v3, v9, vcc
	v_cmp_ne_u32_e32 vcc, 0, v2
	v_cndmask_b32_e32 v3, v8, v3, vcc
	s_branch .LBB113_45
.LBB113_42:
	s_mov_b64 s[6:7], -1
	s_mov_b64 s[18:19], 0
	s_branch .LBB113_154
.LBB113_43:
	s_mov_b64 s[24:25], -1
	s_mov_b64 s[0:1], 0
	s_mov_b64 s[6:7], 0
	s_branch .LBB113_165
.LBB113_44:
	s_mov_b64 s[20:21], -1
                                        ; implicit-def: $vgpr3
.LBB113_45:
	s_mov_b64 s[6:7], 0
.LBB113_46:
	s_and_b64 vcc, exec, s[6:7]
	s_cbranch_vccz .LBB113_50
; %bb.47:
	v_mov_b32_e32 v2, 29
	v_cmp_eq_u16_sdwa s[6:7], v7, v2 src0_sel:BYTE_0 src1_sel:DWORD
	s_and_b64 vcc, exec, s[6:7]
	s_cbranch_vccz .LBB113_49
; %bb.48:
	global_load_dwordx2 v[2:3], v[0:1], off
	s_mov_b64 s[0:1], -1
	s_mov_b64 s[20:21], 0
	s_mov_b64 s[6:7], 0
	s_waitcnt vmcnt(0)
	v_ffbh_u32_e32 v8, v3
	v_min_u32_e32 v8, 32, v8
	v_lshlrev_b64 v[2:3], v8, v[2:3]
	v_min_u32_e32 v2, 1, v2
	v_or_b32_e32 v2, v3, v2
	v_cvt_f32_u32_e32 v2, v2
	v_sub_u32_e32 v3, 32, v8
	v_ldexp_f32 v3, v2, v3
	s_branch .LBB113_51
.LBB113_49:
	s_mov_b64 s[20:21], -1
                                        ; implicit-def: $vgpr3
.LBB113_50:
	s_mov_b64 s[6:7], 0
.LBB113_51:
	s_and_b64 vcc, exec, s[6:7]
	s_cbranch_vccz .LBB113_69
; %bb.52:
	v_mov_b32_e32 v2, 27
	v_cmp_lt_i16_sdwa s[0:1], v7, v2 src0_sel:BYTE_0 src1_sel:DWORD
	s_and_b64 vcc, exec, s[0:1]
	s_cbranch_vccnz .LBB113_55
; %bb.53:
	v_cmp_gt_i16_sdwa s[0:1], v7, v2 src0_sel:BYTE_0 src1_sel:DWORD
	s_and_b64 vcc, exec, s[0:1]
	s_cbranch_vccz .LBB113_56
; %bb.54:
	global_load_dword v2, v[0:1], off
	s_mov_b64 s[0:1], 0
	s_waitcnt vmcnt(0)
	v_cvt_f32_u32_e32 v3, v2
	s_branch .LBB113_57
.LBB113_55:
	s_mov_b64 s[0:1], -1
                                        ; implicit-def: $vgpr3
	s_branch .LBB113_60
.LBB113_56:
	s_mov_b64 s[0:1], -1
                                        ; implicit-def: $vgpr3
.LBB113_57:
	s_andn2_b64 vcc, exec, s[0:1]
	s_cbranch_vccnz .LBB113_59
; %bb.58:
	global_load_ushort v2, v[0:1], off
	s_waitcnt vmcnt(0)
	v_cvt_f32_u32_e32 v3, v2
.LBB113_59:
	s_mov_b64 s[0:1], 0
.LBB113_60:
	s_andn2_b64 vcc, exec, s[0:1]
	s_cbranch_vccnz .LBB113_68
; %bb.61:
	global_load_ubyte v2, v[0:1], off
	s_movk_i32 s0, 0x7f
                                        ; implicit-def: $sgpr15
	s_waitcnt vmcnt(0)
	v_cmp_lt_i16_e32 vcc, s0, v2
	s_mov_b64 s[0:1], 0
	s_and_saveexec_b64 s[6:7], vcc
	s_xor_b64 s[6:7], exec, s[6:7]
	s_cbranch_execz .LBB113_81
; %bb.62:
	s_movk_i32 s0, 0x80
	v_cmp_eq_u16_e32 vcc, s0, v2
	s_mov_b64 s[0:1], -1
                                        ; implicit-def: $sgpr15
	s_and_saveexec_b64 s[18:19], vcc
; %bb.63:
	s_mov_b32 s15, 0x7f800001
	s_xor_b64 s[0:1], exec, -1
; %bb.64:
	s_or_b64 exec, exec, s[18:19]
	s_and_b64 s[0:1], s[0:1], exec
	s_or_saveexec_b64 s[6:7], s[6:7]
	v_mov_b32_e32 v3, s15
	s_xor_b64 exec, exec, s[6:7]
	s_cbranch_execnz .LBB113_82
.LBB113_65:
	s_or_b64 exec, exec, s[6:7]
	s_and_saveexec_b64 s[6:7], s[0:1]
	s_cbranch_execz .LBB113_67
.LBB113_66:
	v_lshlrev_b32_e32 v3, 24, v2
	v_and_b32_e32 v2, 0xffff, v2
	v_and_b32_e32 v8, 7, v2
	v_ffbh_u32_e32 v10, v8
	v_min_u32_e32 v10, 32, v10
	v_subrev_u32_e32 v11, 28, v10
	v_bfe_u32 v9, v2, 3, 4
	v_lshlrev_b32_e32 v2, v11, v2
	v_sub_u32_e32 v10, 29, v10
	v_and_b32_e32 v2, 7, v2
	v_cmp_eq_u32_e32 vcc, 0, v9
	v_cndmask_b32_e32 v9, v9, v10, vcc
	v_cndmask_b32_e32 v2, v8, v2, vcc
	v_mov_b32_e32 v8, 0x3b800000
	v_lshlrev_b32_e32 v2, 20, v2
	v_and_b32_e32 v3, 0x80000000, v3
	v_lshl_add_u32 v8, v9, 23, v8
	v_or3_b32 v3, v3, v8, v2
.LBB113_67:
	s_or_b64 exec, exec, s[6:7]
.LBB113_68:
	s_mov_b64 s[0:1], -1
.LBB113_69:
	s_branch .LBB113_104
.LBB113_70:
	v_mov_b32_e32 v2, 22
	v_cmp_gt_i16_sdwa s[6:7], v7, v2 src0_sel:BYTE_0 src1_sel:DWORD
	s_and_b64 vcc, exec, s[6:7]
	s_cbranch_vccz .LBB113_80
; %bb.71:
	v_mov_b32_e32 v2, 24
	v_cmp_lt_i16_sdwa s[0:1], v7, v2 src0_sel:BYTE_0 src1_sel:DWORD
	s_and_b64 vcc, exec, s[0:1]
	s_cbranch_vccnz .LBB113_83
; %bb.72:
	v_cmp_gt_i16_sdwa s[0:1], v7, v2 src0_sel:BYTE_0 src1_sel:DWORD
	s_and_b64 vcc, exec, s[0:1]
	s_cbranch_vccz .LBB113_84
; %bb.73:
	global_load_ubyte v2, v[0:1], off
	s_movk_i32 s0, 0x7f
                                        ; implicit-def: $sgpr15
	s_waitcnt vmcnt(0)
	v_cmp_lt_i16_e32 vcc, s0, v2
	s_mov_b64 s[0:1], 0
	s_and_saveexec_b64 s[6:7], vcc
	s_xor_b64 s[6:7], exec, s[6:7]
	s_cbranch_execz .LBB113_96
; %bb.74:
	s_movk_i32 s0, 0x80
	v_cmp_eq_u16_e32 vcc, s0, v2
	s_mov_b64 s[0:1], -1
                                        ; implicit-def: $sgpr15
	s_and_saveexec_b64 s[18:19], vcc
; %bb.75:
	s_mov_b32 s15, 0x7f800001
	s_xor_b64 s[0:1], exec, -1
; %bb.76:
	s_or_b64 exec, exec, s[18:19]
	s_and_b64 s[0:1], s[0:1], exec
	s_or_saveexec_b64 s[6:7], s[6:7]
	v_mov_b32_e32 v3, s15
	s_xor_b64 exec, exec, s[6:7]
	s_cbranch_execnz .LBB113_97
.LBB113_77:
	s_or_b64 exec, exec, s[6:7]
	s_and_saveexec_b64 s[6:7], s[0:1]
	s_cbranch_execz .LBB113_79
.LBB113_78:
	v_lshlrev_b32_e32 v3, 24, v2
	v_and_b32_e32 v2, 0xffff, v2
	v_and_b32_e32 v8, 3, v2
	v_ffbh_u32_e32 v10, v8
	v_min_u32_e32 v10, 32, v10
	v_subrev_u32_e32 v11, 29, v10
	v_bfe_u32 v9, v2, 2, 5
	v_lshlrev_b32_e32 v2, v11, v2
	v_sub_u32_e32 v10, 30, v10
	v_and_b32_e32 v2, 3, v2
	v_cmp_eq_u32_e32 vcc, 0, v9
	v_cndmask_b32_e32 v9, v9, v10, vcc
	v_cndmask_b32_e32 v2, v8, v2, vcc
	v_mov_b32_e32 v8, 0x37800000
	v_lshlrev_b32_e32 v2, 21, v2
	v_and_b32_e32 v3, 0x80000000, v3
	v_lshl_add_u32 v8, v9, 23, v8
	v_or3_b32 v3, v3, v8, v2
.LBB113_79:
	s_or_b64 exec, exec, s[6:7]
	s_mov_b64 s[0:1], 0
	s_branch .LBB113_85
.LBB113_80:
	s_mov_b64 s[6:7], -1
                                        ; implicit-def: $vgpr3
	s_branch .LBB113_91
.LBB113_81:
	s_or_saveexec_b64 s[6:7], s[6:7]
	v_mov_b32_e32 v3, s15
	s_xor_b64 exec, exec, s[6:7]
	s_cbranch_execz .LBB113_65
.LBB113_82:
	v_cmp_ne_u16_e32 vcc, 0, v2
	s_andn2_b64 s[0:1], s[0:1], exec
	s_and_b64 s[18:19], vcc, exec
	v_mov_b32_e32 v3, 0
	s_or_b64 s[0:1], s[0:1], s[18:19]
	s_or_b64 exec, exec, s[6:7]
	s_and_saveexec_b64 s[6:7], s[0:1]
	s_cbranch_execnz .LBB113_66
	s_branch .LBB113_67
.LBB113_83:
	s_mov_b64 s[0:1], -1
                                        ; implicit-def: $vgpr3
	s_branch .LBB113_88
.LBB113_84:
	s_mov_b64 s[0:1], -1
                                        ; implicit-def: $vgpr3
.LBB113_85:
	s_and_b64 vcc, exec, s[0:1]
	s_cbranch_vccz .LBB113_87
; %bb.86:
	global_load_ubyte v2, v[0:1], off
	s_mov_b32 s0, 0x7f800000
	s_waitcnt vmcnt(0)
	v_lshlrev_b32_e32 v2, 24, v2
	v_and_b32_e32 v3, 0x7f000000, v2
	v_ffbh_u32_e32 v8, v3
	v_min_u32_e32 v8, 32, v8
	v_sub_u32_e64 v8, v8, 4 clamp
	v_lshlrev_b32_e32 v10, v8, v3
	v_lshlrev_b32_e32 v8, 23, v8
	v_lshrrev_b32_e32 v10, 4, v10
	v_add_u32_e32 v9, 0x1000000, v3
	v_sub_u32_e32 v8, v10, v8
	v_ashrrev_i32_e32 v9, 8, v9
	v_add_u32_e32 v8, 0x3c000000, v8
	v_and_or_b32 v8, v9, s0, v8
	v_cmp_ne_u32_e32 vcc, 0, v3
	v_cndmask_b32_e32 v3, 0, v8, vcc
	s_brev_b32 s0, 1
	v_and_or_b32 v3, v2, s0, v3
.LBB113_87:
	s_mov_b64 s[0:1], 0
.LBB113_88:
	s_andn2_b64 vcc, exec, s[0:1]
	s_cbranch_vccnz .LBB113_90
; %bb.89:
	global_load_ubyte v2, v[0:1], off
	s_movk_i32 s0, 0x7f00
	s_brev_b32 s1, 16
	s_waitcnt vmcnt(0)
	v_lshlrev_b16_e32 v3, 8, v2
	v_lshlrev_b32_e32 v2, 25, v2
	v_lshrrev_b32_e32 v8, 4, v2
	v_and_or_b32 v9, v3, s0, 0.5
	v_or_b32_e32 v8, 0x70000000, v8
	v_add_f32_e32 v9, -0.5, v9
	v_mul_f32_e32 v8, 0x7800000, v8
	v_cmp_gt_u32_e32 vcc, s1, v2
	v_bfe_i32 v3, v3, 0, 16
	v_cndmask_b32_e32 v2, v8, v9, vcc
	s_brev_b32 s0, 1
	v_and_or_b32 v3, v3, s0, v2
.LBB113_90:
	s_mov_b64 s[6:7], 0
	s_mov_b64 s[0:1], -1
.LBB113_91:
	s_andn2_b64 vcc, exec, s[6:7]
	s_cbranch_vccnz .LBB113_104
; %bb.92:
	v_mov_b32_e32 v2, 14
	v_cmp_gt_i16_sdwa s[6:7], v7, v2 src0_sel:BYTE_0 src1_sel:DWORD
	s_and_b64 vcc, exec, s[6:7]
	s_cbranch_vccz .LBB113_95
; %bb.93:
	v_mov_b32_e32 v2, 15
	v_cmp_eq_u16_sdwa s[6:7], v7, v2 src0_sel:BYTE_0 src1_sel:DWORD
	s_and_b64 vcc, exec, s[6:7]
	s_cbranch_vccz .LBB113_98
; %bb.94:
	global_load_ushort v2, v[0:1], off
	s_mov_b64 s[0:1], -1
	s_mov_b64 s[20:21], 0
	s_waitcnt vmcnt(0)
	v_lshlrev_b32_e32 v3, 16, v2
	s_branch .LBB113_99
.LBB113_95:
	s_mov_b64 s[6:7], -1
                                        ; implicit-def: $vgpr3
	s_branch .LBB113_100
.LBB113_96:
	s_or_saveexec_b64 s[6:7], s[6:7]
	v_mov_b32_e32 v3, s15
	s_xor_b64 exec, exec, s[6:7]
	s_cbranch_execz .LBB113_77
.LBB113_97:
	v_cmp_ne_u16_e32 vcc, 0, v2
	s_andn2_b64 s[0:1], s[0:1], exec
	s_and_b64 s[18:19], vcc, exec
	v_mov_b32_e32 v3, 0
	s_or_b64 s[0:1], s[0:1], s[18:19]
	s_or_b64 exec, exec, s[6:7]
	s_and_saveexec_b64 s[6:7], s[0:1]
	s_cbranch_execnz .LBB113_78
	s_branch .LBB113_79
.LBB113_98:
	s_mov_b64 s[20:21], -1
                                        ; implicit-def: $vgpr3
.LBB113_99:
	s_mov_b64 s[6:7], 0
.LBB113_100:
	s_and_b64 vcc, exec, s[6:7]
	s_cbranch_vccz .LBB113_104
; %bb.101:
	v_mov_b32_e32 v2, 11
	v_cmp_eq_u16_sdwa s[6:7], v7, v2 src0_sel:BYTE_0 src1_sel:DWORD
	s_and_b64 vcc, exec, s[6:7]
	s_cbranch_vccz .LBB113_103
; %bb.102:
	global_load_ubyte v2, v[0:1], off
	s_mov_b64 s[0:1], -1
	s_mov_b64 s[20:21], 0
	s_waitcnt vmcnt(0)
	v_cmp_ne_u16_e32 vcc, 0, v2
	v_cndmask_b32_e64 v3, 0, 1.0, vcc
	s_branch .LBB113_104
.LBB113_103:
	s_mov_b64 s[20:21], -1
                                        ; implicit-def: $vgpr3
.LBB113_104:
	s_branch .LBB113_10
.LBB113_105:
	v_mov_b32_e32 v2, 5
	v_cmp_lt_i16_sdwa s[0:1], v7, v2 src0_sel:BYTE_0 src1_sel:DWORD
	s_and_b64 vcc, exec, s[0:1]
	s_cbranch_vccnz .LBB113_110
; %bb.106:
	v_mov_b32_e32 v2, 8
	v_cmp_lt_i16_sdwa s[0:1], v7, v2 src0_sel:BYTE_0 src1_sel:DWORD
	s_and_b64 vcc, exec, s[0:1]
	s_cbranch_vccnz .LBB113_111
; %bb.107:
	;; [unrolled: 5-line block ×3, first 2 shown]
	v_cmp_gt_i16_sdwa s[0:1], v7, v2 src0_sel:BYTE_0 src1_sel:DWORD
	s_and_b64 vcc, exec, s[0:1]
	s_cbranch_vccz .LBB113_113
; %bb.109:
	global_load_dwordx2 v[2:3], v[0:1], off
	s_mov_b64 s[0:1], 0
	s_waitcnt vmcnt(0)
	v_cvt_f32_f64_e32 v3, v[2:3]
	s_branch .LBB113_114
.LBB113_110:
                                        ; implicit-def: $vgpr3
	s_branch .LBB113_132
.LBB113_111:
	s_mov_b64 s[0:1], -1
                                        ; implicit-def: $vgpr3
	s_branch .LBB113_120
.LBB113_112:
	s_mov_b64 s[0:1], -1
                                        ; implicit-def: $vgpr3
	s_branch .LBB113_117
.LBB113_113:
	s_mov_b64 s[0:1], -1
                                        ; implicit-def: $vgpr3
.LBB113_114:
	s_andn2_b64 vcc, exec, s[0:1]
	s_cbranch_vccnz .LBB113_116
; %bb.115:
	global_load_dword v3, v[0:1], off
.LBB113_116:
	s_mov_b64 s[0:1], 0
.LBB113_117:
	s_andn2_b64 vcc, exec, s[0:1]
	s_cbranch_vccnz .LBB113_119
; %bb.118:
	global_load_dword v2, v[0:1], off
	s_waitcnt vmcnt(0)
	v_cvt_f32_f16_e32 v3, v2
.LBB113_119:
	s_mov_b64 s[0:1], 0
.LBB113_120:
	s_andn2_b64 vcc, exec, s[0:1]
	s_cbranch_vccnz .LBB113_131
; %bb.121:
	v_mov_b32_e32 v2, 6
	v_cmp_lt_i16_sdwa s[0:1], v7, v2 src0_sel:BYTE_0 src1_sel:DWORD
	s_and_b64 vcc, exec, s[0:1]
	s_cbranch_vccnz .LBB113_124
; %bb.122:
	v_cmp_gt_i16_sdwa s[0:1], v7, v2 src0_sel:BYTE_0 src1_sel:DWORD
	s_and_b64 vcc, exec, s[0:1]
	s_cbranch_vccz .LBB113_125
; %bb.123:
	global_load_dwordx2 v[2:3], v[0:1], off
	s_mov_b64 s[0:1], 0
	s_waitcnt vmcnt(0)
	v_cvt_f32_f64_e32 v3, v[2:3]
	s_branch .LBB113_126
.LBB113_124:
	s_mov_b64 s[0:1], -1
                                        ; implicit-def: $vgpr3
	s_branch .LBB113_129
.LBB113_125:
	s_mov_b64 s[0:1], -1
                                        ; implicit-def: $vgpr3
.LBB113_126:
	s_andn2_b64 vcc, exec, s[0:1]
	s_cbranch_vccnz .LBB113_128
; %bb.127:
	global_load_dword v3, v[0:1], off
.LBB113_128:
	s_mov_b64 s[0:1], 0
.LBB113_129:
	s_andn2_b64 vcc, exec, s[0:1]
	s_cbranch_vccnz .LBB113_131
; %bb.130:
	global_load_ushort v2, v[0:1], off
	s_waitcnt vmcnt(0)
	v_cvt_f32_f16_e32 v3, v2
.LBB113_131:
	s_cbranch_execnz .LBB113_151
.LBB113_132:
	v_mov_b32_e32 v2, 2
	v_cmp_lt_i16_sdwa s[0:1], v7, v2 src0_sel:BYTE_0 src1_sel:DWORD
	s_and_b64 vcc, exec, s[0:1]
	s_cbranch_vccnz .LBB113_136
; %bb.133:
	v_mov_b32_e32 v2, 3
	v_cmp_lt_i16_sdwa s[0:1], v7, v2 src0_sel:BYTE_0 src1_sel:DWORD
	s_and_b64 vcc, exec, s[0:1]
	s_cbranch_vccnz .LBB113_137
; %bb.134:
	v_cmp_gt_i16_sdwa s[0:1], v7, v2 src0_sel:BYTE_0 src1_sel:DWORD
	s_and_b64 vcc, exec, s[0:1]
	s_cbranch_vccz .LBB113_138
; %bb.135:
	global_load_dwordx2 v[2:3], v[0:1], off
	s_mov_b64 s[0:1], 0
	s_waitcnt vmcnt(0)
	v_xor_b32_e32 v9, v2, v3
	v_ffbh_i32_e32 v8, v3
	v_ashrrev_i32_e32 v9, 31, v9
	v_add_u32_e32 v8, -1, v8
	v_add_u32_e32 v9, 32, v9
	v_min_u32_e32 v8, v8, v9
	v_lshlrev_b64 v[2:3], v8, v[2:3]
	v_min_u32_e32 v2, 1, v2
	v_or_b32_e32 v2, v3, v2
	v_cvt_f32_i32_e32 v2, v2
	v_sub_u32_e32 v3, 32, v8
	v_ldexp_f32 v3, v2, v3
	s_branch .LBB113_139
.LBB113_136:
	s_mov_b64 s[0:1], -1
                                        ; implicit-def: $vgpr3
	s_branch .LBB113_145
.LBB113_137:
	s_mov_b64 s[0:1], -1
                                        ; implicit-def: $vgpr3
	s_branch .LBB113_142
.LBB113_138:
	s_mov_b64 s[0:1], -1
                                        ; implicit-def: $vgpr3
.LBB113_139:
	s_andn2_b64 vcc, exec, s[0:1]
	s_cbranch_vccnz .LBB113_141
; %bb.140:
	global_load_dword v2, v[0:1], off
	s_waitcnt vmcnt(0)
	v_cvt_f32_i32_e32 v3, v2
.LBB113_141:
	s_mov_b64 s[0:1], 0
.LBB113_142:
	s_andn2_b64 vcc, exec, s[0:1]
	s_cbranch_vccnz .LBB113_144
; %bb.143:
	global_load_sshort v2, v[0:1], off
	s_waitcnt vmcnt(0)
	v_cvt_f32_i32_e32 v3, v2
.LBB113_144:
	s_mov_b64 s[0:1], 0
.LBB113_145:
	s_andn2_b64 vcc, exec, s[0:1]
	s_cbranch_vccnz .LBB113_151
; %bb.146:
	v_mov_b32_e32 v2, 0
	v_cmp_gt_i16_sdwa s[0:1], v7, v2 src0_sel:BYTE_0 src1_sel:DWORD
	s_and_b64 vcc, exec, s[0:1]
	s_cbranch_vccz .LBB113_148
; %bb.147:
	global_load_sbyte v2, v[0:1], off
	s_mov_b64 s[0:1], 0
	s_waitcnt vmcnt(0)
	v_cvt_f32_i32_e32 v3, v2
	s_branch .LBB113_149
.LBB113_148:
	s_mov_b64 s[0:1], -1
                                        ; implicit-def: $vgpr3
.LBB113_149:
	s_andn2_b64 vcc, exec, s[0:1]
	s_cbranch_vccnz .LBB113_151
; %bb.150:
	global_load_ubyte v0, v[0:1], off
	s_waitcnt vmcnt(0)
	v_cvt_f32_ubyte0_e32 v3, v0
.LBB113_151:
	s_branch .LBB113_11
.LBB113_152:
	s_mov_b64 s[0:1], 0
	s_mov_b64 s[18:19], 0
	s_branch .LBB113_381
.LBB113_153:
	s_mov_b64 s[18:19], -1
.LBB113_154:
	s_mov_b64 s[0:1], 0
                                        ; implicit-def: $vgpr2
.LBB113_155:
	s_and_b64 vcc, exec, s[6:7]
	s_cbranch_vccz .LBB113_271
; %bb.156:
	v_mov_b32_e32 v2, 44
	v_cmp_eq_u16_sdwa s[6:7], v6, v2 src0_sel:BYTE_0 src1_sel:DWORD
	s_and_b64 vcc, exec, s[6:7]
	s_cbranch_vccz .LBB113_270
; %bb.157:
	global_load_ubyte v2, v[0:1], off
	s_movk_i32 s6, 0xff
	v_mov_b32_e32 v8, 0x7f800001
	v_mov_b32_e32 v9, 0x400000
	s_mov_b64 s[0:1], -1
	s_mov_b64 s[18:19], 0
	s_waitcnt vmcnt(0)
	v_lshlrev_b32_e32 v10, 23, v2
	v_cmp_ne_u32_e32 vcc, s6, v2
	v_cndmask_b32_e32 v8, v8, v10, vcc
	v_cmp_ne_u32_e32 vcc, 0, v2
	v_cndmask_b32_e32 v2, v9, v8, vcc
	s_branch .LBB113_271
.LBB113_158:
	s_mov_b64 s[24:25], -1
	s_mov_b64 s[0:1], 0
	s_mov_b64 s[6:7], 0
.LBB113_159:
	s_and_b64 vcc, exec, s[24:25]
	s_cbranch_vccz .LBB113_164
; %bb.160:
	v_mov_b32_e32 v8, 44
	v_cmp_eq_u16_sdwa s[24:25], v4, v8 src0_sel:BYTE_0 src1_sel:DWORD
	s_mov_b64 s[0:1], -1
	s_and_b64 vcc, exec, s[24:25]
	s_cbranch_vccz .LBB113_164
; %bb.161:
	v_bfe_u32 v8, v2, 23, 8
	s_movk_i32 s0, 0xff
	v_cmp_ne_u32_e32 vcc, s0, v8
	v_mov_b32_e32 v9, 0xff
	s_and_saveexec_b64 s[6:7], vcc
; %bb.162:
	s_mov_b32 s0, 0x3fffff
	v_and_b32_e32 v10, 0x400000, v2
	v_and_or_b32 v8, v2, s0, v8
	v_cmp_ne_u32_e32 vcc, 0, v10
	v_cmp_ne_u32_e64 s[0:1], 0, v8
	s_and_b64 s[0:1], vcc, s[0:1]
	v_lshrrev_b32_e32 v9, 23, v2
	v_cndmask_b32_e64 v8, 0, 1, s[0:1]
	v_add_u32_e32 v9, v9, v8
; %bb.163:
	s_or_b64 exec, exec, s[6:7]
	s_mov_b64 s[6:7], -1
	s_mov_b64 s[0:1], 0
	global_store_byte v[0:1], v9, off
.LBB113_164:
	s_mov_b64 s[24:25], 0
.LBB113_165:
	s_and_b64 vcc, exec, s[24:25]
	s_cbranch_vccz .LBB113_168
; %bb.166:
	v_mov_b32_e32 v8, 29
	v_cmp_eq_u16_sdwa s[24:25], v4, v8 src0_sel:BYTE_0 src1_sel:DWORD
	s_mov_b64 s[0:1], -1
	s_and_b64 vcc, exec, s[24:25]
	s_cbranch_vccz .LBB113_168
; %bb.167:
	v_trunc_f32_e32 v8, v2
	v_mul_f32_e32 v9, 0x2f800000, v8
	v_floor_f32_e32 v10, v9
	v_fmac_f32_e32 v8, 0xcf800000, v10
	v_cvt_u32_f32_e32 v9, v10
	v_cvt_u32_f32_e32 v8, v8
	s_mov_b64 s[6:7], -1
	s_mov_b64 s[0:1], 0
	s_mov_b64 s[24:25], 0
	global_store_dwordx2 v[0:1], v[8:9], off
	s_branch .LBB113_169
.LBB113_168:
	s_mov_b64 s[24:25], 0
.LBB113_169:
	s_and_b64 vcc, exec, s[24:25]
	s_cbranch_vccz .LBB113_185
; %bb.170:
	v_mov_b32_e32 v8, 27
	v_cmp_lt_i16_sdwa s[24:25], v4, v8 src0_sel:BYTE_0 src1_sel:DWORD
	s_mov_b64 s[6:7], -1
	s_and_b64 vcc, exec, s[24:25]
	s_cbranch_vccnz .LBB113_176
; %bb.171:
	v_cmp_gt_i16_sdwa s[24:25], v4, v8 src0_sel:BYTE_0 src1_sel:DWORD
	v_cvt_u32_f32_e32 v8, v2
	s_and_b64 vcc, exec, s[24:25]
	s_cbranch_vccz .LBB113_173
; %bb.172:
	s_mov_b64 s[6:7], 0
	global_store_dword v[0:1], v8, off
.LBB113_173:
	s_andn2_b64 vcc, exec, s[6:7]
	s_cbranch_vccnz .LBB113_175
; %bb.174:
	global_store_short v[0:1], v8, off
.LBB113_175:
	s_mov_b64 s[6:7], 0
.LBB113_176:
	s_andn2_b64 vcc, exec, s[6:7]
	s_cbranch_vccnz .LBB113_184
; %bb.177:
	v_and_b32_e32 v8, 0x7fffffff, v3
	s_mov_b32 s6, 0x43800000
	v_cmp_gt_u32_e32 vcc, s6, v8
	v_mov_b32_e32 v9, 0x80
	s_and_saveexec_b64 s[6:7], vcc
	s_cbranch_execz .LBB113_183
; %bb.178:
	s_mov_b32 s15, 0x3bffffff
	v_cmp_lt_u32_e32 vcc, s15, v8
	s_mov_b64 s[24:25], 0
                                        ; implicit-def: $vgpr8
	s_and_saveexec_b64 s[28:29], vcc
	s_xor_b64 s[28:29], exec, s[28:29]
	s_cbranch_execz .LBB113_412
; %bb.179:
	v_bfe_u32 v8, v2, 20, 1
	s_mov_b32 s15, 0x487ffff
	v_add3_u32 v8, v2, v8, s15
	s_mov_b64 s[24:25], exec
	v_lshrrev_b32_e32 v8, 20, v8
	s_or_saveexec_b64 s[28:29], s[28:29]
                                        ; implicit-def: $sgpr15
	s_xor_b64 exec, exec, s[28:29]
	s_cbranch_execnz .LBB113_413
.LBB113_180:
	s_or_b64 exec, exec, s[28:29]
	v_mov_b32_e32 v9, s15
	s_and_saveexec_b64 s[28:29], s[24:25]
.LBB113_181:
	v_lshrrev_b32_e32 v9, 24, v2
	s_movk_i32 s15, 0x80
	v_and_or_b32 v9, v9, s15, v8
.LBB113_182:
	s_or_b64 exec, exec, s[28:29]
.LBB113_183:
	s_or_b64 exec, exec, s[6:7]
	global_store_byte v[0:1], v9, off
.LBB113_184:
	s_mov_b64 s[6:7], -1
.LBB113_185:
	s_mov_b64 s[24:25], 0
.LBB113_186:
	s_and_b64 vcc, exec, s[24:25]
	s_cbranch_vccz .LBB113_227
; %bb.187:
	v_mov_b32_e32 v8, 22
	v_cmp_gt_i16_sdwa s[28:29], v4, v8 src0_sel:BYTE_0 src1_sel:DWORD
	s_mov_b64 s[24:25], -1
	s_and_b64 vcc, exec, s[28:29]
	s_cbranch_vccz .LBB113_219
; %bb.188:
	v_mov_b32_e32 v8, 24
	v_cmp_lt_i16_sdwa s[24:25], v4, v8 src0_sel:BYTE_0 src1_sel:DWORD
	s_mov_b64 s[6:7], -1
	s_and_b64 vcc, exec, s[24:25]
	s_cbranch_vccnz .LBB113_208
; %bb.189:
	v_cmp_gt_i16_sdwa s[24:25], v4, v8 src0_sel:BYTE_0 src1_sel:DWORD
	s_and_b64 vcc, exec, s[24:25]
	s_cbranch_vccz .LBB113_197
; %bb.190:
	v_and_b32_e32 v8, 0x7fffffff, v3
	s_mov_b32 s6, 0x47800000
	v_cmp_gt_u32_e32 vcc, s6, v8
	v_mov_b32_e32 v9, 0x80
	s_and_saveexec_b64 s[6:7], vcc
	s_cbranch_execz .LBB113_196
; %bb.191:
	s_mov_b32 s15, 0x37ffffff
	v_cmp_lt_u32_e32 vcc, s15, v8
	s_mov_b64 s[24:25], 0
                                        ; implicit-def: $vgpr8
	s_and_saveexec_b64 s[28:29], vcc
	s_xor_b64 s[28:29], exec, s[28:29]
	s_cbranch_execz .LBB113_531
; %bb.192:
	v_bfe_u32 v8, v2, 21, 1
	s_mov_b32 s15, 0x88fffff
	v_add3_u32 v8, v2, v8, s15
	s_mov_b64 s[24:25], exec
	v_lshrrev_b32_e32 v8, 21, v8
	s_or_saveexec_b64 s[28:29], s[28:29]
                                        ; implicit-def: $sgpr15
	s_xor_b64 exec, exec, s[28:29]
	s_cbranch_execnz .LBB113_532
.LBB113_193:
	s_or_b64 exec, exec, s[28:29]
	v_mov_b32_e32 v9, s15
	s_and_saveexec_b64 s[28:29], s[24:25]
.LBB113_194:
	v_lshrrev_b32_e32 v9, 24, v2
	s_movk_i32 s15, 0x80
	v_and_or_b32 v9, v9, s15, v8
.LBB113_195:
	s_or_b64 exec, exec, s[28:29]
.LBB113_196:
	s_or_b64 exec, exec, s[6:7]
	s_mov_b64 s[6:7], 0
	global_store_byte v[0:1], v9, off
.LBB113_197:
	s_and_b64 vcc, exec, s[6:7]
	s_cbranch_vccz .LBB113_207
; %bb.198:
	v_and_b32_e32 v9, 0x7fffffff, v3
	s_mov_b32 s6, 0x43f00000
	v_cmp_gt_u32_e32 vcc, s6, v9
                                        ; implicit-def: $vgpr8
	s_and_saveexec_b64 s[6:7], vcc
	s_xor_b64 s[6:7], exec, s[6:7]
	s_cbranch_execz .LBB113_204
; %bb.199:
	s_mov_b32 s15, 0x3c7fffff
	v_cmp_lt_u32_e32 vcc, s15, v9
                                        ; implicit-def: $vgpr8
	s_and_saveexec_b64 s[24:25], vcc
	s_xor_b64 s[24:25], exec, s[24:25]
; %bb.200:
	v_bfe_u32 v8, v2, 20, 1
	s_mov_b32 s15, 0x407ffff
	v_add3_u32 v8, v2, v8, s15
	v_lshrrev_b32_e32 v9, 20, v8
	v_and_b32_e32 v8, 0xff00000, v8
	s_mov_b32 s15, 0x7f00000
	v_mov_b32_e32 v10, 0x7e
	v_cmp_ne_u32_e32 vcc, s15, v8
	v_cndmask_b32_e32 v8, v10, v9, vcc
; %bb.201:
	s_andn2_saveexec_b64 s[24:25], s[24:25]
; %bb.202:
	s_mov_b32 s15, 0x46800000
	v_add_f32_e64 v8, |v3|, s15
; %bb.203:
	s_or_b64 exec, exec, s[24:25]
                                        ; implicit-def: $vgpr9
.LBB113_204:
	s_andn2_saveexec_b64 s[6:7], s[6:7]
; %bb.205:
	s_mov_b32 s15, 0x7f800000
	v_mov_b32_e32 v8, 0x7e
	v_mov_b32_e32 v10, 0x7f
	v_cmp_lt_u32_e32 vcc, s15, v9
	v_cndmask_b32_e32 v8, v8, v10, vcc
; %bb.206:
	s_or_b64 exec, exec, s[6:7]
	v_lshrrev_b32_e32 v9, 24, v2
	s_movk_i32 s6, 0x80
	v_and_or_b32 v8, v9, s6, v8
	global_store_byte v[0:1], v8, off
.LBB113_207:
	s_mov_b64 s[6:7], 0
.LBB113_208:
	s_andn2_b64 vcc, exec, s[6:7]
	s_cbranch_vccnz .LBB113_218
; %bb.209:
	v_and_b32_e32 v9, 0x7fffffff, v3
	s_mov_b32 s6, 0x47800000
	v_cmp_gt_u32_e32 vcc, s6, v9
                                        ; implicit-def: $vgpr8
	s_and_saveexec_b64 s[6:7], vcc
	s_xor_b64 s[6:7], exec, s[6:7]
	s_cbranch_execz .LBB113_215
; %bb.210:
	s_mov_b32 s15, 0x387fffff
	v_cmp_lt_u32_e32 vcc, s15, v9
                                        ; implicit-def: $vgpr8
	s_and_saveexec_b64 s[24:25], vcc
	s_xor_b64 s[24:25], exec, s[24:25]
; %bb.211:
	v_bfe_u32 v3, v2, 21, 1
	s_mov_b32 s15, 0x80fffff
	v_add3_u32 v3, v2, v3, s15
	v_lshrrev_b32_e32 v8, 21, v3
                                        ; implicit-def: $vgpr3
; %bb.212:
	s_andn2_saveexec_b64 s[24:25], s[24:25]
; %bb.213:
	s_mov_b32 s15, 0x43000000
	v_add_f32_e64 v8, |v3|, s15
; %bb.214:
	s_or_b64 exec, exec, s[24:25]
                                        ; implicit-def: $vgpr9
.LBB113_215:
	s_andn2_saveexec_b64 s[6:7], s[6:7]
; %bb.216:
	s_mov_b32 s15, 0x7f800000
	v_mov_b32_e32 v3, 0x7c
	v_mov_b32_e32 v8, 0x7f
	v_cmp_lt_u32_e32 vcc, s15, v9
	v_cndmask_b32_e32 v8, v3, v8, vcc
; %bb.217:
	s_or_b64 exec, exec, s[6:7]
	v_lshrrev_b32_e32 v3, 24, v2
	s_movk_i32 s6, 0x80
	v_and_or_b32 v3, v3, s6, v8
	global_store_byte v[0:1], v3, off
.LBB113_218:
	s_mov_b64 s[24:25], 0
	s_mov_b64 s[6:7], -1
.LBB113_219:
	s_andn2_b64 vcc, exec, s[24:25]
	s_cbranch_vccnz .LBB113_227
; %bb.220:
	v_mov_b32_e32 v3, 14
	v_cmp_gt_i16_sdwa s[28:29], v4, v3 src0_sel:BYTE_0 src1_sel:DWORD
	s_mov_b64 s[24:25], -1
	s_and_b64 vcc, exec, s[28:29]
	s_cbranch_vccz .LBB113_224
; %bb.221:
	v_mov_b32_e32 v3, 15
	v_cmp_eq_u16_sdwa s[24:25], v4, v3 src0_sel:BYTE_0 src1_sel:DWORD
	s_mov_b64 s[0:1], -1
	s_and_b64 vcc, exec, s[24:25]
	s_cbranch_vccz .LBB113_223
; %bb.222:
	v_bfe_u32 v3, v2, 16, 1
	s_movk_i32 s0, 0x7fff
	v_add3_u32 v3, v2, v3, s0
	v_lshrrev_b32_e32 v3, 16, v3
	v_mov_b32_e32 v8, 0x7fc0
	v_cmp_o_f32_e32 vcc, v2, v2
	v_cndmask_b32_e32 v3, v8, v3, vcc
	global_store_short v[0:1], v3, off
	s_mov_b64 s[6:7], -1
	s_mov_b64 s[0:1], 0
.LBB113_223:
	s_mov_b64 s[24:25], 0
.LBB113_224:
	s_and_b64 vcc, exec, s[24:25]
	s_cbranch_vccz .LBB113_227
; %bb.225:
	v_mov_b32_e32 v3, 11
	v_cmp_eq_u16_sdwa s[24:25], v4, v3 src0_sel:BYTE_0 src1_sel:DWORD
	s_mov_b64 s[0:1], -1
	s_and_b64 vcc, exec, s[24:25]
	s_cbranch_vccz .LBB113_227
; %bb.226:
	v_cmp_neq_f32_e32 vcc, 0, v2
	v_cndmask_b32_e64 v3, 0, 1, vcc
	s_mov_b64 s[6:7], -1
	s_mov_b64 s[0:1], 0
	global_store_byte v[0:1], v3, off
.LBB113_227:
	s_mov_b64 s[24:25], 0
.LBB113_228:
	s_and_b64 vcc, exec, s[24:25]
	s_cbranch_vccz .LBB113_267
; %bb.229:
	v_mov_b32_e32 v3, 5
	v_cmp_lt_i16_sdwa s[24:25], v4, v3 src0_sel:BYTE_0 src1_sel:DWORD
	s_mov_b64 s[6:7], -1
	s_and_b64 vcc, exec, s[24:25]
	s_cbranch_vccnz .LBB113_250
; %bb.230:
	v_mov_b32_e32 v3, 8
	v_cmp_lt_i16_sdwa s[24:25], v4, v3 src0_sel:BYTE_0 src1_sel:DWORD
	s_and_b64 vcc, exec, s[24:25]
	s_cbranch_vccnz .LBB113_240
; %bb.231:
	v_mov_b32_e32 v3, 9
	v_cmp_lt_i16_sdwa s[24:25], v4, v3 src0_sel:BYTE_0 src1_sel:DWORD
	s_and_b64 vcc, exec, s[24:25]
	s_cbranch_vccnz .LBB113_237
; %bb.232:
	v_cmp_gt_i16_sdwa s[24:25], v4, v3 src0_sel:BYTE_0 src1_sel:DWORD
	s_and_b64 vcc, exec, s[24:25]
	s_cbranch_vccz .LBB113_234
; %bb.233:
	v_mov_b32_e32 v10, 0
	v_cvt_f64_f32_e32 v[8:9], v2
	v_mov_b32_e32 v11, v10
	global_store_dwordx4 v[0:1], v[8:11], off
	s_mov_b64 s[6:7], 0
.LBB113_234:
	s_andn2_b64 vcc, exec, s[6:7]
	s_cbranch_vccnz .LBB113_236
; %bb.235:
	v_mov_b32_e32 v3, 0
	global_store_dwordx2 v[0:1], v[2:3], off
.LBB113_236:
	s_mov_b64 s[6:7], 0
.LBB113_237:
	s_andn2_b64 vcc, exec, s[6:7]
	s_cbranch_vccnz .LBB113_239
; %bb.238:
	v_cvt_f16_f32_e32 v3, v2
	global_store_dword v[0:1], v3, off
.LBB113_239:
	s_mov_b64 s[6:7], 0
.LBB113_240:
	s_andn2_b64 vcc, exec, s[6:7]
	s_cbranch_vccnz .LBB113_249
; %bb.241:
	v_mov_b32_e32 v3, 6
	v_cmp_lt_i16_sdwa s[24:25], v4, v3 src0_sel:BYTE_0 src1_sel:DWORD
	s_mov_b64 s[6:7], -1
	s_and_b64 vcc, exec, s[24:25]
	s_cbranch_vccnz .LBB113_247
; %bb.242:
	v_cmp_gt_i16_sdwa s[24:25], v4, v3 src0_sel:BYTE_0 src1_sel:DWORD
	s_and_b64 vcc, exec, s[24:25]
	s_cbranch_vccz .LBB113_244
; %bb.243:
	v_cvt_f64_f32_e32 v[8:9], v2
	global_store_dwordx2 v[0:1], v[8:9], off
	s_mov_b64 s[6:7], 0
.LBB113_244:
	s_andn2_b64 vcc, exec, s[6:7]
	s_cbranch_vccnz .LBB113_246
; %bb.245:
	global_store_dword v[0:1], v2, off
.LBB113_246:
	s_mov_b64 s[6:7], 0
.LBB113_247:
	s_andn2_b64 vcc, exec, s[6:7]
	s_cbranch_vccnz .LBB113_249
; %bb.248:
	v_cvt_f16_f32_e32 v3, v2
	global_store_short v[0:1], v3, off
.LBB113_249:
	s_mov_b64 s[6:7], 0
.LBB113_250:
	s_andn2_b64 vcc, exec, s[6:7]
	s_cbranch_vccnz .LBB113_266
; %bb.251:
	v_mov_b32_e32 v3, 2
	v_cmp_lt_i16_sdwa s[24:25], v4, v3 src0_sel:BYTE_0 src1_sel:DWORD
	s_mov_b64 s[6:7], -1
	s_and_b64 vcc, exec, s[24:25]
	s_cbranch_vccnz .LBB113_261
; %bb.252:
	v_mov_b32_e32 v3, 3
	v_cmp_lt_i16_sdwa s[24:25], v4, v3 src0_sel:BYTE_0 src1_sel:DWORD
	s_and_b64 vcc, exec, s[24:25]
	s_cbranch_vccnz .LBB113_258
; %bb.253:
	v_cmp_gt_i16_sdwa s[24:25], v4, v3 src0_sel:BYTE_0 src1_sel:DWORD
	s_and_b64 vcc, exec, s[24:25]
	s_cbranch_vccz .LBB113_255
; %bb.254:
	v_trunc_f32_e32 v3, v2
	s_mov_b32 s6, 0x2f800000
	v_mul_f32_e64 v8, |v3|, s6
	v_floor_f32_e32 v8, v8
	s_mov_b32 s6, 0xcf800000
	v_cvt_u32_f32_e32 v9, v8
	v_fma_f32 v8, v8, s6, |v3|
	v_cvt_u32_f32_e32 v8, v8
	v_ashrrev_i32_e32 v3, 31, v3
	v_xor_b32_e32 v9, v9, v3
	s_mov_b64 s[6:7], 0
	v_xor_b32_e32 v8, v8, v3
	v_sub_co_u32_e32 v8, vcc, v8, v3
	v_subb_co_u32_e32 v9, vcc, v9, v3, vcc
	global_store_dwordx2 v[0:1], v[8:9], off
.LBB113_255:
	s_andn2_b64 vcc, exec, s[6:7]
	s_cbranch_vccnz .LBB113_257
; %bb.256:
	v_cvt_i32_f32_e32 v3, v2
	global_store_dword v[0:1], v3, off
.LBB113_257:
	s_mov_b64 s[6:7], 0
.LBB113_258:
	s_andn2_b64 vcc, exec, s[6:7]
	s_cbranch_vccnz .LBB113_260
; %bb.259:
	v_cvt_i32_f32_e32 v3, v2
	global_store_short v[0:1], v3, off
.LBB113_260:
	s_mov_b64 s[6:7], 0
.LBB113_261:
	s_andn2_b64 vcc, exec, s[6:7]
	s_cbranch_vccnz .LBB113_266
; %bb.262:
	v_mov_b32_e32 v3, 0
	v_cmp_gt_i16_sdwa s[24:25], v4, v3 src0_sel:BYTE_0 src1_sel:DWORD
	s_mov_b64 s[6:7], -1
	s_and_b64 vcc, exec, s[24:25]
	s_cbranch_vccz .LBB113_264
; %bb.263:
	v_cvt_i32_f32_e32 v3, v2
	s_mov_b64 s[6:7], 0
	global_store_byte v[0:1], v3, off
.LBB113_264:
	s_andn2_b64 vcc, exec, s[6:7]
	s_cbranch_vccnz .LBB113_266
; %bb.265:
	v_trunc_f32_e32 v2, v2
	s_mov_b32 s6, 0x2f800000
	v_mul_f32_e64 v3, |v2|, s6
	v_floor_f32_e32 v3, v3
	s_mov_b32 s6, 0xcf800000
	v_fma_f32 v3, v3, s6, |v2|
	v_cvt_u32_f32_e32 v3, v3
	v_ashrrev_i32_e32 v2, 31, v2
	v_xor_b32_e32 v3, v3, v2
	v_sub_u32_e32 v2, v3, v2
	global_store_byte v[0:1], v2, off
.LBB113_266:
	s_mov_b64 s[6:7], -1
.LBB113_267:
	s_andn2_b64 vcc, exec, s[6:7]
	s_cbranch_vccnz .LBB113_269
; %bb.268:
	v_add_u32_e32 v5, 0x80, v5
	s_mov_b64 s[24:25], -1
	s_branch .LBB113_382
.LBB113_269:
	s_mov_b64 s[24:25], 0
                                        ; implicit-def: $vgpr5
	s_branch .LBB113_382
.LBB113_270:
	s_mov_b64 s[18:19], -1
                                        ; implicit-def: $vgpr2
.LBB113_271:
	s_mov_b64 s[6:7], 0
.LBB113_272:
	s_and_b64 vcc, exec, s[6:7]
	s_cbranch_vccz .LBB113_276
; %bb.273:
	v_mov_b32_e32 v2, 29
	v_cmp_eq_u16_sdwa s[6:7], v6, v2 src0_sel:BYTE_0 src1_sel:DWORD
	s_and_b64 vcc, exec, s[6:7]
	s_cbranch_vccz .LBB113_275
; %bb.274:
	global_load_dwordx2 v[8:9], v[0:1], off
	s_mov_b64 s[0:1], -1
	s_mov_b64 s[18:19], 0
	s_mov_b64 s[6:7], 0
	s_waitcnt vmcnt(0)
	v_ffbh_u32_e32 v2, v9
	v_min_u32_e32 v2, 32, v2
	v_lshlrev_b64 v[8:9], v2, v[8:9]
	v_min_u32_e32 v8, 1, v8
	v_or_b32_e32 v8, v9, v8
	v_cvt_f32_u32_e32 v8, v8
	v_sub_u32_e32 v2, 32, v2
	v_ldexp_f32 v2, v8, v2
	s_branch .LBB113_277
.LBB113_275:
	s_mov_b64 s[18:19], -1
                                        ; implicit-def: $vgpr2
.LBB113_276:
	s_mov_b64 s[6:7], 0
.LBB113_277:
	s_and_b64 vcc, exec, s[6:7]
	s_cbranch_vccz .LBB113_295
; %bb.278:
	v_mov_b32_e32 v2, 27
	v_cmp_lt_i16_sdwa s[0:1], v6, v2 src0_sel:BYTE_0 src1_sel:DWORD
	s_and_b64 vcc, exec, s[0:1]
	s_cbranch_vccnz .LBB113_281
; %bb.279:
	v_cmp_gt_i16_sdwa s[0:1], v6, v2 src0_sel:BYTE_0 src1_sel:DWORD
	s_and_b64 vcc, exec, s[0:1]
	s_cbranch_vccz .LBB113_282
; %bb.280:
	global_load_dword v2, v[0:1], off
	s_mov_b64 s[0:1], 0
	s_waitcnt vmcnt(0)
	v_cvt_f32_u32_e32 v2, v2
	s_branch .LBB113_283
.LBB113_281:
	s_mov_b64 s[0:1], -1
                                        ; implicit-def: $vgpr2
	s_branch .LBB113_286
.LBB113_282:
	s_mov_b64 s[0:1], -1
                                        ; implicit-def: $vgpr2
.LBB113_283:
	s_andn2_b64 vcc, exec, s[0:1]
	s_cbranch_vccnz .LBB113_285
; %bb.284:
	global_load_ushort v2, v[0:1], off
	s_waitcnt vmcnt(0)
	v_cvt_f32_u32_e32 v2, v2
.LBB113_285:
	s_mov_b64 s[0:1], 0
.LBB113_286:
	s_andn2_b64 vcc, exec, s[0:1]
	s_cbranch_vccnz .LBB113_294
; %bb.287:
	global_load_ubyte v8, v[0:1], off
	s_movk_i32 s0, 0x7f
                                        ; implicit-def: $sgpr15
	s_waitcnt vmcnt(0)
	v_cmp_lt_i16_e32 vcc, s0, v8
	s_mov_b64 s[0:1], 0
	s_and_saveexec_b64 s[6:7], vcc
	s_xor_b64 s[6:7], exec, s[6:7]
	s_cbranch_execz .LBB113_308
; %bb.288:
	s_movk_i32 s0, 0x80
	v_cmp_eq_u16_e32 vcc, s0, v8
	s_mov_b64 s[0:1], -1
                                        ; implicit-def: $sgpr15
	s_and_saveexec_b64 s[24:25], vcc
; %bb.289:
	s_mov_b32 s15, 0x7f800001
	s_xor_b64 s[0:1], exec, -1
; %bb.290:
	s_or_b64 exec, exec, s[24:25]
	s_and_b64 s[0:1], s[0:1], exec
	s_or_saveexec_b64 s[6:7], s[6:7]
	v_mov_b32_e32 v2, s15
	s_xor_b64 exec, exec, s[6:7]
	s_cbranch_execnz .LBB113_309
.LBB113_291:
	s_or_b64 exec, exec, s[6:7]
	s_and_saveexec_b64 s[6:7], s[0:1]
	s_cbranch_execz .LBB113_293
.LBB113_292:
	v_lshlrev_b32_e32 v2, 24, v8
	v_and_b32_e32 v8, 0xffff, v8
	v_and_b32_e32 v9, 7, v8
	v_ffbh_u32_e32 v11, v9
	v_min_u32_e32 v11, 32, v11
	v_subrev_u32_e32 v12, 28, v11
	v_bfe_u32 v10, v8, 3, 4
	v_lshlrev_b32_e32 v8, v12, v8
	v_sub_u32_e32 v11, 29, v11
	v_and_b32_e32 v8, 7, v8
	v_cmp_eq_u32_e32 vcc, 0, v10
	v_cndmask_b32_e32 v10, v10, v11, vcc
	v_cndmask_b32_e32 v8, v9, v8, vcc
	v_mov_b32_e32 v9, 0x3b800000
	v_lshlrev_b32_e32 v8, 20, v8
	v_and_b32_e32 v2, 0x80000000, v2
	v_lshl_add_u32 v9, v10, 23, v9
	v_or3_b32 v2, v2, v9, v8
.LBB113_293:
	s_or_b64 exec, exec, s[6:7]
.LBB113_294:
	s_mov_b64 s[0:1], -1
.LBB113_295:
	s_mov_b64 s[6:7], 0
.LBB113_296:
	s_and_b64 vcc, exec, s[6:7]
	s_cbranch_vccz .LBB113_331
; %bb.297:
	v_mov_b32_e32 v2, 22
	v_cmp_gt_i16_sdwa s[6:7], v6, v2 src0_sel:BYTE_0 src1_sel:DWORD
	s_and_b64 vcc, exec, s[6:7]
	s_cbranch_vccz .LBB113_307
; %bb.298:
	v_mov_b32_e32 v2, 24
	v_cmp_lt_i16_sdwa s[0:1], v6, v2 src0_sel:BYTE_0 src1_sel:DWORD
	s_and_b64 vcc, exec, s[0:1]
	s_cbranch_vccnz .LBB113_310
; %bb.299:
	v_cmp_gt_i16_sdwa s[0:1], v6, v2 src0_sel:BYTE_0 src1_sel:DWORD
	s_and_b64 vcc, exec, s[0:1]
	s_cbranch_vccz .LBB113_311
; %bb.300:
	global_load_ubyte v8, v[0:1], off
	s_movk_i32 s0, 0x7f
                                        ; implicit-def: $sgpr15
	s_waitcnt vmcnt(0)
	v_cmp_lt_i16_e32 vcc, s0, v8
	s_mov_b64 s[0:1], 0
	s_and_saveexec_b64 s[6:7], vcc
	s_xor_b64 s[6:7], exec, s[6:7]
	s_cbranch_execz .LBB113_323
; %bb.301:
	s_movk_i32 s0, 0x80
	v_cmp_eq_u16_e32 vcc, s0, v8
	s_mov_b64 s[0:1], -1
                                        ; implicit-def: $sgpr15
	s_and_saveexec_b64 s[24:25], vcc
; %bb.302:
	s_mov_b32 s15, 0x7f800001
	s_xor_b64 s[0:1], exec, -1
; %bb.303:
	s_or_b64 exec, exec, s[24:25]
	s_and_b64 s[0:1], s[0:1], exec
	s_or_saveexec_b64 s[6:7], s[6:7]
	v_mov_b32_e32 v2, s15
	s_xor_b64 exec, exec, s[6:7]
	s_cbranch_execnz .LBB113_324
.LBB113_304:
	s_or_b64 exec, exec, s[6:7]
	s_and_saveexec_b64 s[6:7], s[0:1]
	s_cbranch_execz .LBB113_306
.LBB113_305:
	v_lshlrev_b32_e32 v2, 24, v8
	v_and_b32_e32 v8, 0xffff, v8
	v_and_b32_e32 v9, 3, v8
	v_ffbh_u32_e32 v11, v9
	v_min_u32_e32 v11, 32, v11
	v_subrev_u32_e32 v12, 29, v11
	v_bfe_u32 v10, v8, 2, 5
	v_lshlrev_b32_e32 v8, v12, v8
	v_sub_u32_e32 v11, 30, v11
	v_and_b32_e32 v8, 3, v8
	v_cmp_eq_u32_e32 vcc, 0, v10
	v_cndmask_b32_e32 v10, v10, v11, vcc
	v_cndmask_b32_e32 v8, v9, v8, vcc
	v_mov_b32_e32 v9, 0x37800000
	v_lshlrev_b32_e32 v8, 21, v8
	v_and_b32_e32 v2, 0x80000000, v2
	v_lshl_add_u32 v9, v10, 23, v9
	v_or3_b32 v2, v2, v9, v8
.LBB113_306:
	s_or_b64 exec, exec, s[6:7]
	s_mov_b64 s[0:1], 0
	s_branch .LBB113_312
.LBB113_307:
	s_mov_b64 s[6:7], -1
                                        ; implicit-def: $vgpr2
	s_branch .LBB113_318
.LBB113_308:
	s_or_saveexec_b64 s[6:7], s[6:7]
	v_mov_b32_e32 v2, s15
	s_xor_b64 exec, exec, s[6:7]
	s_cbranch_execz .LBB113_291
.LBB113_309:
	v_cmp_ne_u16_e32 vcc, 0, v8
	s_andn2_b64 s[0:1], s[0:1], exec
	s_and_b64 s[24:25], vcc, exec
	v_mov_b32_e32 v2, 0
	s_or_b64 s[0:1], s[0:1], s[24:25]
	s_or_b64 exec, exec, s[6:7]
	s_and_saveexec_b64 s[6:7], s[0:1]
	s_cbranch_execnz .LBB113_292
	s_branch .LBB113_293
.LBB113_310:
	s_mov_b64 s[0:1], -1
                                        ; implicit-def: $vgpr2
	s_branch .LBB113_315
.LBB113_311:
	s_mov_b64 s[0:1], -1
                                        ; implicit-def: $vgpr2
.LBB113_312:
	s_and_b64 vcc, exec, s[0:1]
	s_cbranch_vccz .LBB113_314
; %bb.313:
	global_load_ubyte v2, v[0:1], off
	s_mov_b32 s0, 0x7f800000
	s_waitcnt vmcnt(0)
	v_lshlrev_b32_e32 v2, 24, v2
	v_and_b32_e32 v8, 0x7f000000, v2
	v_ffbh_u32_e32 v9, v8
	v_min_u32_e32 v9, 32, v9
	v_sub_u32_e64 v9, v9, 4 clamp
	v_lshlrev_b32_e32 v11, v9, v8
	v_lshlrev_b32_e32 v9, 23, v9
	v_lshrrev_b32_e32 v11, 4, v11
	v_add_u32_e32 v10, 0x1000000, v8
	v_sub_u32_e32 v9, v11, v9
	v_ashrrev_i32_e32 v10, 8, v10
	v_add_u32_e32 v9, 0x3c000000, v9
	v_and_or_b32 v9, v10, s0, v9
	v_cmp_ne_u32_e32 vcc, 0, v8
	v_cndmask_b32_e32 v8, 0, v9, vcc
	s_brev_b32 s0, 1
	v_and_or_b32 v2, v2, s0, v8
.LBB113_314:
	s_mov_b64 s[0:1], 0
.LBB113_315:
	s_andn2_b64 vcc, exec, s[0:1]
	s_cbranch_vccnz .LBB113_317
; %bb.316:
	global_load_ubyte v2, v[0:1], off
	s_movk_i32 s0, 0x7f00
	s_brev_b32 s1, 16
	s_waitcnt vmcnt(0)
	v_lshlrev_b16_e32 v8, 8, v2
	v_lshlrev_b32_e32 v2, 25, v2
	v_lshrrev_b32_e32 v9, 4, v2
	v_and_or_b32 v10, v8, s0, 0.5
	v_or_b32_e32 v9, 0x70000000, v9
	v_add_f32_e32 v10, -0.5, v10
	v_mul_f32_e32 v9, 0x7800000, v9
	v_cmp_gt_u32_e32 vcc, s1, v2
	v_bfe_i32 v8, v8, 0, 16
	v_cndmask_b32_e32 v2, v9, v10, vcc
	s_brev_b32 s0, 1
	v_and_or_b32 v2, v8, s0, v2
.LBB113_317:
	s_mov_b64 s[6:7], 0
	s_mov_b64 s[0:1], -1
.LBB113_318:
	s_andn2_b64 vcc, exec, s[6:7]
	s_cbranch_vccnz .LBB113_331
; %bb.319:
	v_mov_b32_e32 v2, 14
	v_cmp_gt_i16_sdwa s[6:7], v6, v2 src0_sel:BYTE_0 src1_sel:DWORD
	s_and_b64 vcc, exec, s[6:7]
	s_cbranch_vccz .LBB113_322
; %bb.320:
	v_mov_b32_e32 v2, 15
	v_cmp_eq_u16_sdwa s[6:7], v6, v2 src0_sel:BYTE_0 src1_sel:DWORD
	s_and_b64 vcc, exec, s[6:7]
	s_cbranch_vccz .LBB113_325
; %bb.321:
	global_load_ushort v2, v[0:1], off
	s_mov_b64 s[0:1], -1
	s_mov_b64 s[18:19], 0
	s_waitcnt vmcnt(0)
	v_lshlrev_b32_e32 v2, 16, v2
	s_branch .LBB113_326
.LBB113_322:
	s_mov_b64 s[6:7], -1
                                        ; implicit-def: $vgpr2
	s_branch .LBB113_327
.LBB113_323:
	s_or_saveexec_b64 s[6:7], s[6:7]
	v_mov_b32_e32 v2, s15
	s_xor_b64 exec, exec, s[6:7]
	s_cbranch_execz .LBB113_304
.LBB113_324:
	v_cmp_ne_u16_e32 vcc, 0, v8
	s_andn2_b64 s[0:1], s[0:1], exec
	s_and_b64 s[24:25], vcc, exec
	v_mov_b32_e32 v2, 0
	s_or_b64 s[0:1], s[0:1], s[24:25]
	s_or_b64 exec, exec, s[6:7]
	s_and_saveexec_b64 s[6:7], s[0:1]
	s_cbranch_execnz .LBB113_305
	s_branch .LBB113_306
.LBB113_325:
	s_mov_b64 s[18:19], -1
                                        ; implicit-def: $vgpr2
.LBB113_326:
	s_mov_b64 s[6:7], 0
.LBB113_327:
	s_and_b64 vcc, exec, s[6:7]
	s_cbranch_vccz .LBB113_331
; %bb.328:
	v_mov_b32_e32 v2, 11
	v_cmp_eq_u16_sdwa s[6:7], v6, v2 src0_sel:BYTE_0 src1_sel:DWORD
	s_and_b64 vcc, exec, s[6:7]
	s_cbranch_vccz .LBB113_330
; %bb.329:
	global_load_ubyte v2, v[0:1], off
	s_mov_b64 s[0:1], -1
	s_mov_b64 s[18:19], 0
	s_waitcnt vmcnt(0)
	v_cmp_ne_u16_e32 vcc, 0, v2
	v_cndmask_b32_e64 v2, 0, 1.0, vcc
	s_branch .LBB113_331
.LBB113_330:
	s_mov_b64 s[18:19], -1
                                        ; implicit-def: $vgpr2
.LBB113_331:
	s_branch .LBB113_20
.LBB113_332:
	v_mov_b32_e32 v2, 5
	v_cmp_lt_i16_sdwa s[0:1], v6, v2 src0_sel:BYTE_0 src1_sel:DWORD
	s_and_b64 vcc, exec, s[0:1]
	s_cbranch_vccnz .LBB113_337
; %bb.333:
	v_mov_b32_e32 v2, 8
	v_cmp_lt_i16_sdwa s[0:1], v6, v2 src0_sel:BYTE_0 src1_sel:DWORD
	s_and_b64 vcc, exec, s[0:1]
	s_cbranch_vccnz .LBB113_338
; %bb.334:
	;; [unrolled: 5-line block ×3, first 2 shown]
	v_cmp_gt_i16_sdwa s[0:1], v6, v2 src0_sel:BYTE_0 src1_sel:DWORD
	s_and_b64 vcc, exec, s[0:1]
	s_cbranch_vccz .LBB113_340
; %bb.336:
	global_load_dwordx2 v[8:9], v[0:1], off
	s_mov_b64 s[0:1], 0
	s_waitcnt vmcnt(0)
	v_cvt_f32_f64_e32 v2, v[8:9]
	s_branch .LBB113_341
.LBB113_337:
	s_mov_b64 s[0:1], -1
                                        ; implicit-def: $vgpr2
	s_branch .LBB113_359
.LBB113_338:
	s_mov_b64 s[0:1], -1
                                        ; implicit-def: $vgpr2
	s_branch .LBB113_347
.LBB113_339:
	s_mov_b64 s[0:1], -1
                                        ; implicit-def: $vgpr2
	s_branch .LBB113_344
.LBB113_340:
	s_mov_b64 s[0:1], -1
                                        ; implicit-def: $vgpr2
.LBB113_341:
	s_andn2_b64 vcc, exec, s[0:1]
	s_cbranch_vccnz .LBB113_343
; %bb.342:
	global_load_dword v2, v[0:1], off
.LBB113_343:
	s_mov_b64 s[0:1], 0
.LBB113_344:
	s_andn2_b64 vcc, exec, s[0:1]
	s_cbranch_vccnz .LBB113_346
; %bb.345:
	global_load_dword v2, v[0:1], off
	s_waitcnt vmcnt(0)
	v_cvt_f32_f16_e32 v2, v2
.LBB113_346:
	s_mov_b64 s[0:1], 0
.LBB113_347:
	s_andn2_b64 vcc, exec, s[0:1]
	s_cbranch_vccnz .LBB113_358
; %bb.348:
	s_waitcnt vmcnt(0)
	v_mov_b32_e32 v2, 6
	v_cmp_lt_i16_sdwa s[0:1], v6, v2 src0_sel:BYTE_0 src1_sel:DWORD
	s_and_b64 vcc, exec, s[0:1]
	s_cbranch_vccnz .LBB113_351
; %bb.349:
	v_cmp_gt_i16_sdwa s[0:1], v6, v2 src0_sel:BYTE_0 src1_sel:DWORD
	s_and_b64 vcc, exec, s[0:1]
	s_cbranch_vccz .LBB113_352
; %bb.350:
	global_load_dwordx2 v[8:9], v[0:1], off
	s_mov_b64 s[0:1], 0
	s_waitcnt vmcnt(0)
	v_cvt_f32_f64_e32 v2, v[8:9]
	s_branch .LBB113_353
.LBB113_351:
	s_mov_b64 s[0:1], -1
                                        ; implicit-def: $vgpr2
	s_branch .LBB113_356
.LBB113_352:
	s_mov_b64 s[0:1], -1
                                        ; implicit-def: $vgpr2
.LBB113_353:
	s_andn2_b64 vcc, exec, s[0:1]
	s_cbranch_vccnz .LBB113_355
; %bb.354:
	global_load_dword v2, v[0:1], off
.LBB113_355:
	s_mov_b64 s[0:1], 0
.LBB113_356:
	s_andn2_b64 vcc, exec, s[0:1]
	s_cbranch_vccnz .LBB113_358
; %bb.357:
	global_load_ushort v2, v[0:1], off
	s_waitcnt vmcnt(0)
	v_cvt_f32_f16_e32 v2, v2
.LBB113_358:
	s_mov_b64 s[0:1], 0
.LBB113_359:
	s_andn2_b64 vcc, exec, s[0:1]
	s_cbranch_vccnz .LBB113_379
; %bb.360:
	s_waitcnt vmcnt(0)
	v_mov_b32_e32 v2, 2
	v_cmp_lt_i16_sdwa s[0:1], v6, v2 src0_sel:BYTE_0 src1_sel:DWORD
	s_and_b64 vcc, exec, s[0:1]
	s_cbranch_vccnz .LBB113_364
; %bb.361:
	v_mov_b32_e32 v2, 3
	v_cmp_lt_i16_sdwa s[0:1], v6, v2 src0_sel:BYTE_0 src1_sel:DWORD
	s_and_b64 vcc, exec, s[0:1]
	s_cbranch_vccnz .LBB113_365
; %bb.362:
	v_cmp_gt_i16_sdwa s[0:1], v6, v2 src0_sel:BYTE_0 src1_sel:DWORD
	s_and_b64 vcc, exec, s[0:1]
	s_cbranch_vccz .LBB113_366
; %bb.363:
	global_load_dwordx2 v[8:9], v[0:1], off
	s_mov_b64 s[0:1], 0
	s_waitcnt vmcnt(0)
	v_xor_b32_e32 v10, v8, v9
	v_ffbh_i32_e32 v2, v9
	v_ashrrev_i32_e32 v10, 31, v10
	v_add_u32_e32 v2, -1, v2
	v_add_u32_e32 v10, 32, v10
	v_min_u32_e32 v2, v2, v10
	v_lshlrev_b64 v[8:9], v2, v[8:9]
	v_min_u32_e32 v8, 1, v8
	v_or_b32_e32 v8, v9, v8
	v_cvt_f32_i32_e32 v8, v8
	v_sub_u32_e32 v2, 32, v2
	v_ldexp_f32 v2, v8, v2
	s_branch .LBB113_367
.LBB113_364:
	s_mov_b64 s[0:1], -1
                                        ; implicit-def: $vgpr2
	s_branch .LBB113_373
.LBB113_365:
	s_mov_b64 s[0:1], -1
                                        ; implicit-def: $vgpr2
	s_branch .LBB113_370
.LBB113_366:
	s_mov_b64 s[0:1], -1
                                        ; implicit-def: $vgpr2
.LBB113_367:
	s_andn2_b64 vcc, exec, s[0:1]
	s_cbranch_vccnz .LBB113_369
; %bb.368:
	global_load_dword v2, v[0:1], off
	s_waitcnt vmcnt(0)
	v_cvt_f32_i32_e32 v2, v2
.LBB113_369:
	s_mov_b64 s[0:1], 0
.LBB113_370:
	s_andn2_b64 vcc, exec, s[0:1]
	s_cbranch_vccnz .LBB113_372
; %bb.371:
	global_load_sshort v2, v[0:1], off
	s_waitcnt vmcnt(0)
	v_cvt_f32_i32_e32 v2, v2
.LBB113_372:
	s_mov_b64 s[0:1], 0
.LBB113_373:
	s_andn2_b64 vcc, exec, s[0:1]
	s_cbranch_vccnz .LBB113_379
; %bb.374:
	v_mov_b32_e32 v2, 0
	v_cmp_gt_i16_sdwa s[0:1], v6, v2 src0_sel:BYTE_0 src1_sel:DWORD
	s_and_b64 vcc, exec, s[0:1]
	s_cbranch_vccz .LBB113_376
; %bb.375:
	global_load_sbyte v2, v[0:1], off
	s_mov_b64 s[0:1], 0
	s_waitcnt vmcnt(0)
	v_cvt_f32_i32_e32 v2, v2
	s_branch .LBB113_377
.LBB113_376:
	s_mov_b64 s[0:1], -1
                                        ; implicit-def: $vgpr2
.LBB113_377:
	s_andn2_b64 vcc, exec, s[0:1]
	s_cbranch_vccnz .LBB113_379
; %bb.378:
	global_load_ubyte v0, v[0:1], off
	s_waitcnt vmcnt(0)
	v_cvt_f32_ubyte0_e32 v2, v0
.LBB113_379:
	s_branch .LBB113_21
.LBB113_380:
	s_mov_b64 s[0:1], 0
.LBB113_381:
                                        ; implicit-def: $vgpr5
	s_mov_b64 s[24:25], 0
.LBB113_382:
	s_and_b64 s[6:7], s[0:1], exec
	s_and_b64 s[18:19], s[18:19], exec
	;; [unrolled: 1-line block ×3, first 2 shown]
	s_orn2_b64 s[0:1], s[24:25], exec
.LBB113_383:
	s_or_b64 exec, exec, s[22:23]
	s_mov_b64 s[30:31], 0
	s_mov_b64 s[28:29], 0
                                        ; implicit-def: $vgpr2
                                        ; implicit-def: $vgpr0_vgpr1
                                        ; implicit-def: $vgpr3
	s_and_saveexec_b64 s[22:23], s[0:1]
	s_cbranch_execz .LBB113_392
; %bb.384:
	v_cmp_gt_i32_e32 vcc, s33, v5
	s_mov_b64 s[0:1], -1
	s_mov_b64 s[24:25], s[20:21]
	s_mov_b64 s[26:27], s[18:19]
	;; [unrolled: 1-line block ×3, first 2 shown]
	s_and_saveexec_b64 s[30:31], vcc
	s_cbranch_execz .LBB113_773
; %bb.385:
	v_mul_lo_u32 v0, v5, s13
	v_ashrrev_i32_e32 v1, 31, v0
	s_waitcnt vmcnt(0)
	v_mov_b32_e32 v2, s11
	v_add_co_u32_e32 v0, vcc, s10, v0
	v_addc_co_u32_e32 v1, vcc, v2, v1, vcc
	v_mov_b32_e32 v2, 11
	v_cmp_lt_i16_sdwa s[0:1], v7, v2 src0_sel:BYTE_0 src1_sel:DWORD
	s_and_b64 vcc, exec, s[0:1]
	s_cbranch_vccnz .LBB113_395
; %bb.386:
	v_mov_b32_e32 v2, 25
	v_cmp_gt_i16_sdwa s[0:1], v7, v2 src0_sel:BYTE_0 src1_sel:DWORD
	s_and_b64 vcc, exec, s[0:1]
	s_cbranch_vccz .LBB113_404
; %bb.387:
	v_mov_b32_e32 v2, 28
	v_cmp_gt_i16_sdwa s[0:1], v7, v2 src0_sel:BYTE_0 src1_sel:DWORD
	s_and_b64 vcc, exec, s[0:1]
	s_cbranch_vccz .LBB113_406
	;; [unrolled: 5-line block ×4, first 2 shown]
; %bb.390:
	v_mov_b32_e32 v2, 46
	v_cmp_eq_u16_sdwa s[0:1], v7, v2 src0_sel:BYTE_0 src1_sel:DWORD
	s_mov_b64 s[26:27], 0
	s_and_b64 vcc, exec, s[0:1]
	s_cbranch_vccz .LBB113_414
; %bb.391:
	global_load_dword v2, v[0:1], off
	s_mov_b64 s[0:1], -1
	s_mov_b64 s[24:25], 0
	s_waitcnt vmcnt(0)
	v_lshlrev_b32_e32 v3, 16, v2
	s_branch .LBB113_415
.LBB113_392:
	s_or_b64 exec, exec, s[22:23]
	s_mov_b64 s[22:23], 0
	s_and_saveexec_b64 s[0:1], s[20:21]
	s_cbranch_execnz .LBB113_1248
.LBB113_393:
	s_or_b64 exec, exec, s[0:1]
	s_and_saveexec_b64 s[0:1], s[26:27]
	s_xor_b64 s[0:1], exec, s[0:1]
	s_cbranch_execz .LBB113_1249
.LBB113_394:
	global_load_ubyte v3, v[0:1], off
	s_or_b64 s[28:29], s[28:29], exec
	s_waitcnt vmcnt(0)
	v_cmp_ne_u16_e32 vcc, 0, v3
	v_cndmask_b32_e64 v3, 0, 1.0, vcc
	s_or_b64 exec, exec, s[0:1]
	s_and_saveexec_b64 s[0:1], s[30:31]
	s_cbranch_execz .LBB113_1295
	s_branch .LBB113_1250
.LBB113_395:
	s_mov_b64 s[0:1], 0
                                        ; implicit-def: $vgpr3
	s_mov_b64 s[24:25], s[20:21]
	s_cbranch_execnz .LBB113_481
.LBB113_396:
	s_andn2_b64 vcc, exec, s[0:1]
	s_cbranch_vccnz .LBB113_529
.LBB113_397:
	v_mul_lo_u32 v0, v5, s14
	v_ashrrev_i32_e32 v1, 31, v0
	v_mov_b32_e32 v2, s3
	v_add_co_u32_e32 v0, vcc, s2, v0
	v_addc_co_u32_e32 v1, vcc, v2, v1, vcc
	v_mov_b32_e32 v2, 11
	v_cmp_lt_i16_sdwa s[0:1], v6, v2 src0_sel:BYTE_0 src1_sel:DWORD
	s_and_b64 vcc, exec, s[0:1]
	s_cbranch_vccnz .LBB113_405
; %bb.398:
	v_mov_b32_e32 v2, 25
	v_cmp_gt_i16_sdwa s[0:1], v6, v2 src0_sel:BYTE_0 src1_sel:DWORD
	s_and_b64 vcc, exec, s[0:1]
	s_cbranch_vccz .LBB113_407
; %bb.399:
	v_mov_b32_e32 v2, 28
	v_cmp_gt_i16_sdwa s[0:1], v6, v2 src0_sel:BYTE_0 src1_sel:DWORD
	s_and_b64 vcc, exec, s[0:1]
	s_cbranch_vccz .LBB113_409
	;; [unrolled: 5-line block ×4, first 2 shown]
; %bb.402:
	v_mov_b32_e32 v2, 46
	v_cmp_eq_u16_sdwa s[0:1], v6, v2 src0_sel:BYTE_0 src1_sel:DWORD
	s_mov_b64 s[28:29], 0
	s_and_b64 vcc, exec, s[0:1]
	s_cbranch_vccz .LBB113_533
; %bb.403:
	global_load_dword v2, v[0:1], off
	s_mov_b64 s[0:1], -1
	s_mov_b64 s[26:27], 0
	s_waitcnt vmcnt(0)
	v_lshlrev_b32_e32 v2, 16, v2
	s_branch .LBB113_534
.LBB113_404:
	s_mov_b64 s[26:27], -1
	s_mov_b64 s[0:1], 0
	s_mov_b64 s[24:25], s[20:21]
                                        ; implicit-def: $vgpr3
	s_branch .LBB113_445
.LBB113_405:
	s_mov_b64 s[28:29], -1
	s_mov_b64 s[0:1], 0
                                        ; implicit-def: $vgpr2
	s_mov_b64 s[26:27], s[18:19]
	s_branch .LBB113_599
.LBB113_406:
	s_mov_b64 s[26:27], -1
	s_mov_b64 s[0:1], 0
	s_mov_b64 s[24:25], s[20:21]
                                        ; implicit-def: $vgpr3
	s_branch .LBB113_426
.LBB113_407:
	s_mov_b64 s[28:29], -1
	s_mov_b64 s[0:1], 0
	s_mov_b64 s[26:27], s[18:19]
                                        ; implicit-def: $vgpr2
	s_branch .LBB113_563
.LBB113_408:
	s_mov_b64 s[26:27], -1
	s_mov_b64 s[0:1], 0
	s_mov_b64 s[24:25], s[20:21]
                                        ; implicit-def: $vgpr3
	s_branch .LBB113_421
.LBB113_409:
	s_mov_b64 s[28:29], -1
	s_mov_b64 s[0:1], 0
	s_mov_b64 s[26:27], s[18:19]
                                        ; implicit-def: $vgpr2
	s_branch .LBB113_544
.LBB113_410:
	s_mov_b64 s[26:27], -1
	s_mov_b64 s[0:1], 0
	s_mov_b64 s[24:25], s[20:21]
                                        ; implicit-def: $vgpr3
	s_branch .LBB113_415
.LBB113_411:
	s_mov_b64 s[28:29], -1
	s_mov_b64 s[0:1], 0
	s_mov_b64 s[26:27], s[18:19]
                                        ; implicit-def: $vgpr2
	s_branch .LBB113_539
.LBB113_412:
	s_or_saveexec_b64 s[28:29], s[28:29]
                                        ; implicit-def: $sgpr15
	s_xor_b64 exec, exec, s[28:29]
	s_cbranch_execz .LBB113_180
.LBB113_413:
	s_mov_b32 s15, 0x46000000
	v_add_f32_e64 v8, |v3|, s15
	v_and_b32_e32 v8, 0xff, v8
	v_cmp_ne_u32_e32 vcc, 0, v8
	s_andn2_b64 s[24:25], s[24:25], exec
	s_and_b64 s[30:31], vcc, exec
	s_mov_b32 s15, 0
	s_or_b64 s[24:25], s[24:25], s[30:31]
	s_or_b64 exec, exec, s[28:29]
	v_mov_b32_e32 v9, s15
	s_and_saveexec_b64 s[28:29], s[24:25]
	s_cbranch_execnz .LBB113_181
	s_branch .LBB113_182
.LBB113_414:
	s_mov_b64 s[24:25], -1
                                        ; implicit-def: $vgpr3
	s_mov_b64 s[0:1], 0
.LBB113_415:
	s_and_b64 vcc, exec, s[26:27]
	s_cbranch_vccz .LBB113_420
; %bb.416:
	v_mov_b32_e32 v2, 44
	v_cmp_eq_u16_sdwa s[24:25], v7, v2 src0_sel:BYTE_0 src1_sel:DWORD
	s_and_b64 vcc, exec, s[24:25]
	s_cbranch_vccz .LBB113_419
; %bb.417:
	global_load_ubyte v2, v[0:1], off
	s_movk_i32 s15, 0xff
	v_mov_b32_e32 v3, 0x7f800001
	v_mov_b32_e32 v8, 0x400000
	s_mov_b64 s[0:1], -1
	s_mov_b64 s[24:25], 0
	s_waitcnt vmcnt(0)
	v_lshlrev_b32_e32 v9, 23, v2
	v_cmp_ne_u32_e32 vcc, s15, v2
	v_cndmask_b32_e32 v3, v3, v9, vcc
	v_cmp_ne_u32_e32 vcc, 0, v2
	v_cndmask_b32_e32 v3, v8, v3, vcc
	s_branch .LBB113_420
.LBB113_418:
	s_mov_b64 s[28:29], -1
	s_mov_b64 s[0:1], 0
	s_mov_b64 s[26:27], s[18:19]
                                        ; implicit-def: $vgpr2
	s_branch .LBB113_534
.LBB113_419:
	s_mov_b64 s[24:25], -1
                                        ; implicit-def: $vgpr3
.LBB113_420:
	s_mov_b64 s[26:27], 0
.LBB113_421:
	s_and_b64 vcc, exec, s[26:27]
	s_cbranch_vccz .LBB113_425
; %bb.422:
	v_mov_b32_e32 v2, 29
	v_cmp_eq_u16_sdwa s[24:25], v7, v2 src0_sel:BYTE_0 src1_sel:DWORD
	s_and_b64 vcc, exec, s[24:25]
	s_cbranch_vccz .LBB113_424
; %bb.423:
	global_load_dwordx2 v[2:3], v[0:1], off
	s_mov_b64 s[0:1], -1
	s_mov_b64 s[24:25], 0
	s_mov_b64 s[26:27], 0
	s_waitcnt vmcnt(0)
	v_ffbh_u32_e32 v8, v3
	v_min_u32_e32 v8, 32, v8
	v_lshlrev_b64 v[2:3], v8, v[2:3]
	v_min_u32_e32 v2, 1, v2
	v_or_b32_e32 v2, v3, v2
	v_cvt_f32_u32_e32 v2, v2
	v_sub_u32_e32 v3, 32, v8
	v_ldexp_f32 v3, v2, v3
	s_branch .LBB113_426
.LBB113_424:
	s_mov_b64 s[24:25], -1
                                        ; implicit-def: $vgpr3
.LBB113_425:
	s_mov_b64 s[26:27], 0
.LBB113_426:
	s_and_b64 vcc, exec, s[26:27]
	s_cbranch_vccz .LBB113_444
; %bb.427:
	v_mov_b32_e32 v2, 27
	v_cmp_lt_i16_sdwa s[0:1], v7, v2 src0_sel:BYTE_0 src1_sel:DWORD
	s_and_b64 vcc, exec, s[0:1]
	s_cbranch_vccnz .LBB113_430
; %bb.428:
	v_cmp_gt_i16_sdwa s[0:1], v7, v2 src0_sel:BYTE_0 src1_sel:DWORD
	s_and_b64 vcc, exec, s[0:1]
	s_cbranch_vccz .LBB113_431
; %bb.429:
	global_load_dword v2, v[0:1], off
	s_mov_b64 s[0:1], 0
	s_waitcnt vmcnt(0)
	v_cvt_f32_u32_e32 v3, v2
	s_branch .LBB113_432
.LBB113_430:
	s_mov_b64 s[0:1], -1
                                        ; implicit-def: $vgpr3
	s_branch .LBB113_435
.LBB113_431:
	s_mov_b64 s[0:1], -1
                                        ; implicit-def: $vgpr3
.LBB113_432:
	s_andn2_b64 vcc, exec, s[0:1]
	s_cbranch_vccnz .LBB113_434
; %bb.433:
	global_load_ushort v2, v[0:1], off
	s_waitcnt vmcnt(0)
	v_cvt_f32_u32_e32 v3, v2
.LBB113_434:
	s_mov_b64 s[0:1], 0
.LBB113_435:
	s_andn2_b64 vcc, exec, s[0:1]
	s_cbranch_vccnz .LBB113_443
; %bb.436:
	global_load_ubyte v2, v[0:1], off
	s_movk_i32 s0, 0x7f
                                        ; implicit-def: $sgpr15
	s_waitcnt vmcnt(0)
	v_cmp_lt_i16_e32 vcc, s0, v2
	s_mov_b64 s[0:1], 0
	s_and_saveexec_b64 s[26:27], vcc
	s_xor_b64 s[26:27], exec, s[26:27]
	s_cbranch_execz .LBB113_457
; %bb.437:
	s_movk_i32 s0, 0x80
	v_cmp_eq_u16_e32 vcc, s0, v2
	s_mov_b64 s[0:1], -1
                                        ; implicit-def: $sgpr15
	s_and_saveexec_b64 s[28:29], vcc
; %bb.438:
	s_mov_b32 s15, 0x7f800001
	s_xor_b64 s[0:1], exec, -1
; %bb.439:
	s_or_b64 exec, exec, s[28:29]
	s_and_b64 s[0:1], s[0:1], exec
	s_or_saveexec_b64 s[26:27], s[26:27]
	v_mov_b32_e32 v3, s15
	s_xor_b64 exec, exec, s[26:27]
	s_cbranch_execnz .LBB113_458
.LBB113_440:
	s_or_b64 exec, exec, s[26:27]
	s_and_saveexec_b64 s[26:27], s[0:1]
	s_cbranch_execz .LBB113_442
.LBB113_441:
	v_lshlrev_b32_e32 v3, 24, v2
	v_and_b32_e32 v2, 0xffff, v2
	v_and_b32_e32 v8, 7, v2
	v_ffbh_u32_e32 v10, v8
	v_min_u32_e32 v10, 32, v10
	v_subrev_u32_e32 v11, 28, v10
	v_bfe_u32 v9, v2, 3, 4
	v_lshlrev_b32_e32 v2, v11, v2
	v_sub_u32_e32 v10, 29, v10
	v_and_b32_e32 v2, 7, v2
	v_cmp_eq_u32_e32 vcc, 0, v9
	v_cndmask_b32_e32 v9, v9, v10, vcc
	v_cndmask_b32_e32 v2, v8, v2, vcc
	v_mov_b32_e32 v8, 0x3b800000
	v_lshlrev_b32_e32 v2, 20, v2
	v_and_b32_e32 v3, 0x80000000, v3
	v_lshl_add_u32 v8, v9, 23, v8
	v_or3_b32 v3, v3, v8, v2
.LBB113_442:
	s_or_b64 exec, exec, s[26:27]
.LBB113_443:
	s_mov_b64 s[0:1], -1
.LBB113_444:
	s_mov_b64 s[26:27], 0
.LBB113_445:
	s_and_b64 vcc, exec, s[26:27]
	s_cbranch_vccz .LBB113_480
; %bb.446:
	v_mov_b32_e32 v2, 22
	v_cmp_gt_i16_sdwa s[26:27], v7, v2 src0_sel:BYTE_0 src1_sel:DWORD
	s_and_b64 vcc, exec, s[26:27]
	s_cbranch_vccz .LBB113_456
; %bb.447:
	v_mov_b32_e32 v2, 24
	v_cmp_lt_i16_sdwa s[0:1], v7, v2 src0_sel:BYTE_0 src1_sel:DWORD
	s_and_b64 vcc, exec, s[0:1]
	s_cbranch_vccnz .LBB113_459
; %bb.448:
	v_cmp_gt_i16_sdwa s[0:1], v7, v2 src0_sel:BYTE_0 src1_sel:DWORD
	s_and_b64 vcc, exec, s[0:1]
	s_cbranch_vccz .LBB113_460
; %bb.449:
	global_load_ubyte v2, v[0:1], off
	s_movk_i32 s0, 0x7f
                                        ; implicit-def: $sgpr15
	s_waitcnt vmcnt(0)
	v_cmp_lt_i16_e32 vcc, s0, v2
	s_mov_b64 s[0:1], 0
	s_and_saveexec_b64 s[26:27], vcc
	s_xor_b64 s[26:27], exec, s[26:27]
	s_cbranch_execz .LBB113_472
; %bb.450:
	s_movk_i32 s0, 0x80
	v_cmp_eq_u16_e32 vcc, s0, v2
	s_mov_b64 s[0:1], -1
                                        ; implicit-def: $sgpr15
	s_and_saveexec_b64 s[28:29], vcc
; %bb.451:
	s_mov_b32 s15, 0x7f800001
	s_xor_b64 s[0:1], exec, -1
; %bb.452:
	s_or_b64 exec, exec, s[28:29]
	s_and_b64 s[0:1], s[0:1], exec
	s_or_saveexec_b64 s[26:27], s[26:27]
	v_mov_b32_e32 v3, s15
	s_xor_b64 exec, exec, s[26:27]
	s_cbranch_execnz .LBB113_473
.LBB113_453:
	s_or_b64 exec, exec, s[26:27]
	s_and_saveexec_b64 s[26:27], s[0:1]
	s_cbranch_execz .LBB113_455
.LBB113_454:
	v_lshlrev_b32_e32 v3, 24, v2
	v_and_b32_e32 v2, 0xffff, v2
	v_and_b32_e32 v8, 3, v2
	v_ffbh_u32_e32 v10, v8
	v_min_u32_e32 v10, 32, v10
	v_subrev_u32_e32 v11, 29, v10
	v_bfe_u32 v9, v2, 2, 5
	v_lshlrev_b32_e32 v2, v11, v2
	v_sub_u32_e32 v10, 30, v10
	v_and_b32_e32 v2, 3, v2
	v_cmp_eq_u32_e32 vcc, 0, v9
	v_cndmask_b32_e32 v9, v9, v10, vcc
	v_cndmask_b32_e32 v2, v8, v2, vcc
	v_mov_b32_e32 v8, 0x37800000
	v_lshlrev_b32_e32 v2, 21, v2
	v_and_b32_e32 v3, 0x80000000, v3
	v_lshl_add_u32 v8, v9, 23, v8
	v_or3_b32 v3, v3, v8, v2
.LBB113_455:
	s_or_b64 exec, exec, s[26:27]
	s_mov_b64 s[0:1], 0
	s_branch .LBB113_461
.LBB113_456:
	s_mov_b64 s[26:27], -1
                                        ; implicit-def: $vgpr3
	s_branch .LBB113_467
.LBB113_457:
	s_or_saveexec_b64 s[26:27], s[26:27]
	v_mov_b32_e32 v3, s15
	s_xor_b64 exec, exec, s[26:27]
	s_cbranch_execz .LBB113_440
.LBB113_458:
	v_cmp_ne_u16_e32 vcc, 0, v2
	s_andn2_b64 s[0:1], s[0:1], exec
	s_and_b64 s[28:29], vcc, exec
	v_mov_b32_e32 v3, 0
	s_or_b64 s[0:1], s[0:1], s[28:29]
	s_or_b64 exec, exec, s[26:27]
	s_and_saveexec_b64 s[26:27], s[0:1]
	s_cbranch_execnz .LBB113_441
	s_branch .LBB113_442
.LBB113_459:
	s_mov_b64 s[0:1], -1
                                        ; implicit-def: $vgpr3
	s_branch .LBB113_464
.LBB113_460:
	s_mov_b64 s[0:1], -1
                                        ; implicit-def: $vgpr3
.LBB113_461:
	s_and_b64 vcc, exec, s[0:1]
	s_cbranch_vccz .LBB113_463
; %bb.462:
	global_load_ubyte v2, v[0:1], off
	s_mov_b32 s0, 0x7f800000
	s_waitcnt vmcnt(0)
	v_lshlrev_b32_e32 v2, 24, v2
	v_and_b32_e32 v3, 0x7f000000, v2
	v_ffbh_u32_e32 v8, v3
	v_min_u32_e32 v8, 32, v8
	v_sub_u32_e64 v8, v8, 4 clamp
	v_lshlrev_b32_e32 v10, v8, v3
	v_lshlrev_b32_e32 v8, 23, v8
	v_lshrrev_b32_e32 v10, 4, v10
	v_add_u32_e32 v9, 0x1000000, v3
	v_sub_u32_e32 v8, v10, v8
	v_ashrrev_i32_e32 v9, 8, v9
	v_add_u32_e32 v8, 0x3c000000, v8
	v_and_or_b32 v8, v9, s0, v8
	v_cmp_ne_u32_e32 vcc, 0, v3
	v_cndmask_b32_e32 v3, 0, v8, vcc
	s_brev_b32 s0, 1
	v_and_or_b32 v3, v2, s0, v3
.LBB113_463:
	s_mov_b64 s[0:1], 0
.LBB113_464:
	s_andn2_b64 vcc, exec, s[0:1]
	s_cbranch_vccnz .LBB113_466
; %bb.465:
	global_load_ubyte v2, v[0:1], off
	s_movk_i32 s0, 0x7f00
	s_brev_b32 s1, 16
	s_waitcnt vmcnt(0)
	v_lshlrev_b16_e32 v3, 8, v2
	v_lshlrev_b32_e32 v2, 25, v2
	v_lshrrev_b32_e32 v8, 4, v2
	v_and_or_b32 v9, v3, s0, 0.5
	v_or_b32_e32 v8, 0x70000000, v8
	v_add_f32_e32 v9, -0.5, v9
	v_mul_f32_e32 v8, 0x7800000, v8
	v_cmp_gt_u32_e32 vcc, s1, v2
	v_bfe_i32 v3, v3, 0, 16
	v_cndmask_b32_e32 v2, v8, v9, vcc
	s_brev_b32 s0, 1
	v_and_or_b32 v3, v3, s0, v2
.LBB113_466:
	s_mov_b64 s[26:27], 0
	s_mov_b64 s[0:1], -1
.LBB113_467:
	s_andn2_b64 vcc, exec, s[26:27]
	s_cbranch_vccnz .LBB113_480
; %bb.468:
	v_mov_b32_e32 v2, 14
	v_cmp_gt_i16_sdwa s[26:27], v7, v2 src0_sel:BYTE_0 src1_sel:DWORD
	s_and_b64 vcc, exec, s[26:27]
	s_cbranch_vccz .LBB113_471
; %bb.469:
	v_mov_b32_e32 v2, 15
	v_cmp_eq_u16_sdwa s[24:25], v7, v2 src0_sel:BYTE_0 src1_sel:DWORD
	s_and_b64 vcc, exec, s[24:25]
	s_cbranch_vccz .LBB113_474
; %bb.470:
	global_load_ushort v2, v[0:1], off
	s_mov_b64 s[0:1], -1
	s_mov_b64 s[24:25], 0
	s_waitcnt vmcnt(0)
	v_lshlrev_b32_e32 v3, 16, v2
	s_branch .LBB113_475
.LBB113_471:
	s_mov_b64 s[26:27], -1
                                        ; implicit-def: $vgpr3
	s_branch .LBB113_476
.LBB113_472:
	s_or_saveexec_b64 s[26:27], s[26:27]
	v_mov_b32_e32 v3, s15
	s_xor_b64 exec, exec, s[26:27]
	s_cbranch_execz .LBB113_453
.LBB113_473:
	v_cmp_ne_u16_e32 vcc, 0, v2
	s_andn2_b64 s[0:1], s[0:1], exec
	s_and_b64 s[28:29], vcc, exec
	v_mov_b32_e32 v3, 0
	s_or_b64 s[0:1], s[0:1], s[28:29]
	s_or_b64 exec, exec, s[26:27]
	s_and_saveexec_b64 s[26:27], s[0:1]
	s_cbranch_execnz .LBB113_454
	s_branch .LBB113_455
.LBB113_474:
	s_mov_b64 s[24:25], -1
                                        ; implicit-def: $vgpr3
.LBB113_475:
	s_mov_b64 s[26:27], 0
.LBB113_476:
	s_and_b64 vcc, exec, s[26:27]
	s_cbranch_vccz .LBB113_480
; %bb.477:
	v_mov_b32_e32 v2, 11
	v_cmp_eq_u16_sdwa s[24:25], v7, v2 src0_sel:BYTE_0 src1_sel:DWORD
	s_and_b64 vcc, exec, s[24:25]
	s_cbranch_vccz .LBB113_479
; %bb.478:
	global_load_ubyte v2, v[0:1], off
	s_mov_b64 s[0:1], -1
	s_mov_b64 s[24:25], 0
	s_waitcnt vmcnt(0)
	v_cmp_ne_u16_e32 vcc, 0, v2
	v_cndmask_b32_e64 v3, 0, 1.0, vcc
	s_branch .LBB113_480
.LBB113_479:
	s_mov_b64 s[24:25], -1
                                        ; implicit-def: $vgpr3
.LBB113_480:
	s_branch .LBB113_396
.LBB113_481:
	v_mov_b32_e32 v2, 5
	v_cmp_lt_i16_sdwa s[0:1], v7, v2 src0_sel:BYTE_0 src1_sel:DWORD
	s_and_b64 vcc, exec, s[0:1]
	s_cbranch_vccnz .LBB113_486
; %bb.482:
	v_mov_b32_e32 v2, 8
	v_cmp_lt_i16_sdwa s[0:1], v7, v2 src0_sel:BYTE_0 src1_sel:DWORD
	s_and_b64 vcc, exec, s[0:1]
	s_cbranch_vccnz .LBB113_487
; %bb.483:
	;; [unrolled: 5-line block ×3, first 2 shown]
	v_cmp_gt_i16_sdwa s[0:1], v7, v2 src0_sel:BYTE_0 src1_sel:DWORD
	s_and_b64 vcc, exec, s[0:1]
	s_cbranch_vccz .LBB113_489
; %bb.485:
	global_load_dwordx2 v[2:3], v[0:1], off
	s_mov_b64 s[0:1], 0
	s_waitcnt vmcnt(0)
	v_cvt_f32_f64_e32 v3, v[2:3]
	s_branch .LBB113_490
.LBB113_486:
	s_mov_b64 s[0:1], -1
                                        ; implicit-def: $vgpr3
	s_branch .LBB113_508
.LBB113_487:
	s_mov_b64 s[0:1], -1
                                        ; implicit-def: $vgpr3
	s_branch .LBB113_496
.LBB113_488:
	s_mov_b64 s[0:1], -1
                                        ; implicit-def: $vgpr3
	s_branch .LBB113_493
.LBB113_489:
	s_mov_b64 s[0:1], -1
                                        ; implicit-def: $vgpr3
.LBB113_490:
	s_andn2_b64 vcc, exec, s[0:1]
	s_cbranch_vccnz .LBB113_492
; %bb.491:
	global_load_dword v3, v[0:1], off
.LBB113_492:
	s_mov_b64 s[0:1], 0
.LBB113_493:
	s_andn2_b64 vcc, exec, s[0:1]
	s_cbranch_vccnz .LBB113_495
; %bb.494:
	global_load_dword v2, v[0:1], off
	s_waitcnt vmcnt(0)
	v_cvt_f32_f16_e32 v3, v2
.LBB113_495:
	s_mov_b64 s[0:1], 0
.LBB113_496:
	s_andn2_b64 vcc, exec, s[0:1]
	s_cbranch_vccnz .LBB113_507
; %bb.497:
	v_mov_b32_e32 v2, 6
	v_cmp_lt_i16_sdwa s[0:1], v7, v2 src0_sel:BYTE_0 src1_sel:DWORD
	s_and_b64 vcc, exec, s[0:1]
	s_cbranch_vccnz .LBB113_500
; %bb.498:
	v_cmp_gt_i16_sdwa s[0:1], v7, v2 src0_sel:BYTE_0 src1_sel:DWORD
	s_and_b64 vcc, exec, s[0:1]
	s_cbranch_vccz .LBB113_501
; %bb.499:
	global_load_dwordx2 v[2:3], v[0:1], off
	s_mov_b64 s[0:1], 0
	s_waitcnt vmcnt(0)
	v_cvt_f32_f64_e32 v3, v[2:3]
	s_branch .LBB113_502
.LBB113_500:
	s_mov_b64 s[0:1], -1
                                        ; implicit-def: $vgpr3
	s_branch .LBB113_505
.LBB113_501:
	s_mov_b64 s[0:1], -1
                                        ; implicit-def: $vgpr3
.LBB113_502:
	s_andn2_b64 vcc, exec, s[0:1]
	s_cbranch_vccnz .LBB113_504
; %bb.503:
	global_load_dword v3, v[0:1], off
.LBB113_504:
	s_mov_b64 s[0:1], 0
.LBB113_505:
	s_andn2_b64 vcc, exec, s[0:1]
	s_cbranch_vccnz .LBB113_507
; %bb.506:
	global_load_ushort v2, v[0:1], off
	s_waitcnt vmcnt(0)
	v_cvt_f32_f16_e32 v3, v2
.LBB113_507:
	s_mov_b64 s[0:1], 0
.LBB113_508:
	s_andn2_b64 vcc, exec, s[0:1]
	s_cbranch_vccnz .LBB113_528
; %bb.509:
	v_mov_b32_e32 v2, 2
	v_cmp_lt_i16_sdwa s[0:1], v7, v2 src0_sel:BYTE_0 src1_sel:DWORD
	s_and_b64 vcc, exec, s[0:1]
	s_cbranch_vccnz .LBB113_513
; %bb.510:
	v_mov_b32_e32 v2, 3
	v_cmp_lt_i16_sdwa s[0:1], v7, v2 src0_sel:BYTE_0 src1_sel:DWORD
	s_and_b64 vcc, exec, s[0:1]
	s_cbranch_vccnz .LBB113_514
; %bb.511:
	v_cmp_gt_i16_sdwa s[0:1], v7, v2 src0_sel:BYTE_0 src1_sel:DWORD
	s_and_b64 vcc, exec, s[0:1]
	s_cbranch_vccz .LBB113_515
; %bb.512:
	global_load_dwordx2 v[2:3], v[0:1], off
	s_mov_b64 s[0:1], 0
	s_waitcnt vmcnt(0)
	v_xor_b32_e32 v9, v2, v3
	v_ffbh_i32_e32 v8, v3
	v_ashrrev_i32_e32 v9, 31, v9
	v_add_u32_e32 v8, -1, v8
	v_add_u32_e32 v9, 32, v9
	v_min_u32_e32 v8, v8, v9
	v_lshlrev_b64 v[2:3], v8, v[2:3]
	v_min_u32_e32 v2, 1, v2
	v_or_b32_e32 v2, v3, v2
	v_cvt_f32_i32_e32 v2, v2
	v_sub_u32_e32 v3, 32, v8
	v_ldexp_f32 v3, v2, v3
	s_branch .LBB113_516
.LBB113_513:
	s_mov_b64 s[0:1], -1
                                        ; implicit-def: $vgpr3
	s_branch .LBB113_522
.LBB113_514:
	s_mov_b64 s[0:1], -1
                                        ; implicit-def: $vgpr3
	s_branch .LBB113_519
.LBB113_515:
	s_mov_b64 s[0:1], -1
                                        ; implicit-def: $vgpr3
.LBB113_516:
	s_andn2_b64 vcc, exec, s[0:1]
	s_cbranch_vccnz .LBB113_518
; %bb.517:
	global_load_dword v2, v[0:1], off
	s_waitcnt vmcnt(0)
	v_cvt_f32_i32_e32 v3, v2
.LBB113_518:
	s_mov_b64 s[0:1], 0
.LBB113_519:
	s_andn2_b64 vcc, exec, s[0:1]
	s_cbranch_vccnz .LBB113_521
; %bb.520:
	global_load_sshort v2, v[0:1], off
	s_waitcnt vmcnt(0)
	v_cvt_f32_i32_e32 v3, v2
.LBB113_521:
	s_mov_b64 s[0:1], 0
.LBB113_522:
	s_andn2_b64 vcc, exec, s[0:1]
	s_cbranch_vccnz .LBB113_528
; %bb.523:
	v_mov_b32_e32 v2, 0
	v_cmp_gt_i16_sdwa s[0:1], v7, v2 src0_sel:BYTE_0 src1_sel:DWORD
	s_and_b64 vcc, exec, s[0:1]
	s_cbranch_vccz .LBB113_525
; %bb.524:
	global_load_sbyte v2, v[0:1], off
	s_mov_b64 s[0:1], 0
	s_waitcnt vmcnt(0)
	v_cvt_f32_i32_e32 v3, v2
	s_branch .LBB113_526
.LBB113_525:
	s_mov_b64 s[0:1], -1
                                        ; implicit-def: $vgpr3
.LBB113_526:
	s_andn2_b64 vcc, exec, s[0:1]
	s_cbranch_vccnz .LBB113_528
; %bb.527:
	global_load_ubyte v0, v[0:1], off
	s_waitcnt vmcnt(0)
	v_cvt_f32_ubyte0_e32 v3, v0
.LBB113_528:
	s_branch .LBB113_397
.LBB113_529:
	s_mov_b64 s[34:35], 0
	s_mov_b64 s[0:1], s[6:7]
	;; [unrolled: 1-line block ×3, first 2 shown]
.LBB113_530:
                                        ; implicit-def: $vgpr5
	s_branch .LBB113_772
.LBB113_531:
	s_or_saveexec_b64 s[28:29], s[28:29]
                                        ; implicit-def: $sgpr15
	s_xor_b64 exec, exec, s[28:29]
	s_cbranch_execz .LBB113_193
.LBB113_532:
	s_mov_b32 s15, 0x42800000
	v_add_f32_e64 v8, |v3|, s15
	v_and_b32_e32 v8, 0xff, v8
	v_cmp_ne_u32_e32 vcc, 0, v8
	s_andn2_b64 s[24:25], s[24:25], exec
	s_and_b64 s[30:31], vcc, exec
	s_mov_b32 s15, 0
	s_or_b64 s[24:25], s[24:25], s[30:31]
	s_or_b64 exec, exec, s[28:29]
	v_mov_b32_e32 v9, s15
	s_and_saveexec_b64 s[28:29], s[24:25]
	s_cbranch_execnz .LBB113_194
	s_branch .LBB113_195
.LBB113_533:
	s_mov_b64 s[26:27], -1
                                        ; implicit-def: $vgpr2
	s_mov_b64 s[0:1], 0
.LBB113_534:
	s_and_b64 vcc, exec, s[28:29]
	s_cbranch_vccz .LBB113_538
; %bb.535:
	v_mov_b32_e32 v2, 44
	v_cmp_eq_u16_sdwa s[26:27], v6, v2 src0_sel:BYTE_0 src1_sel:DWORD
	s_and_b64 vcc, exec, s[26:27]
	s_cbranch_vccz .LBB113_537
; %bb.536:
	global_load_ubyte v2, v[0:1], off
	s_movk_i32 s15, 0xff
	v_mov_b32_e32 v8, 0x7f800001
	v_mov_b32_e32 v9, 0x400000
	s_mov_b64 s[0:1], -1
	s_mov_b64 s[26:27], 0
	s_waitcnt vmcnt(0)
	v_lshlrev_b32_e32 v10, 23, v2
	v_cmp_ne_u32_e32 vcc, s15, v2
	v_cndmask_b32_e32 v8, v8, v10, vcc
	v_cmp_ne_u32_e32 vcc, 0, v2
	v_cndmask_b32_e32 v2, v9, v8, vcc
	s_branch .LBB113_538
.LBB113_537:
	s_mov_b64 s[26:27], -1
                                        ; implicit-def: $vgpr2
.LBB113_538:
	s_mov_b64 s[28:29], 0
.LBB113_539:
	s_and_b64 vcc, exec, s[28:29]
	s_cbranch_vccz .LBB113_543
; %bb.540:
	v_mov_b32_e32 v2, 29
	v_cmp_eq_u16_sdwa s[26:27], v6, v2 src0_sel:BYTE_0 src1_sel:DWORD
	s_and_b64 vcc, exec, s[26:27]
	s_cbranch_vccz .LBB113_542
; %bb.541:
	global_load_dwordx2 v[8:9], v[0:1], off
	s_mov_b64 s[0:1], -1
	s_mov_b64 s[26:27], 0
	s_mov_b64 s[28:29], 0
	s_waitcnt vmcnt(0)
	v_ffbh_u32_e32 v2, v9
	v_min_u32_e32 v2, 32, v2
	v_lshlrev_b64 v[8:9], v2, v[8:9]
	v_min_u32_e32 v8, 1, v8
	v_or_b32_e32 v8, v9, v8
	v_cvt_f32_u32_e32 v8, v8
	v_sub_u32_e32 v2, 32, v2
	v_ldexp_f32 v2, v8, v2
	s_branch .LBB113_544
.LBB113_542:
	s_mov_b64 s[26:27], -1
                                        ; implicit-def: $vgpr2
.LBB113_543:
	s_mov_b64 s[28:29], 0
.LBB113_544:
	s_and_b64 vcc, exec, s[28:29]
	s_cbranch_vccz .LBB113_562
; %bb.545:
	v_mov_b32_e32 v2, 27
	v_cmp_lt_i16_sdwa s[0:1], v6, v2 src0_sel:BYTE_0 src1_sel:DWORD
	s_and_b64 vcc, exec, s[0:1]
	s_cbranch_vccnz .LBB113_548
; %bb.546:
	v_cmp_gt_i16_sdwa s[0:1], v6, v2 src0_sel:BYTE_0 src1_sel:DWORD
	s_and_b64 vcc, exec, s[0:1]
	s_cbranch_vccz .LBB113_549
; %bb.547:
	global_load_dword v2, v[0:1], off
	s_mov_b64 s[0:1], 0
	s_waitcnt vmcnt(0)
	v_cvt_f32_u32_e32 v2, v2
	s_branch .LBB113_550
.LBB113_548:
	s_mov_b64 s[0:1], -1
                                        ; implicit-def: $vgpr2
	s_branch .LBB113_553
.LBB113_549:
	s_mov_b64 s[0:1], -1
                                        ; implicit-def: $vgpr2
.LBB113_550:
	s_andn2_b64 vcc, exec, s[0:1]
	s_cbranch_vccnz .LBB113_552
; %bb.551:
	global_load_ushort v2, v[0:1], off
	s_waitcnt vmcnt(0)
	v_cvt_f32_u32_e32 v2, v2
.LBB113_552:
	s_mov_b64 s[0:1], 0
.LBB113_553:
	s_andn2_b64 vcc, exec, s[0:1]
	s_cbranch_vccnz .LBB113_561
; %bb.554:
	global_load_ubyte v8, v[0:1], off
	s_movk_i32 s0, 0x7f
                                        ; implicit-def: $sgpr15
	s_waitcnt vmcnt(0)
	v_cmp_lt_i16_e32 vcc, s0, v8
	s_mov_b64 s[0:1], 0
	s_and_saveexec_b64 s[28:29], vcc
	s_xor_b64 s[28:29], exec, s[28:29]
	s_cbranch_execz .LBB113_575
; %bb.555:
	s_movk_i32 s0, 0x80
	v_cmp_eq_u16_e32 vcc, s0, v8
	s_mov_b64 s[0:1], -1
                                        ; implicit-def: $sgpr15
	s_and_saveexec_b64 s[34:35], vcc
; %bb.556:
	s_mov_b32 s15, 0x7f800001
	s_xor_b64 s[0:1], exec, -1
; %bb.557:
	s_or_b64 exec, exec, s[34:35]
	s_and_b64 s[0:1], s[0:1], exec
	s_or_saveexec_b64 s[28:29], s[28:29]
	v_mov_b32_e32 v2, s15
	s_xor_b64 exec, exec, s[28:29]
	s_cbranch_execnz .LBB113_576
.LBB113_558:
	s_or_b64 exec, exec, s[28:29]
	s_and_saveexec_b64 s[28:29], s[0:1]
	s_cbranch_execz .LBB113_560
.LBB113_559:
	v_lshlrev_b32_e32 v2, 24, v8
	v_and_b32_e32 v8, 0xffff, v8
	v_and_b32_e32 v9, 7, v8
	v_ffbh_u32_e32 v11, v9
	v_min_u32_e32 v11, 32, v11
	v_subrev_u32_e32 v12, 28, v11
	v_bfe_u32 v10, v8, 3, 4
	v_lshlrev_b32_e32 v8, v12, v8
	v_sub_u32_e32 v11, 29, v11
	v_and_b32_e32 v8, 7, v8
	v_cmp_eq_u32_e32 vcc, 0, v10
	v_cndmask_b32_e32 v10, v10, v11, vcc
	v_cndmask_b32_e32 v8, v9, v8, vcc
	v_mov_b32_e32 v9, 0x3b800000
	v_lshlrev_b32_e32 v8, 20, v8
	v_and_b32_e32 v2, 0x80000000, v2
	v_lshl_add_u32 v9, v10, 23, v9
	v_or3_b32 v2, v2, v9, v8
.LBB113_560:
	s_or_b64 exec, exec, s[28:29]
.LBB113_561:
	s_mov_b64 s[0:1], -1
.LBB113_562:
	s_mov_b64 s[28:29], 0
.LBB113_563:
	s_and_b64 vcc, exec, s[28:29]
	s_cbranch_vccz .LBB113_598
; %bb.564:
	v_mov_b32_e32 v2, 22
	v_cmp_gt_i16_sdwa s[28:29], v6, v2 src0_sel:BYTE_0 src1_sel:DWORD
	s_and_b64 vcc, exec, s[28:29]
	s_cbranch_vccz .LBB113_574
; %bb.565:
	v_mov_b32_e32 v2, 24
	v_cmp_lt_i16_sdwa s[0:1], v6, v2 src0_sel:BYTE_0 src1_sel:DWORD
	s_and_b64 vcc, exec, s[0:1]
	s_cbranch_vccnz .LBB113_577
; %bb.566:
	v_cmp_gt_i16_sdwa s[0:1], v6, v2 src0_sel:BYTE_0 src1_sel:DWORD
	s_and_b64 vcc, exec, s[0:1]
	s_cbranch_vccz .LBB113_578
; %bb.567:
	global_load_ubyte v8, v[0:1], off
	s_movk_i32 s0, 0x7f
                                        ; implicit-def: $sgpr15
	s_waitcnt vmcnt(0)
	v_cmp_lt_i16_e32 vcc, s0, v8
	s_mov_b64 s[0:1], 0
	s_and_saveexec_b64 s[28:29], vcc
	s_xor_b64 s[28:29], exec, s[28:29]
	s_cbranch_execz .LBB113_590
; %bb.568:
	s_movk_i32 s0, 0x80
	v_cmp_eq_u16_e32 vcc, s0, v8
	s_mov_b64 s[0:1], -1
                                        ; implicit-def: $sgpr15
	s_and_saveexec_b64 s[34:35], vcc
; %bb.569:
	s_mov_b32 s15, 0x7f800001
	s_xor_b64 s[0:1], exec, -1
; %bb.570:
	s_or_b64 exec, exec, s[34:35]
	s_and_b64 s[0:1], s[0:1], exec
	s_or_saveexec_b64 s[28:29], s[28:29]
	v_mov_b32_e32 v2, s15
	s_xor_b64 exec, exec, s[28:29]
	s_cbranch_execnz .LBB113_591
.LBB113_571:
	s_or_b64 exec, exec, s[28:29]
	s_and_saveexec_b64 s[28:29], s[0:1]
	s_cbranch_execz .LBB113_573
.LBB113_572:
	v_lshlrev_b32_e32 v2, 24, v8
	v_and_b32_e32 v8, 0xffff, v8
	v_and_b32_e32 v9, 3, v8
	v_ffbh_u32_e32 v11, v9
	v_min_u32_e32 v11, 32, v11
	v_subrev_u32_e32 v12, 29, v11
	v_bfe_u32 v10, v8, 2, 5
	v_lshlrev_b32_e32 v8, v12, v8
	v_sub_u32_e32 v11, 30, v11
	v_and_b32_e32 v8, 3, v8
	v_cmp_eq_u32_e32 vcc, 0, v10
	v_cndmask_b32_e32 v10, v10, v11, vcc
	v_cndmask_b32_e32 v8, v9, v8, vcc
	v_mov_b32_e32 v9, 0x37800000
	v_lshlrev_b32_e32 v8, 21, v8
	v_and_b32_e32 v2, 0x80000000, v2
	v_lshl_add_u32 v9, v10, 23, v9
	v_or3_b32 v2, v2, v9, v8
.LBB113_573:
	s_or_b64 exec, exec, s[28:29]
	s_mov_b64 s[0:1], 0
	s_branch .LBB113_579
.LBB113_574:
	s_mov_b64 s[28:29], -1
                                        ; implicit-def: $vgpr2
	s_branch .LBB113_585
.LBB113_575:
	s_or_saveexec_b64 s[28:29], s[28:29]
	v_mov_b32_e32 v2, s15
	s_xor_b64 exec, exec, s[28:29]
	s_cbranch_execz .LBB113_558
.LBB113_576:
	v_cmp_ne_u16_e32 vcc, 0, v8
	s_andn2_b64 s[0:1], s[0:1], exec
	s_and_b64 s[34:35], vcc, exec
	v_mov_b32_e32 v2, 0
	s_or_b64 s[0:1], s[0:1], s[34:35]
	s_or_b64 exec, exec, s[28:29]
	s_and_saveexec_b64 s[28:29], s[0:1]
	s_cbranch_execnz .LBB113_559
	s_branch .LBB113_560
.LBB113_577:
	s_mov_b64 s[0:1], -1
                                        ; implicit-def: $vgpr2
	s_branch .LBB113_582
.LBB113_578:
	s_mov_b64 s[0:1], -1
                                        ; implicit-def: $vgpr2
.LBB113_579:
	s_and_b64 vcc, exec, s[0:1]
	s_cbranch_vccz .LBB113_581
; %bb.580:
	global_load_ubyte v2, v[0:1], off
	s_mov_b32 s0, 0x7f800000
	s_waitcnt vmcnt(0)
	v_lshlrev_b32_e32 v2, 24, v2
	v_and_b32_e32 v8, 0x7f000000, v2
	v_ffbh_u32_e32 v9, v8
	v_min_u32_e32 v9, 32, v9
	v_sub_u32_e64 v9, v9, 4 clamp
	v_lshlrev_b32_e32 v11, v9, v8
	v_lshlrev_b32_e32 v9, 23, v9
	v_lshrrev_b32_e32 v11, 4, v11
	v_add_u32_e32 v10, 0x1000000, v8
	v_sub_u32_e32 v9, v11, v9
	v_ashrrev_i32_e32 v10, 8, v10
	v_add_u32_e32 v9, 0x3c000000, v9
	v_and_or_b32 v9, v10, s0, v9
	v_cmp_ne_u32_e32 vcc, 0, v8
	v_cndmask_b32_e32 v8, 0, v9, vcc
	s_brev_b32 s0, 1
	v_and_or_b32 v2, v2, s0, v8
.LBB113_581:
	s_mov_b64 s[0:1], 0
.LBB113_582:
	s_andn2_b64 vcc, exec, s[0:1]
	s_cbranch_vccnz .LBB113_584
; %bb.583:
	global_load_ubyte v2, v[0:1], off
	s_movk_i32 s0, 0x7f00
	s_brev_b32 s1, 16
	s_waitcnt vmcnt(0)
	v_lshlrev_b16_e32 v8, 8, v2
	v_lshlrev_b32_e32 v2, 25, v2
	v_lshrrev_b32_e32 v9, 4, v2
	v_and_or_b32 v10, v8, s0, 0.5
	v_or_b32_e32 v9, 0x70000000, v9
	v_add_f32_e32 v10, -0.5, v10
	v_mul_f32_e32 v9, 0x7800000, v9
	v_cmp_gt_u32_e32 vcc, s1, v2
	v_bfe_i32 v8, v8, 0, 16
	v_cndmask_b32_e32 v2, v9, v10, vcc
	s_brev_b32 s0, 1
	v_and_or_b32 v2, v8, s0, v2
.LBB113_584:
	s_mov_b64 s[28:29], 0
	s_mov_b64 s[0:1], -1
.LBB113_585:
	s_andn2_b64 vcc, exec, s[28:29]
	s_cbranch_vccnz .LBB113_598
; %bb.586:
	v_mov_b32_e32 v2, 14
	v_cmp_gt_i16_sdwa s[28:29], v6, v2 src0_sel:BYTE_0 src1_sel:DWORD
	s_and_b64 vcc, exec, s[28:29]
	s_cbranch_vccz .LBB113_589
; %bb.587:
	v_mov_b32_e32 v2, 15
	v_cmp_eq_u16_sdwa s[26:27], v6, v2 src0_sel:BYTE_0 src1_sel:DWORD
	s_and_b64 vcc, exec, s[26:27]
	s_cbranch_vccz .LBB113_592
; %bb.588:
	global_load_ushort v2, v[0:1], off
	s_mov_b64 s[0:1], -1
	s_mov_b64 s[26:27], 0
	s_waitcnt vmcnt(0)
	v_lshlrev_b32_e32 v2, 16, v2
	s_branch .LBB113_593
.LBB113_589:
	s_mov_b64 s[28:29], -1
                                        ; implicit-def: $vgpr2
	s_branch .LBB113_594
.LBB113_590:
	s_or_saveexec_b64 s[28:29], s[28:29]
	v_mov_b32_e32 v2, s15
	s_xor_b64 exec, exec, s[28:29]
	s_cbranch_execz .LBB113_571
.LBB113_591:
	v_cmp_ne_u16_e32 vcc, 0, v8
	s_andn2_b64 s[0:1], s[0:1], exec
	s_and_b64 s[34:35], vcc, exec
	v_mov_b32_e32 v2, 0
	s_or_b64 s[0:1], s[0:1], s[34:35]
	s_or_b64 exec, exec, s[28:29]
	s_and_saveexec_b64 s[28:29], s[0:1]
	s_cbranch_execnz .LBB113_572
	s_branch .LBB113_573
.LBB113_592:
	s_mov_b64 s[26:27], -1
                                        ; implicit-def: $vgpr2
.LBB113_593:
	s_mov_b64 s[28:29], 0
.LBB113_594:
	s_and_b64 vcc, exec, s[28:29]
	s_cbranch_vccz .LBB113_598
; %bb.595:
	v_mov_b32_e32 v2, 11
	v_cmp_eq_u16_sdwa s[26:27], v6, v2 src0_sel:BYTE_0 src1_sel:DWORD
	s_and_b64 vcc, exec, s[26:27]
	s_cbranch_vccz .LBB113_597
; %bb.596:
	global_load_ubyte v2, v[0:1], off
	s_mov_b64 s[0:1], -1
	s_mov_b64 s[26:27], 0
	s_waitcnt vmcnt(0)
	v_cmp_ne_u16_e32 vcc, 0, v2
	v_cndmask_b32_e64 v2, 0, 1.0, vcc
	s_branch .LBB113_598
.LBB113_597:
	s_mov_b64 s[26:27], -1
                                        ; implicit-def: $vgpr2
.LBB113_598:
	s_mov_b64 s[28:29], 0
.LBB113_599:
	s_and_b64 vcc, exec, s[28:29]
	s_cbranch_vccz .LBB113_648
; %bb.600:
	v_mov_b32_e32 v2, 5
	v_cmp_lt_i16_sdwa s[0:1], v6, v2 src0_sel:BYTE_0 src1_sel:DWORD
	s_and_b64 vcc, exec, s[0:1]
	s_cbranch_vccnz .LBB113_605
; %bb.601:
	v_mov_b32_e32 v2, 8
	v_cmp_lt_i16_sdwa s[0:1], v6, v2 src0_sel:BYTE_0 src1_sel:DWORD
	s_and_b64 vcc, exec, s[0:1]
	s_cbranch_vccnz .LBB113_606
	;; [unrolled: 5-line block ×3, first 2 shown]
; %bb.603:
	v_cmp_gt_i16_sdwa s[0:1], v6, v2 src0_sel:BYTE_0 src1_sel:DWORD
	s_and_b64 vcc, exec, s[0:1]
	s_cbranch_vccz .LBB113_608
; %bb.604:
	global_load_dwordx2 v[8:9], v[0:1], off
	s_mov_b64 s[0:1], 0
	s_waitcnt vmcnt(0)
	v_cvt_f32_f64_e32 v2, v[8:9]
	s_branch .LBB113_609
.LBB113_605:
	s_mov_b64 s[0:1], -1
                                        ; implicit-def: $vgpr2
	s_branch .LBB113_627
.LBB113_606:
	s_mov_b64 s[0:1], -1
                                        ; implicit-def: $vgpr2
	s_branch .LBB113_615
.LBB113_607:
	s_mov_b64 s[0:1], -1
                                        ; implicit-def: $vgpr2
	s_branch .LBB113_612
.LBB113_608:
	s_mov_b64 s[0:1], -1
                                        ; implicit-def: $vgpr2
.LBB113_609:
	s_andn2_b64 vcc, exec, s[0:1]
	s_cbranch_vccnz .LBB113_611
; %bb.610:
	global_load_dword v2, v[0:1], off
.LBB113_611:
	s_mov_b64 s[0:1], 0
.LBB113_612:
	s_andn2_b64 vcc, exec, s[0:1]
	s_cbranch_vccnz .LBB113_614
; %bb.613:
	global_load_dword v2, v[0:1], off
	s_waitcnt vmcnt(0)
	v_cvt_f32_f16_e32 v2, v2
.LBB113_614:
	s_mov_b64 s[0:1], 0
.LBB113_615:
	s_andn2_b64 vcc, exec, s[0:1]
	s_cbranch_vccnz .LBB113_626
; %bb.616:
	s_waitcnt vmcnt(0)
	v_mov_b32_e32 v2, 6
	v_cmp_lt_i16_sdwa s[0:1], v6, v2 src0_sel:BYTE_0 src1_sel:DWORD
	s_and_b64 vcc, exec, s[0:1]
	s_cbranch_vccnz .LBB113_619
; %bb.617:
	v_cmp_gt_i16_sdwa s[0:1], v6, v2 src0_sel:BYTE_0 src1_sel:DWORD
	s_and_b64 vcc, exec, s[0:1]
	s_cbranch_vccz .LBB113_620
; %bb.618:
	global_load_dwordx2 v[8:9], v[0:1], off
	s_mov_b64 s[0:1], 0
	s_waitcnt vmcnt(0)
	v_cvt_f32_f64_e32 v2, v[8:9]
	s_branch .LBB113_621
.LBB113_619:
	s_mov_b64 s[0:1], -1
                                        ; implicit-def: $vgpr2
	s_branch .LBB113_624
.LBB113_620:
	s_mov_b64 s[0:1], -1
                                        ; implicit-def: $vgpr2
.LBB113_621:
	s_andn2_b64 vcc, exec, s[0:1]
	s_cbranch_vccnz .LBB113_623
; %bb.622:
	global_load_dword v2, v[0:1], off
.LBB113_623:
	s_mov_b64 s[0:1], 0
.LBB113_624:
	s_andn2_b64 vcc, exec, s[0:1]
	s_cbranch_vccnz .LBB113_626
; %bb.625:
	global_load_ushort v2, v[0:1], off
	s_waitcnt vmcnt(0)
	v_cvt_f32_f16_e32 v2, v2
.LBB113_626:
	s_mov_b64 s[0:1], 0
.LBB113_627:
	s_andn2_b64 vcc, exec, s[0:1]
	s_cbranch_vccnz .LBB113_647
; %bb.628:
	s_waitcnt vmcnt(0)
	v_mov_b32_e32 v2, 2
	v_cmp_lt_i16_sdwa s[0:1], v6, v2 src0_sel:BYTE_0 src1_sel:DWORD
	s_and_b64 vcc, exec, s[0:1]
	s_cbranch_vccnz .LBB113_632
; %bb.629:
	v_mov_b32_e32 v2, 3
	v_cmp_lt_i16_sdwa s[0:1], v6, v2 src0_sel:BYTE_0 src1_sel:DWORD
	s_and_b64 vcc, exec, s[0:1]
	s_cbranch_vccnz .LBB113_633
; %bb.630:
	v_cmp_gt_i16_sdwa s[0:1], v6, v2 src0_sel:BYTE_0 src1_sel:DWORD
	s_and_b64 vcc, exec, s[0:1]
	s_cbranch_vccz .LBB113_634
; %bb.631:
	global_load_dwordx2 v[8:9], v[0:1], off
	s_mov_b64 s[0:1], 0
	s_waitcnt vmcnt(0)
	v_xor_b32_e32 v10, v8, v9
	v_ffbh_i32_e32 v2, v9
	v_ashrrev_i32_e32 v10, 31, v10
	v_add_u32_e32 v2, -1, v2
	v_add_u32_e32 v10, 32, v10
	v_min_u32_e32 v2, v2, v10
	v_lshlrev_b64 v[8:9], v2, v[8:9]
	v_min_u32_e32 v8, 1, v8
	v_or_b32_e32 v8, v9, v8
	v_cvt_f32_i32_e32 v8, v8
	v_sub_u32_e32 v2, 32, v2
	v_ldexp_f32 v2, v8, v2
	s_branch .LBB113_635
.LBB113_632:
	s_mov_b64 s[0:1], -1
                                        ; implicit-def: $vgpr2
	s_branch .LBB113_641
.LBB113_633:
	s_mov_b64 s[0:1], -1
                                        ; implicit-def: $vgpr2
	s_branch .LBB113_638
.LBB113_634:
	s_mov_b64 s[0:1], -1
                                        ; implicit-def: $vgpr2
.LBB113_635:
	s_andn2_b64 vcc, exec, s[0:1]
	s_cbranch_vccnz .LBB113_637
; %bb.636:
	global_load_dword v2, v[0:1], off
	s_waitcnt vmcnt(0)
	v_cvt_f32_i32_e32 v2, v2
.LBB113_637:
	s_mov_b64 s[0:1], 0
.LBB113_638:
	s_andn2_b64 vcc, exec, s[0:1]
	s_cbranch_vccnz .LBB113_640
; %bb.639:
	global_load_sshort v2, v[0:1], off
	s_waitcnt vmcnt(0)
	v_cvt_f32_i32_e32 v2, v2
.LBB113_640:
	s_mov_b64 s[0:1], 0
.LBB113_641:
	s_andn2_b64 vcc, exec, s[0:1]
	s_cbranch_vccnz .LBB113_647
; %bb.642:
	v_mov_b32_e32 v2, 0
	v_cmp_gt_i16_sdwa s[0:1], v6, v2 src0_sel:BYTE_0 src1_sel:DWORD
	s_and_b64 vcc, exec, s[0:1]
	s_cbranch_vccz .LBB113_644
; %bb.643:
	global_load_sbyte v2, v[0:1], off
	s_mov_b64 s[0:1], 0
	s_waitcnt vmcnt(0)
	v_cvt_f32_i32_e32 v2, v2
	s_branch .LBB113_645
.LBB113_644:
	s_mov_b64 s[0:1], -1
                                        ; implicit-def: $vgpr2
.LBB113_645:
	s_andn2_b64 vcc, exec, s[0:1]
	s_cbranch_vccnz .LBB113_647
; %bb.646:
	global_load_ubyte v0, v[0:1], off
	s_waitcnt vmcnt(0)
	v_cvt_f32_ubyte0_e32 v2, v0
.LBB113_647:
	s_mov_b64 s[0:1], -1
.LBB113_648:
	s_andn2_b64 vcc, exec, s[0:1]
	s_cbranch_vccnz .LBB113_656
; %bb.649:
	v_mul_lo_u32 v0, v5, s12
	v_ashrrev_i32_e32 v1, 31, v0
	v_mov_b32_e32 v8, s9
	v_add_co_u32_e32 v0, vcc, s8, v0
	s_brev_b32 s0, -2
	v_addc_co_u32_e32 v1, vcc, v8, v1, vcc
	v_mov_b32_e32 v8, 11
	s_waitcnt vmcnt(0)
	v_bfi_b32 v2, s0, v3, v2
	v_cmp_lt_i16_sdwa s[0:1], v4, v8 src0_sel:BYTE_0 src1_sel:DWORD
	s_and_b64 vcc, exec, s[0:1]
	s_cbranch_vccnz .LBB113_657
; %bb.650:
	v_mov_b32_e32 v8, 25
	v_cmp_gt_i16_sdwa s[0:1], v4, v8 src0_sel:BYTE_0 src1_sel:DWORD
	s_and_b64 vcc, exec, s[0:1]
	s_cbranch_vccz .LBB113_658
; %bb.651:
	v_mov_b32_e32 v8, 28
	v_cmp_gt_i16_sdwa s[0:1], v4, v8 src0_sel:BYTE_0 src1_sel:DWORD
	s_and_b64 vcc, exec, s[0:1]
	s_cbranch_vccz .LBB113_659
	;; [unrolled: 5-line block ×4, first 2 shown]
; %bb.654:
	v_mov_b32_e32 v8, 46
	v_cmp_eq_u16_sdwa s[28:29], v4, v8 src0_sel:BYTE_0 src1_sel:DWORD
	s_mov_b64 s[34:35], 0
	s_mov_b64 s[0:1], -1
	s_and_b64 vcc, exec, s[28:29]
	s_mov_b64 s[28:29], 0
	s_cbranch_vccz .LBB113_662
; %bb.655:
	v_bfe_u32 v8, v2, 16, 1
	s_movk_i32 s0, 0x7fff
	v_add3_u32 v8, v2, v8, s0
	v_lshrrev_b32_e32 v8, 16, v8
	v_mov_b32_e32 v9, 0x7fc0
	v_cmp_o_f32_e32 vcc, v2, v2
	v_cndmask_b32_e32 v8, v9, v8, vcc
	global_store_dword v[0:1], v8, off
	s_mov_b64 s[28:29], -1
	s_mov_b64 s[0:1], 0
	s_branch .LBB113_662
.LBB113_656:
	s_mov_b64 s[34:35], 0
                                        ; implicit-def: $vgpr5
	s_mov_b64 s[0:1], s[6:7]
	s_branch .LBB113_772
.LBB113_657:
	s_mov_b64 s[34:35], -1
	s_mov_b64 s[28:29], 0
	s_mov_b64 s[0:1], s[6:7]
	s_branch .LBB113_731
.LBB113_658:
	s_mov_b64 s[34:35], -1
	s_mov_b64 s[28:29], 0
	s_mov_b64 s[0:1], s[6:7]
	s_branch .LBB113_689
.LBB113_659:
	s_mov_b64 s[34:35], -1
	s_mov_b64 s[28:29], 0
	s_mov_b64 s[0:1], s[6:7]
	s_branch .LBB113_672
.LBB113_660:
	s_mov_b64 s[34:35], -1
	s_mov_b64 s[28:29], 0
	s_mov_b64 s[0:1], s[6:7]
	s_branch .LBB113_668
.LBB113_661:
	s_mov_b64 s[34:35], -1
	s_mov_b64 s[28:29], 0
	s_mov_b64 s[0:1], s[6:7]
.LBB113_662:
	s_and_b64 vcc, exec, s[34:35]
	s_cbranch_vccz .LBB113_667
; %bb.663:
	v_mov_b32_e32 v8, 44
	v_cmp_eq_u16_sdwa s[34:35], v4, v8 src0_sel:BYTE_0 src1_sel:DWORD
	s_mov_b64 s[0:1], -1
	s_and_b64 vcc, exec, s[34:35]
	s_cbranch_vccz .LBB113_667
; %bb.664:
	v_bfe_u32 v8, v2, 23, 8
	s_movk_i32 s0, 0xff
	v_cmp_ne_u32_e32 vcc, s0, v8
	v_mov_b32_e32 v9, 0xff
	s_and_saveexec_b64 s[28:29], vcc
; %bb.665:
	s_mov_b32 s0, 0x3fffff
	v_and_b32_e32 v10, 0x400000, v2
	v_and_or_b32 v8, v2, s0, v8
	v_cmp_ne_u32_e32 vcc, 0, v10
	v_cmp_ne_u32_e64 s[0:1], 0, v8
	s_and_b64 s[0:1], vcc, s[0:1]
	v_lshrrev_b32_e32 v9, 23, v2
	v_cndmask_b32_e64 v8, 0, 1, s[0:1]
	v_add_u32_e32 v9, v9, v8
; %bb.666:
	s_or_b64 exec, exec, s[28:29]
	s_mov_b64 s[28:29], -1
	s_mov_b64 s[0:1], 0
	global_store_byte v[0:1], v9, off
.LBB113_667:
	s_mov_b64 s[34:35], 0
.LBB113_668:
	s_and_b64 vcc, exec, s[34:35]
	s_cbranch_vccz .LBB113_671
; %bb.669:
	v_mov_b32_e32 v8, 29
	v_cmp_eq_u16_sdwa s[34:35], v4, v8 src0_sel:BYTE_0 src1_sel:DWORD
	s_mov_b64 s[0:1], -1
	s_and_b64 vcc, exec, s[34:35]
	s_cbranch_vccz .LBB113_671
; %bb.670:
	v_trunc_f32_e32 v8, v2
	v_mul_f32_e32 v9, 0x2f800000, v8
	v_floor_f32_e32 v10, v9
	v_fmac_f32_e32 v8, 0xcf800000, v10
	v_cvt_u32_f32_e32 v9, v10
	v_cvt_u32_f32_e32 v8, v8
	s_mov_b64 s[28:29], -1
	s_mov_b64 s[0:1], 0
	s_mov_b64 s[34:35], 0
	global_store_dwordx2 v[0:1], v[8:9], off
	s_branch .LBB113_672
.LBB113_671:
	s_mov_b64 s[34:35], 0
.LBB113_672:
	s_and_b64 vcc, exec, s[34:35]
	s_cbranch_vccz .LBB113_688
; %bb.673:
	v_mov_b32_e32 v8, 27
	v_cmp_lt_i16_sdwa s[34:35], v4, v8 src0_sel:BYTE_0 src1_sel:DWORD
	s_mov_b64 s[28:29], -1
	s_and_b64 vcc, exec, s[34:35]
	s_cbranch_vccnz .LBB113_679
; %bb.674:
	v_cmp_gt_i16_sdwa s[34:35], v4, v8 src0_sel:BYTE_0 src1_sel:DWORD
	v_cvt_u32_f32_e32 v8, v2
	s_and_b64 vcc, exec, s[34:35]
	s_cbranch_vccz .LBB113_676
; %bb.675:
	s_mov_b64 s[28:29], 0
	global_store_dword v[0:1], v8, off
.LBB113_676:
	s_andn2_b64 vcc, exec, s[28:29]
	s_cbranch_vccnz .LBB113_678
; %bb.677:
	global_store_short v[0:1], v8, off
.LBB113_678:
	s_mov_b64 s[28:29], 0
.LBB113_679:
	s_andn2_b64 vcc, exec, s[28:29]
	s_cbranch_vccnz .LBB113_687
; %bb.680:
	v_and_b32_e32 v8, 0x7fffffff, v3
	s_mov_b32 s15, 0x43800000
	v_cmp_gt_u32_e32 vcc, s15, v8
	v_mov_b32_e32 v9, 0x80
	s_and_saveexec_b64 s[28:29], vcc
	s_cbranch_execz .LBB113_686
; %bb.681:
	s_mov_b32 s15, 0x3bffffff
	v_cmp_lt_u32_e32 vcc, s15, v8
	s_mov_b64 s[34:35], 0
                                        ; implicit-def: $vgpr8
	s_and_saveexec_b64 s[36:37], vcc
	s_xor_b64 s[36:37], exec, s[36:37]
	s_cbranch_execz .LBB113_788
; %bb.682:
	v_bfe_u32 v8, v2, 20, 1
	s_mov_b32 s15, 0x487ffff
	v_add3_u32 v8, v2, v8, s15
	s_mov_b64 s[34:35], exec
	v_lshrrev_b32_e32 v8, 20, v8
	s_or_saveexec_b64 s[36:37], s[36:37]
                                        ; implicit-def: $sgpr15
	s_xor_b64 exec, exec, s[36:37]
	s_cbranch_execnz .LBB113_789
.LBB113_683:
	s_or_b64 exec, exec, s[36:37]
	v_mov_b32_e32 v9, s15
	s_and_saveexec_b64 s[36:37], s[34:35]
.LBB113_684:
	v_lshrrev_b32_e32 v9, 24, v2
	s_movk_i32 s15, 0x80
	v_and_or_b32 v9, v9, s15, v8
.LBB113_685:
	s_or_b64 exec, exec, s[36:37]
.LBB113_686:
	s_or_b64 exec, exec, s[28:29]
	global_store_byte v[0:1], v9, off
.LBB113_687:
	s_mov_b64 s[28:29], -1
.LBB113_688:
	s_mov_b64 s[34:35], 0
.LBB113_689:
	s_and_b64 vcc, exec, s[34:35]
	s_cbranch_vccz .LBB113_730
; %bb.690:
	v_mov_b32_e32 v8, 22
	v_cmp_gt_i16_sdwa s[36:37], v4, v8 src0_sel:BYTE_0 src1_sel:DWORD
	s_mov_b64 s[34:35], -1
	s_and_b64 vcc, exec, s[36:37]
	s_cbranch_vccz .LBB113_722
; %bb.691:
	v_mov_b32_e32 v8, 24
	v_cmp_lt_i16_sdwa s[34:35], v4, v8 src0_sel:BYTE_0 src1_sel:DWORD
	s_mov_b64 s[28:29], -1
	s_and_b64 vcc, exec, s[34:35]
	s_cbranch_vccnz .LBB113_711
; %bb.692:
	v_cmp_gt_i16_sdwa s[34:35], v4, v8 src0_sel:BYTE_0 src1_sel:DWORD
	s_and_b64 vcc, exec, s[34:35]
	s_cbranch_vccz .LBB113_700
; %bb.693:
	v_and_b32_e32 v8, 0x7fffffff, v3
	s_mov_b32 s15, 0x47800000
	v_cmp_gt_u32_e32 vcc, s15, v8
	v_mov_b32_e32 v9, 0x80
	s_and_saveexec_b64 s[28:29], vcc
	s_cbranch_execz .LBB113_699
; %bb.694:
	s_mov_b32 s15, 0x37ffffff
	v_cmp_lt_u32_e32 vcc, s15, v8
	s_mov_b64 s[34:35], 0
                                        ; implicit-def: $vgpr8
	s_and_saveexec_b64 s[36:37], vcc
	s_xor_b64 s[36:37], exec, s[36:37]
	s_cbranch_execz .LBB113_920
; %bb.695:
	v_bfe_u32 v8, v2, 21, 1
	s_mov_b32 s15, 0x88fffff
	v_add3_u32 v8, v2, v8, s15
	s_mov_b64 s[34:35], exec
	v_lshrrev_b32_e32 v8, 21, v8
	s_or_saveexec_b64 s[36:37], s[36:37]
                                        ; implicit-def: $sgpr15
	s_xor_b64 exec, exec, s[36:37]
	s_cbranch_execnz .LBB113_921
.LBB113_696:
	s_or_b64 exec, exec, s[36:37]
	v_mov_b32_e32 v9, s15
	s_and_saveexec_b64 s[36:37], s[34:35]
.LBB113_697:
	v_lshrrev_b32_e32 v9, 24, v2
	s_movk_i32 s15, 0x80
	v_and_or_b32 v9, v9, s15, v8
.LBB113_698:
	s_or_b64 exec, exec, s[36:37]
.LBB113_699:
	s_or_b64 exec, exec, s[28:29]
	s_mov_b64 s[28:29], 0
	global_store_byte v[0:1], v9, off
.LBB113_700:
	s_and_b64 vcc, exec, s[28:29]
	s_cbranch_vccz .LBB113_710
; %bb.701:
	v_and_b32_e32 v9, 0x7fffffff, v3
	s_mov_b32 s15, 0x43f00000
	v_cmp_gt_u32_e32 vcc, s15, v9
                                        ; implicit-def: $vgpr8
	s_and_saveexec_b64 s[28:29], vcc
	s_xor_b64 s[28:29], exec, s[28:29]
	s_cbranch_execz .LBB113_707
; %bb.702:
	s_mov_b32 s15, 0x3c7fffff
	v_cmp_lt_u32_e32 vcc, s15, v9
                                        ; implicit-def: $vgpr8
	s_and_saveexec_b64 s[34:35], vcc
	s_xor_b64 s[34:35], exec, s[34:35]
; %bb.703:
	v_bfe_u32 v8, v2, 20, 1
	s_mov_b32 s15, 0x407ffff
	v_add3_u32 v8, v2, v8, s15
	v_lshrrev_b32_e32 v9, 20, v8
	v_and_b32_e32 v8, 0xff00000, v8
	s_mov_b32 s15, 0x7f00000
	v_mov_b32_e32 v10, 0x7e
	v_cmp_ne_u32_e32 vcc, s15, v8
	v_cndmask_b32_e32 v8, v10, v9, vcc
; %bb.704:
	s_andn2_saveexec_b64 s[34:35], s[34:35]
; %bb.705:
	s_mov_b32 s15, 0x46800000
	v_add_f32_e64 v8, |v3|, s15
; %bb.706:
	s_or_b64 exec, exec, s[34:35]
                                        ; implicit-def: $vgpr9
.LBB113_707:
	s_andn2_saveexec_b64 s[28:29], s[28:29]
; %bb.708:
	s_mov_b32 s15, 0x7f800000
	v_mov_b32_e32 v8, 0x7e
	v_mov_b32_e32 v10, 0x7f
	v_cmp_lt_u32_e32 vcc, s15, v9
	v_cndmask_b32_e32 v8, v8, v10, vcc
; %bb.709:
	s_or_b64 exec, exec, s[28:29]
	v_lshrrev_b32_e32 v9, 24, v2
	s_movk_i32 s15, 0x80
	v_and_or_b32 v8, v9, s15, v8
	global_store_byte v[0:1], v8, off
.LBB113_710:
	s_mov_b64 s[28:29], 0
.LBB113_711:
	s_andn2_b64 vcc, exec, s[28:29]
	s_cbranch_vccnz .LBB113_721
; %bb.712:
	v_and_b32_e32 v9, 0x7fffffff, v3
	s_mov_b32 s15, 0x47800000
	v_cmp_gt_u32_e32 vcc, s15, v9
                                        ; implicit-def: $vgpr8
	s_and_saveexec_b64 s[28:29], vcc
	s_xor_b64 s[28:29], exec, s[28:29]
	s_cbranch_execz .LBB113_718
; %bb.713:
	s_mov_b32 s15, 0x387fffff
	v_cmp_lt_u32_e32 vcc, s15, v9
                                        ; implicit-def: $vgpr8
	s_and_saveexec_b64 s[34:35], vcc
	s_xor_b64 s[34:35], exec, s[34:35]
; %bb.714:
	v_bfe_u32 v3, v2, 21, 1
	s_mov_b32 s15, 0x80fffff
	v_add3_u32 v3, v2, v3, s15
	v_lshrrev_b32_e32 v8, 21, v3
                                        ; implicit-def: $vgpr3
; %bb.715:
	s_andn2_saveexec_b64 s[34:35], s[34:35]
; %bb.716:
	s_mov_b32 s15, 0x43000000
	v_add_f32_e64 v8, |v3|, s15
; %bb.717:
	s_or_b64 exec, exec, s[34:35]
                                        ; implicit-def: $vgpr9
.LBB113_718:
	s_andn2_saveexec_b64 s[28:29], s[28:29]
; %bb.719:
	s_mov_b32 s15, 0x7f800000
	v_mov_b32_e32 v3, 0x7c
	v_mov_b32_e32 v8, 0x7f
	v_cmp_lt_u32_e32 vcc, s15, v9
	v_cndmask_b32_e32 v8, v3, v8, vcc
; %bb.720:
	s_or_b64 exec, exec, s[28:29]
	v_lshrrev_b32_e32 v3, 24, v2
	s_movk_i32 s15, 0x80
	v_and_or_b32 v3, v3, s15, v8
	global_store_byte v[0:1], v3, off
.LBB113_721:
	s_mov_b64 s[34:35], 0
	s_mov_b64 s[28:29], -1
.LBB113_722:
	s_andn2_b64 vcc, exec, s[34:35]
	s_cbranch_vccnz .LBB113_730
; %bb.723:
	v_mov_b32_e32 v3, 14
	v_cmp_gt_i16_sdwa s[36:37], v4, v3 src0_sel:BYTE_0 src1_sel:DWORD
	s_mov_b64 s[34:35], -1
	s_and_b64 vcc, exec, s[36:37]
	s_cbranch_vccz .LBB113_727
; %bb.724:
	v_mov_b32_e32 v3, 15
	v_cmp_eq_u16_sdwa s[34:35], v4, v3 src0_sel:BYTE_0 src1_sel:DWORD
	s_mov_b64 s[0:1], -1
	s_and_b64 vcc, exec, s[34:35]
	s_cbranch_vccz .LBB113_726
; %bb.725:
	v_bfe_u32 v3, v2, 16, 1
	s_movk_i32 s0, 0x7fff
	v_add3_u32 v3, v2, v3, s0
	v_lshrrev_b32_e32 v3, 16, v3
	v_mov_b32_e32 v8, 0x7fc0
	v_cmp_o_f32_e32 vcc, v2, v2
	v_cndmask_b32_e32 v3, v8, v3, vcc
	global_store_short v[0:1], v3, off
	s_mov_b64 s[28:29], -1
	s_mov_b64 s[0:1], 0
.LBB113_726:
	s_mov_b64 s[34:35], 0
.LBB113_727:
	s_and_b64 vcc, exec, s[34:35]
	s_cbranch_vccz .LBB113_730
; %bb.728:
	v_mov_b32_e32 v3, 11
	v_cmp_eq_u16_sdwa s[34:35], v4, v3 src0_sel:BYTE_0 src1_sel:DWORD
	s_mov_b64 s[0:1], -1
	s_and_b64 vcc, exec, s[34:35]
	s_cbranch_vccz .LBB113_730
; %bb.729:
	v_cmp_neq_f32_e32 vcc, 0, v2
	v_cndmask_b32_e64 v3, 0, 1, vcc
	s_mov_b64 s[28:29], -1
	s_mov_b64 s[0:1], 0
	global_store_byte v[0:1], v3, off
.LBB113_730:
	s_mov_b64 s[34:35], 0
.LBB113_731:
	s_and_b64 vcc, exec, s[34:35]
	s_cbranch_vccz .LBB113_770
; %bb.732:
	v_mov_b32_e32 v3, 5
	v_cmp_lt_i16_sdwa s[34:35], v4, v3 src0_sel:BYTE_0 src1_sel:DWORD
	s_mov_b64 s[28:29], -1
	s_and_b64 vcc, exec, s[34:35]
	s_cbranch_vccnz .LBB113_753
; %bb.733:
	v_mov_b32_e32 v3, 8
	v_cmp_lt_i16_sdwa s[34:35], v4, v3 src0_sel:BYTE_0 src1_sel:DWORD
	s_and_b64 vcc, exec, s[34:35]
	s_cbranch_vccnz .LBB113_743
; %bb.734:
	v_mov_b32_e32 v3, 9
	v_cmp_lt_i16_sdwa s[34:35], v4, v3 src0_sel:BYTE_0 src1_sel:DWORD
	s_and_b64 vcc, exec, s[34:35]
	s_cbranch_vccnz .LBB113_740
; %bb.735:
	v_cmp_gt_i16_sdwa s[34:35], v4, v3 src0_sel:BYTE_0 src1_sel:DWORD
	s_and_b64 vcc, exec, s[34:35]
	s_cbranch_vccz .LBB113_737
; %bb.736:
	v_mov_b32_e32 v10, 0
	v_cvt_f64_f32_e32 v[8:9], v2
	v_mov_b32_e32 v11, v10
	s_mov_b64 s[28:29], 0
	global_store_dwordx4 v[0:1], v[8:11], off
.LBB113_737:
	s_andn2_b64 vcc, exec, s[28:29]
	s_cbranch_vccnz .LBB113_739
; %bb.738:
	v_mov_b32_e32 v3, 0
	global_store_dwordx2 v[0:1], v[2:3], off
.LBB113_739:
	s_mov_b64 s[28:29], 0
.LBB113_740:
	s_andn2_b64 vcc, exec, s[28:29]
	s_cbranch_vccnz .LBB113_742
; %bb.741:
	v_cvt_f16_f32_e32 v3, v2
	global_store_dword v[0:1], v3, off
.LBB113_742:
	s_mov_b64 s[28:29], 0
.LBB113_743:
	s_andn2_b64 vcc, exec, s[28:29]
	s_cbranch_vccnz .LBB113_752
; %bb.744:
	v_mov_b32_e32 v3, 6
	v_cmp_lt_i16_sdwa s[34:35], v4, v3 src0_sel:BYTE_0 src1_sel:DWORD
	s_mov_b64 s[28:29], -1
	s_and_b64 vcc, exec, s[34:35]
	s_cbranch_vccnz .LBB113_750
; %bb.745:
	v_cmp_gt_i16_sdwa s[34:35], v4, v3 src0_sel:BYTE_0 src1_sel:DWORD
	s_and_b64 vcc, exec, s[34:35]
	s_cbranch_vccz .LBB113_747
; %bb.746:
	v_cvt_f64_f32_e32 v[8:9], v2
	s_mov_b64 s[28:29], 0
	global_store_dwordx2 v[0:1], v[8:9], off
.LBB113_747:
	s_andn2_b64 vcc, exec, s[28:29]
	s_cbranch_vccnz .LBB113_749
; %bb.748:
	global_store_dword v[0:1], v2, off
.LBB113_749:
	s_mov_b64 s[28:29], 0
.LBB113_750:
	s_andn2_b64 vcc, exec, s[28:29]
	s_cbranch_vccnz .LBB113_752
; %bb.751:
	v_cvt_f16_f32_e32 v3, v2
	global_store_short v[0:1], v3, off
.LBB113_752:
	s_mov_b64 s[28:29], 0
.LBB113_753:
	s_andn2_b64 vcc, exec, s[28:29]
	s_cbranch_vccnz .LBB113_769
; %bb.754:
	v_mov_b32_e32 v3, 2
	v_cmp_lt_i16_sdwa s[34:35], v4, v3 src0_sel:BYTE_0 src1_sel:DWORD
	s_mov_b64 s[28:29], -1
	s_and_b64 vcc, exec, s[34:35]
	s_cbranch_vccnz .LBB113_764
; %bb.755:
	v_mov_b32_e32 v3, 3
	v_cmp_lt_i16_sdwa s[34:35], v4, v3 src0_sel:BYTE_0 src1_sel:DWORD
	s_and_b64 vcc, exec, s[34:35]
	s_cbranch_vccnz .LBB113_761
; %bb.756:
	v_cmp_gt_i16_sdwa s[34:35], v4, v3 src0_sel:BYTE_0 src1_sel:DWORD
	s_and_b64 vcc, exec, s[34:35]
	s_cbranch_vccz .LBB113_758
; %bb.757:
	v_trunc_f32_e32 v3, v2
	s_mov_b32 s15, 0x2f800000
	v_mul_f32_e64 v8, |v3|, s15
	v_floor_f32_e32 v8, v8
	s_mov_b32 s15, 0xcf800000
	v_cvt_u32_f32_e32 v9, v8
	v_fma_f32 v8, v8, s15, |v3|
	v_cvt_u32_f32_e32 v8, v8
	v_ashrrev_i32_e32 v3, 31, v3
	v_xor_b32_e32 v9, v9, v3
	s_mov_b64 s[28:29], 0
	v_xor_b32_e32 v8, v8, v3
	v_sub_co_u32_e32 v8, vcc, v8, v3
	v_subb_co_u32_e32 v9, vcc, v9, v3, vcc
	global_store_dwordx2 v[0:1], v[8:9], off
.LBB113_758:
	s_andn2_b64 vcc, exec, s[28:29]
	s_cbranch_vccnz .LBB113_760
; %bb.759:
	v_cvt_i32_f32_e32 v3, v2
	global_store_dword v[0:1], v3, off
.LBB113_760:
	s_mov_b64 s[28:29], 0
.LBB113_761:
	s_andn2_b64 vcc, exec, s[28:29]
	s_cbranch_vccnz .LBB113_763
; %bb.762:
	v_cvt_i32_f32_e32 v3, v2
	global_store_short v[0:1], v3, off
.LBB113_763:
	s_mov_b64 s[28:29], 0
.LBB113_764:
	s_andn2_b64 vcc, exec, s[28:29]
	s_cbranch_vccnz .LBB113_769
; %bb.765:
	v_mov_b32_e32 v3, 0
	v_cmp_gt_i16_sdwa s[34:35], v4, v3 src0_sel:BYTE_0 src1_sel:DWORD
	s_mov_b64 s[28:29], -1
	s_and_b64 vcc, exec, s[34:35]
	s_cbranch_vccz .LBB113_767
; %bb.766:
	v_cvt_i32_f32_e32 v3, v2
	s_mov_b64 s[28:29], 0
	global_store_byte v[0:1], v3, off
.LBB113_767:
	s_andn2_b64 vcc, exec, s[28:29]
	s_cbranch_vccnz .LBB113_769
; %bb.768:
	v_trunc_f32_e32 v2, v2
	s_mov_b32 s15, 0x2f800000
	v_mul_f32_e64 v3, |v2|, s15
	v_floor_f32_e32 v3, v3
	s_mov_b32 s15, 0xcf800000
	v_fma_f32 v3, v3, s15, |v2|
	v_cvt_u32_f32_e32 v3, v3
	v_ashrrev_i32_e32 v2, 31, v2
	v_xor_b32_e32 v3, v3, v2
	v_sub_u32_e32 v2, v3, v2
	global_store_byte v[0:1], v2, off
.LBB113_769:
	s_mov_b64 s[28:29], -1
.LBB113_770:
	s_andn2_b64 vcc, exec, s[28:29]
	s_cbranch_vccnz .LBB113_783
; %bb.771:
	v_add_u32_e32 v5, 0x80, v5
	s_mov_b64 s[34:35], -1
.LBB113_772:
	s_andn2_b64 s[28:29], s[6:7], exec
	s_and_b64 s[0:1], s[0:1], exec
	s_or_b64 s[28:29], s[28:29], s[0:1]
	s_andn2_b64 s[0:1], s[18:19], exec
	s_and_b64 s[26:27], s[26:27], exec
	s_or_b64 s[26:27], s[0:1], s[26:27]
	;; [unrolled: 3-line block ×3, first 2 shown]
	s_orn2_b64 s[0:1], s[34:35], exec
.LBB113_773:
	s_or_b64 exec, exec, s[30:31]
	s_mov_b64 s[34:35], 0
	s_mov_b64 s[36:37], 0
	;; [unrolled: 1-line block ×3, first 2 shown]
                                        ; implicit-def: $vgpr2
                                        ; implicit-def: $vgpr0_vgpr1
                                        ; implicit-def: $vgpr3
	s_and_saveexec_b64 s[30:31], s[0:1]
	s_cbranch_execz .LBB113_1247
; %bb.774:
	v_cmp_gt_i32_e32 vcc, s33, v5
	s_mov_b64 s[46:47], -1
	s_mov_b64 s[0:1], s[24:25]
	s_mov_b64 s[38:39], s[26:27]
	;; [unrolled: 1-line block ×3, first 2 shown]
	s_and_saveexec_b64 s[34:35], vcc
	s_cbranch_execz .LBB113_1162
; %bb.775:
	v_mul_lo_u32 v0, v5, s13
	v_ashrrev_i32_e32 v1, 31, v0
	s_waitcnt vmcnt(0)
	v_mov_b32_e32 v2, s11
	v_add_co_u32_e32 v0, vcc, s10, v0
	v_addc_co_u32_e32 v1, vcc, v2, v1, vcc
	v_mov_b32_e32 v2, 11
	v_cmp_lt_i16_sdwa s[0:1], v7, v2 src0_sel:BYTE_0 src1_sel:DWORD
	s_and_b64 vcc, exec, s[0:1]
	s_cbranch_vccnz .LBB113_782
; %bb.776:
	v_mov_b32_e32 v2, 25
	v_cmp_gt_i16_sdwa s[0:1], v7, v2 src0_sel:BYTE_0 src1_sel:DWORD
	s_and_b64 vcc, exec, s[0:1]
	s_cbranch_vccz .LBB113_784
; %bb.777:
	v_mov_b32_e32 v2, 28
	v_cmp_gt_i16_sdwa s[0:1], v7, v2 src0_sel:BYTE_0 src1_sel:DWORD
	s_and_b64 vcc, exec, s[0:1]
	s_cbranch_vccz .LBB113_785
	;; [unrolled: 5-line block ×4, first 2 shown]
; %bb.780:
	v_mov_b32_e32 v2, 46
	v_cmp_eq_u16_sdwa s[0:1], v7, v2 src0_sel:BYTE_0 src1_sel:DWORD
	s_mov_b64 s[38:39], 0
	s_and_b64 vcc, exec, s[0:1]
	s_cbranch_vccz .LBB113_790
; %bb.781:
	global_load_dword v2, v[0:1], off
	s_mov_b64 s[0:1], -1
	s_waitcnt vmcnt(0)
	v_lshlrev_b32_e32 v3, 16, v2
	s_branch .LBB113_791
.LBB113_782:
	s_mov_b64 s[38:39], -1
	s_mov_b64 s[0:1], 0
                                        ; implicit-def: $vgpr3
	s_mov_b64 s[36:37], s[24:25]
	s_branch .LBB113_856
.LBB113_783:
	s_mov_b64 s[34:35], 0
	s_branch .LBB113_530
.LBB113_784:
	s_mov_b64 s[38:39], -1
	s_mov_b64 s[0:1], 0
	s_mov_b64 s[36:37], s[24:25]
                                        ; implicit-def: $vgpr3
	s_branch .LBB113_820
.LBB113_785:
	s_mov_b64 s[38:39], -1
	s_mov_b64 s[0:1], 0
	s_mov_b64 s[36:37], s[24:25]
                                        ; implicit-def: $vgpr3
	s_branch .LBB113_801
.LBB113_786:
	s_mov_b64 s[38:39], -1
	s_mov_b64 s[0:1], 0
	s_mov_b64 s[36:37], s[24:25]
                                        ; implicit-def: $vgpr3
	s_branch .LBB113_796
.LBB113_787:
	s_mov_b64 s[38:39], -1
	s_mov_b64 s[0:1], 0
	s_mov_b64 s[36:37], s[24:25]
                                        ; implicit-def: $vgpr3
	s_branch .LBB113_791
.LBB113_788:
	s_or_saveexec_b64 s[36:37], s[36:37]
                                        ; implicit-def: $sgpr15
	s_xor_b64 exec, exec, s[36:37]
	s_cbranch_execz .LBB113_683
.LBB113_789:
	s_mov_b32 s15, 0x46000000
	v_add_f32_e64 v8, |v3|, s15
	v_and_b32_e32 v8, 0xff, v8
	v_cmp_ne_u32_e32 vcc, 0, v8
	s_andn2_b64 s[34:35], s[34:35], exec
	s_and_b64 s[38:39], vcc, exec
	s_mov_b32 s15, 0
	s_or_b64 s[34:35], s[34:35], s[38:39]
	s_or_b64 exec, exec, s[36:37]
	v_mov_b32_e32 v9, s15
	s_and_saveexec_b64 s[36:37], s[34:35]
	s_cbranch_execnz .LBB113_684
	s_branch .LBB113_685
.LBB113_790:
	s_mov_b64 s[36:37], -1
                                        ; implicit-def: $vgpr3
	s_mov_b64 s[0:1], 0
.LBB113_791:
	s_and_b64 vcc, exec, s[38:39]
	s_cbranch_vccz .LBB113_795
; %bb.792:
	v_mov_b32_e32 v2, 44
	v_cmp_eq_u16_sdwa s[36:37], v7, v2 src0_sel:BYTE_0 src1_sel:DWORD
	s_and_b64 vcc, exec, s[36:37]
	s_cbranch_vccz .LBB113_794
; %bb.793:
	global_load_ubyte v2, v[0:1], off
	s_movk_i32 s15, 0xff
	v_mov_b32_e32 v3, 0x7f800001
	v_mov_b32_e32 v8, 0x400000
	s_mov_b64 s[0:1], -1
	s_mov_b64 s[36:37], 0
	s_waitcnt vmcnt(0)
	v_lshlrev_b32_e32 v9, 23, v2
	v_cmp_ne_u32_e32 vcc, s15, v2
	v_cndmask_b32_e32 v3, v3, v9, vcc
	v_cmp_ne_u32_e32 vcc, 0, v2
	v_cndmask_b32_e32 v3, v8, v3, vcc
	s_branch .LBB113_795
.LBB113_794:
	s_mov_b64 s[36:37], -1
                                        ; implicit-def: $vgpr3
.LBB113_795:
	s_mov_b64 s[38:39], 0
.LBB113_796:
	s_and_b64 vcc, exec, s[38:39]
	s_cbranch_vccz .LBB113_800
; %bb.797:
	v_mov_b32_e32 v2, 29
	v_cmp_eq_u16_sdwa s[36:37], v7, v2 src0_sel:BYTE_0 src1_sel:DWORD
	s_and_b64 vcc, exec, s[36:37]
	s_cbranch_vccz .LBB113_799
; %bb.798:
	global_load_dwordx2 v[2:3], v[0:1], off
	s_mov_b64 s[0:1], -1
	s_mov_b64 s[36:37], 0
	s_mov_b64 s[38:39], 0
	s_waitcnt vmcnt(0)
	v_ffbh_u32_e32 v8, v3
	v_min_u32_e32 v8, 32, v8
	v_lshlrev_b64 v[2:3], v8, v[2:3]
	v_min_u32_e32 v2, 1, v2
	v_or_b32_e32 v2, v3, v2
	v_cvt_f32_u32_e32 v2, v2
	v_sub_u32_e32 v3, 32, v8
	v_ldexp_f32 v3, v2, v3
	s_branch .LBB113_801
.LBB113_799:
	s_mov_b64 s[36:37], -1
                                        ; implicit-def: $vgpr3
.LBB113_800:
	s_mov_b64 s[38:39], 0
.LBB113_801:
	s_and_b64 vcc, exec, s[38:39]
	s_cbranch_vccz .LBB113_819
; %bb.802:
	v_mov_b32_e32 v2, 27
	v_cmp_lt_i16_sdwa s[0:1], v7, v2 src0_sel:BYTE_0 src1_sel:DWORD
	s_and_b64 vcc, exec, s[0:1]
	s_cbranch_vccnz .LBB113_805
; %bb.803:
	v_cmp_gt_i16_sdwa s[0:1], v7, v2 src0_sel:BYTE_0 src1_sel:DWORD
	s_and_b64 vcc, exec, s[0:1]
	s_cbranch_vccz .LBB113_806
; %bb.804:
	global_load_dword v2, v[0:1], off
	s_mov_b64 s[0:1], 0
	s_waitcnt vmcnt(0)
	v_cvt_f32_u32_e32 v3, v2
	s_branch .LBB113_807
.LBB113_805:
	s_mov_b64 s[0:1], -1
                                        ; implicit-def: $vgpr3
	s_branch .LBB113_810
.LBB113_806:
	s_mov_b64 s[0:1], -1
                                        ; implicit-def: $vgpr3
.LBB113_807:
	s_andn2_b64 vcc, exec, s[0:1]
	s_cbranch_vccnz .LBB113_809
; %bb.808:
	global_load_ushort v2, v[0:1], off
	s_waitcnt vmcnt(0)
	v_cvt_f32_u32_e32 v3, v2
.LBB113_809:
	s_mov_b64 s[0:1], 0
.LBB113_810:
	s_andn2_b64 vcc, exec, s[0:1]
	s_cbranch_vccnz .LBB113_818
; %bb.811:
	global_load_ubyte v2, v[0:1], off
	s_movk_i32 s0, 0x7f
                                        ; implicit-def: $sgpr15
	s_waitcnt vmcnt(0)
	v_cmp_lt_i16_e32 vcc, s0, v2
	s_mov_b64 s[0:1], 0
	s_and_saveexec_b64 s[38:39], vcc
	s_xor_b64 s[38:39], exec, s[38:39]
	s_cbranch_execz .LBB113_832
; %bb.812:
	s_movk_i32 s0, 0x80
	v_cmp_eq_u16_e32 vcc, s0, v2
	s_mov_b64 s[0:1], -1
                                        ; implicit-def: $sgpr15
	s_and_saveexec_b64 s[40:41], vcc
; %bb.813:
	s_mov_b32 s15, 0x7f800001
	s_xor_b64 s[0:1], exec, -1
; %bb.814:
	s_or_b64 exec, exec, s[40:41]
	s_and_b64 s[0:1], s[0:1], exec
	s_or_saveexec_b64 s[38:39], s[38:39]
	v_mov_b32_e32 v3, s15
	s_xor_b64 exec, exec, s[38:39]
	s_cbranch_execnz .LBB113_833
.LBB113_815:
	s_or_b64 exec, exec, s[38:39]
	s_and_saveexec_b64 s[38:39], s[0:1]
	s_cbranch_execz .LBB113_817
.LBB113_816:
	v_lshlrev_b32_e32 v3, 24, v2
	v_and_b32_e32 v2, 0xffff, v2
	v_and_b32_e32 v8, 7, v2
	v_ffbh_u32_e32 v10, v8
	v_min_u32_e32 v10, 32, v10
	v_subrev_u32_e32 v11, 28, v10
	v_bfe_u32 v9, v2, 3, 4
	v_lshlrev_b32_e32 v2, v11, v2
	v_sub_u32_e32 v10, 29, v10
	v_and_b32_e32 v2, 7, v2
	v_cmp_eq_u32_e32 vcc, 0, v9
	v_cndmask_b32_e32 v9, v9, v10, vcc
	v_cndmask_b32_e32 v2, v8, v2, vcc
	v_mov_b32_e32 v8, 0x3b800000
	v_lshlrev_b32_e32 v2, 20, v2
	v_and_b32_e32 v3, 0x80000000, v3
	v_lshl_add_u32 v8, v9, 23, v8
	v_or3_b32 v3, v3, v8, v2
.LBB113_817:
	s_or_b64 exec, exec, s[38:39]
.LBB113_818:
	s_mov_b64 s[0:1], -1
.LBB113_819:
	s_mov_b64 s[38:39], 0
.LBB113_820:
	s_and_b64 vcc, exec, s[38:39]
	s_cbranch_vccz .LBB113_855
; %bb.821:
	v_mov_b32_e32 v2, 22
	v_cmp_gt_i16_sdwa s[38:39], v7, v2 src0_sel:BYTE_0 src1_sel:DWORD
	s_and_b64 vcc, exec, s[38:39]
	s_cbranch_vccz .LBB113_831
; %bb.822:
	v_mov_b32_e32 v2, 24
	v_cmp_lt_i16_sdwa s[0:1], v7, v2 src0_sel:BYTE_0 src1_sel:DWORD
	s_and_b64 vcc, exec, s[0:1]
	s_cbranch_vccnz .LBB113_834
; %bb.823:
	v_cmp_gt_i16_sdwa s[0:1], v7, v2 src0_sel:BYTE_0 src1_sel:DWORD
	s_and_b64 vcc, exec, s[0:1]
	s_cbranch_vccz .LBB113_835
; %bb.824:
	global_load_ubyte v2, v[0:1], off
	s_movk_i32 s0, 0x7f
                                        ; implicit-def: $sgpr15
	s_waitcnt vmcnt(0)
	v_cmp_lt_i16_e32 vcc, s0, v2
	s_mov_b64 s[0:1], 0
	s_and_saveexec_b64 s[38:39], vcc
	s_xor_b64 s[38:39], exec, s[38:39]
	s_cbranch_execz .LBB113_847
; %bb.825:
	s_movk_i32 s0, 0x80
	v_cmp_eq_u16_e32 vcc, s0, v2
	s_mov_b64 s[0:1], -1
                                        ; implicit-def: $sgpr15
	s_and_saveexec_b64 s[40:41], vcc
; %bb.826:
	s_mov_b32 s15, 0x7f800001
	s_xor_b64 s[0:1], exec, -1
; %bb.827:
	s_or_b64 exec, exec, s[40:41]
	s_and_b64 s[0:1], s[0:1], exec
	s_or_saveexec_b64 s[38:39], s[38:39]
	v_mov_b32_e32 v3, s15
	s_xor_b64 exec, exec, s[38:39]
	s_cbranch_execnz .LBB113_848
.LBB113_828:
	s_or_b64 exec, exec, s[38:39]
	s_and_saveexec_b64 s[38:39], s[0:1]
	s_cbranch_execz .LBB113_830
.LBB113_829:
	v_lshlrev_b32_e32 v3, 24, v2
	v_and_b32_e32 v2, 0xffff, v2
	v_and_b32_e32 v8, 3, v2
	v_ffbh_u32_e32 v10, v8
	v_min_u32_e32 v10, 32, v10
	v_subrev_u32_e32 v11, 29, v10
	v_bfe_u32 v9, v2, 2, 5
	v_lshlrev_b32_e32 v2, v11, v2
	v_sub_u32_e32 v10, 30, v10
	v_and_b32_e32 v2, 3, v2
	v_cmp_eq_u32_e32 vcc, 0, v9
	v_cndmask_b32_e32 v9, v9, v10, vcc
	v_cndmask_b32_e32 v2, v8, v2, vcc
	v_mov_b32_e32 v8, 0x37800000
	v_lshlrev_b32_e32 v2, 21, v2
	v_and_b32_e32 v3, 0x80000000, v3
	v_lshl_add_u32 v8, v9, 23, v8
	v_or3_b32 v3, v3, v8, v2
.LBB113_830:
	s_or_b64 exec, exec, s[38:39]
	s_mov_b64 s[0:1], 0
	s_branch .LBB113_836
.LBB113_831:
	s_mov_b64 s[38:39], -1
                                        ; implicit-def: $vgpr3
	s_branch .LBB113_842
.LBB113_832:
	s_or_saveexec_b64 s[38:39], s[38:39]
	v_mov_b32_e32 v3, s15
	s_xor_b64 exec, exec, s[38:39]
	s_cbranch_execz .LBB113_815
.LBB113_833:
	v_cmp_ne_u16_e32 vcc, 0, v2
	s_andn2_b64 s[0:1], s[0:1], exec
	s_and_b64 s[40:41], vcc, exec
	v_mov_b32_e32 v3, 0
	s_or_b64 s[0:1], s[0:1], s[40:41]
	s_or_b64 exec, exec, s[38:39]
	s_and_saveexec_b64 s[38:39], s[0:1]
	s_cbranch_execnz .LBB113_816
	s_branch .LBB113_817
.LBB113_834:
	s_mov_b64 s[0:1], -1
                                        ; implicit-def: $vgpr3
	s_branch .LBB113_839
.LBB113_835:
	s_mov_b64 s[0:1], -1
                                        ; implicit-def: $vgpr3
.LBB113_836:
	s_and_b64 vcc, exec, s[0:1]
	s_cbranch_vccz .LBB113_838
; %bb.837:
	global_load_ubyte v2, v[0:1], off
	s_mov_b32 s0, 0x7f800000
	s_waitcnt vmcnt(0)
	v_lshlrev_b32_e32 v2, 24, v2
	v_and_b32_e32 v3, 0x7f000000, v2
	v_ffbh_u32_e32 v8, v3
	v_min_u32_e32 v8, 32, v8
	v_sub_u32_e64 v8, v8, 4 clamp
	v_lshlrev_b32_e32 v10, v8, v3
	v_lshlrev_b32_e32 v8, 23, v8
	v_lshrrev_b32_e32 v10, 4, v10
	v_add_u32_e32 v9, 0x1000000, v3
	v_sub_u32_e32 v8, v10, v8
	v_ashrrev_i32_e32 v9, 8, v9
	v_add_u32_e32 v8, 0x3c000000, v8
	v_and_or_b32 v8, v9, s0, v8
	v_cmp_ne_u32_e32 vcc, 0, v3
	v_cndmask_b32_e32 v3, 0, v8, vcc
	s_brev_b32 s0, 1
	v_and_or_b32 v3, v2, s0, v3
.LBB113_838:
	s_mov_b64 s[0:1], 0
.LBB113_839:
	s_andn2_b64 vcc, exec, s[0:1]
	s_cbranch_vccnz .LBB113_841
; %bb.840:
	global_load_ubyte v2, v[0:1], off
	s_movk_i32 s0, 0x7f00
	s_brev_b32 s1, 16
	s_waitcnt vmcnt(0)
	v_lshlrev_b16_e32 v3, 8, v2
	v_lshlrev_b32_e32 v2, 25, v2
	v_lshrrev_b32_e32 v8, 4, v2
	v_and_or_b32 v9, v3, s0, 0.5
	v_or_b32_e32 v8, 0x70000000, v8
	v_add_f32_e32 v9, -0.5, v9
	v_mul_f32_e32 v8, 0x7800000, v8
	v_cmp_gt_u32_e32 vcc, s1, v2
	v_bfe_i32 v3, v3, 0, 16
	v_cndmask_b32_e32 v2, v8, v9, vcc
	s_brev_b32 s0, 1
	v_and_or_b32 v3, v3, s0, v2
.LBB113_841:
	s_mov_b64 s[38:39], 0
	s_mov_b64 s[0:1], -1
.LBB113_842:
	s_andn2_b64 vcc, exec, s[38:39]
	s_cbranch_vccnz .LBB113_855
; %bb.843:
	v_mov_b32_e32 v2, 14
	v_cmp_gt_i16_sdwa s[38:39], v7, v2 src0_sel:BYTE_0 src1_sel:DWORD
	s_and_b64 vcc, exec, s[38:39]
	s_cbranch_vccz .LBB113_846
; %bb.844:
	v_mov_b32_e32 v2, 15
	v_cmp_eq_u16_sdwa s[36:37], v7, v2 src0_sel:BYTE_0 src1_sel:DWORD
	s_and_b64 vcc, exec, s[36:37]
	s_cbranch_vccz .LBB113_849
; %bb.845:
	global_load_ushort v2, v[0:1], off
	s_mov_b64 s[0:1], -1
	s_mov_b64 s[36:37], 0
	s_waitcnt vmcnt(0)
	v_lshlrev_b32_e32 v3, 16, v2
	s_branch .LBB113_850
.LBB113_846:
	s_mov_b64 s[38:39], -1
                                        ; implicit-def: $vgpr3
	s_branch .LBB113_851
.LBB113_847:
	s_or_saveexec_b64 s[38:39], s[38:39]
	v_mov_b32_e32 v3, s15
	s_xor_b64 exec, exec, s[38:39]
	s_cbranch_execz .LBB113_828
.LBB113_848:
	v_cmp_ne_u16_e32 vcc, 0, v2
	s_andn2_b64 s[0:1], s[0:1], exec
	s_and_b64 s[40:41], vcc, exec
	v_mov_b32_e32 v3, 0
	s_or_b64 s[0:1], s[0:1], s[40:41]
	s_or_b64 exec, exec, s[38:39]
	s_and_saveexec_b64 s[38:39], s[0:1]
	s_cbranch_execnz .LBB113_829
	s_branch .LBB113_830
.LBB113_849:
	s_mov_b64 s[36:37], -1
                                        ; implicit-def: $vgpr3
.LBB113_850:
	s_mov_b64 s[38:39], 0
.LBB113_851:
	s_and_b64 vcc, exec, s[38:39]
	s_cbranch_vccz .LBB113_855
; %bb.852:
	v_mov_b32_e32 v2, 11
	v_cmp_eq_u16_sdwa s[36:37], v7, v2 src0_sel:BYTE_0 src1_sel:DWORD
	s_and_b64 vcc, exec, s[36:37]
	s_cbranch_vccz .LBB113_854
; %bb.853:
	global_load_ubyte v2, v[0:1], off
	s_mov_b64 s[0:1], -1
	s_mov_b64 s[36:37], 0
	s_waitcnt vmcnt(0)
	v_cmp_ne_u16_e32 vcc, 0, v2
	v_cndmask_b32_e64 v3, 0, 1.0, vcc
	s_branch .LBB113_855
.LBB113_854:
	s_mov_b64 s[36:37], -1
                                        ; implicit-def: $vgpr3
.LBB113_855:
	s_mov_b64 s[38:39], 0
.LBB113_856:
	s_and_b64 vcc, exec, s[38:39]
	s_cbranch_vccz .LBB113_905
; %bb.857:
	v_mov_b32_e32 v2, 5
	v_cmp_lt_i16_sdwa s[0:1], v7, v2 src0_sel:BYTE_0 src1_sel:DWORD
	s_and_b64 vcc, exec, s[0:1]
	s_cbranch_vccnz .LBB113_862
; %bb.858:
	v_mov_b32_e32 v2, 8
	v_cmp_lt_i16_sdwa s[0:1], v7, v2 src0_sel:BYTE_0 src1_sel:DWORD
	s_and_b64 vcc, exec, s[0:1]
	s_cbranch_vccnz .LBB113_863
	;; [unrolled: 5-line block ×3, first 2 shown]
; %bb.860:
	v_cmp_gt_i16_sdwa s[0:1], v7, v2 src0_sel:BYTE_0 src1_sel:DWORD
	s_and_b64 vcc, exec, s[0:1]
	s_cbranch_vccz .LBB113_865
; %bb.861:
	global_load_dwordx2 v[2:3], v[0:1], off
	s_mov_b64 s[0:1], 0
	s_waitcnt vmcnt(0)
	v_cvt_f32_f64_e32 v3, v[2:3]
	s_branch .LBB113_866
.LBB113_862:
	s_mov_b64 s[0:1], -1
                                        ; implicit-def: $vgpr3
	s_branch .LBB113_884
.LBB113_863:
	s_mov_b64 s[0:1], -1
                                        ; implicit-def: $vgpr3
	s_branch .LBB113_872
.LBB113_864:
	s_mov_b64 s[0:1], -1
                                        ; implicit-def: $vgpr3
	s_branch .LBB113_869
.LBB113_865:
	s_mov_b64 s[0:1], -1
                                        ; implicit-def: $vgpr3
.LBB113_866:
	s_andn2_b64 vcc, exec, s[0:1]
	s_cbranch_vccnz .LBB113_868
; %bb.867:
	global_load_dword v3, v[0:1], off
.LBB113_868:
	s_mov_b64 s[0:1], 0
.LBB113_869:
	s_andn2_b64 vcc, exec, s[0:1]
	s_cbranch_vccnz .LBB113_871
; %bb.870:
	global_load_dword v2, v[0:1], off
	s_waitcnt vmcnt(0)
	v_cvt_f32_f16_e32 v3, v2
.LBB113_871:
	s_mov_b64 s[0:1], 0
.LBB113_872:
	s_andn2_b64 vcc, exec, s[0:1]
	s_cbranch_vccnz .LBB113_883
; %bb.873:
	v_mov_b32_e32 v2, 6
	v_cmp_lt_i16_sdwa s[0:1], v7, v2 src0_sel:BYTE_0 src1_sel:DWORD
	s_and_b64 vcc, exec, s[0:1]
	s_cbranch_vccnz .LBB113_876
; %bb.874:
	v_cmp_gt_i16_sdwa s[0:1], v7, v2 src0_sel:BYTE_0 src1_sel:DWORD
	s_and_b64 vcc, exec, s[0:1]
	s_cbranch_vccz .LBB113_877
; %bb.875:
	global_load_dwordx2 v[2:3], v[0:1], off
	s_mov_b64 s[0:1], 0
	s_waitcnt vmcnt(0)
	v_cvt_f32_f64_e32 v3, v[2:3]
	s_branch .LBB113_878
.LBB113_876:
	s_mov_b64 s[0:1], -1
                                        ; implicit-def: $vgpr3
	s_branch .LBB113_881
.LBB113_877:
	s_mov_b64 s[0:1], -1
                                        ; implicit-def: $vgpr3
.LBB113_878:
	s_andn2_b64 vcc, exec, s[0:1]
	s_cbranch_vccnz .LBB113_880
; %bb.879:
	global_load_dword v3, v[0:1], off
.LBB113_880:
	s_mov_b64 s[0:1], 0
.LBB113_881:
	s_andn2_b64 vcc, exec, s[0:1]
	s_cbranch_vccnz .LBB113_883
; %bb.882:
	global_load_ushort v2, v[0:1], off
	s_waitcnt vmcnt(0)
	v_cvt_f32_f16_e32 v3, v2
.LBB113_883:
	s_mov_b64 s[0:1], 0
.LBB113_884:
	s_andn2_b64 vcc, exec, s[0:1]
	s_cbranch_vccnz .LBB113_904
; %bb.885:
	v_mov_b32_e32 v2, 2
	v_cmp_lt_i16_sdwa s[0:1], v7, v2 src0_sel:BYTE_0 src1_sel:DWORD
	s_and_b64 vcc, exec, s[0:1]
	s_cbranch_vccnz .LBB113_889
; %bb.886:
	v_mov_b32_e32 v2, 3
	v_cmp_lt_i16_sdwa s[0:1], v7, v2 src0_sel:BYTE_0 src1_sel:DWORD
	s_and_b64 vcc, exec, s[0:1]
	s_cbranch_vccnz .LBB113_890
; %bb.887:
	v_cmp_gt_i16_sdwa s[0:1], v7, v2 src0_sel:BYTE_0 src1_sel:DWORD
	s_and_b64 vcc, exec, s[0:1]
	s_cbranch_vccz .LBB113_891
; %bb.888:
	global_load_dwordx2 v[2:3], v[0:1], off
	s_mov_b64 s[0:1], 0
	s_waitcnt vmcnt(0)
	v_xor_b32_e32 v9, v2, v3
	v_ffbh_i32_e32 v8, v3
	v_ashrrev_i32_e32 v9, 31, v9
	v_add_u32_e32 v8, -1, v8
	v_add_u32_e32 v9, 32, v9
	v_min_u32_e32 v8, v8, v9
	v_lshlrev_b64 v[2:3], v8, v[2:3]
	v_min_u32_e32 v2, 1, v2
	v_or_b32_e32 v2, v3, v2
	v_cvt_f32_i32_e32 v2, v2
	v_sub_u32_e32 v3, 32, v8
	v_ldexp_f32 v3, v2, v3
	s_branch .LBB113_892
.LBB113_889:
	s_mov_b64 s[0:1], -1
                                        ; implicit-def: $vgpr3
	s_branch .LBB113_898
.LBB113_890:
	s_mov_b64 s[0:1], -1
                                        ; implicit-def: $vgpr3
	s_branch .LBB113_895
.LBB113_891:
	s_mov_b64 s[0:1], -1
                                        ; implicit-def: $vgpr3
.LBB113_892:
	s_andn2_b64 vcc, exec, s[0:1]
	s_cbranch_vccnz .LBB113_894
; %bb.893:
	global_load_dword v2, v[0:1], off
	s_waitcnt vmcnt(0)
	v_cvt_f32_i32_e32 v3, v2
.LBB113_894:
	s_mov_b64 s[0:1], 0
.LBB113_895:
	s_andn2_b64 vcc, exec, s[0:1]
	s_cbranch_vccnz .LBB113_897
; %bb.896:
	global_load_sshort v2, v[0:1], off
	s_waitcnt vmcnt(0)
	v_cvt_f32_i32_e32 v3, v2
.LBB113_897:
	s_mov_b64 s[0:1], 0
.LBB113_898:
	s_andn2_b64 vcc, exec, s[0:1]
	s_cbranch_vccnz .LBB113_904
; %bb.899:
	v_mov_b32_e32 v2, 0
	v_cmp_gt_i16_sdwa s[0:1], v7, v2 src0_sel:BYTE_0 src1_sel:DWORD
	s_and_b64 vcc, exec, s[0:1]
	s_cbranch_vccz .LBB113_901
; %bb.900:
	global_load_sbyte v2, v[0:1], off
	s_mov_b64 s[0:1], 0
	s_waitcnt vmcnt(0)
	v_cvt_f32_i32_e32 v3, v2
	s_branch .LBB113_902
.LBB113_901:
	s_mov_b64 s[0:1], -1
                                        ; implicit-def: $vgpr3
.LBB113_902:
	s_andn2_b64 vcc, exec, s[0:1]
	s_cbranch_vccnz .LBB113_904
; %bb.903:
	global_load_ubyte v0, v[0:1], off
	s_waitcnt vmcnt(0)
	v_cvt_f32_ubyte0_e32 v3, v0
.LBB113_904:
	s_mov_b64 s[0:1], -1
.LBB113_905:
	s_andn2_b64 vcc, exec, s[0:1]
	s_cbranch_vccnz .LBB113_913
; %bb.906:
	v_mul_lo_u32 v0, v5, s14
	v_ashrrev_i32_e32 v1, 31, v0
	v_mov_b32_e32 v2, s3
	v_add_co_u32_e32 v0, vcc, s2, v0
	v_addc_co_u32_e32 v1, vcc, v2, v1, vcc
	v_mov_b32_e32 v2, 11
	v_cmp_lt_i16_sdwa s[0:1], v6, v2 src0_sel:BYTE_0 src1_sel:DWORD
	s_and_b64 vcc, exec, s[0:1]
	s_cbranch_vccnz .LBB113_915
; %bb.907:
	v_mov_b32_e32 v2, 25
	v_cmp_gt_i16_sdwa s[0:1], v6, v2 src0_sel:BYTE_0 src1_sel:DWORD
	s_and_b64 vcc, exec, s[0:1]
	s_cbranch_vccz .LBB113_916
; %bb.908:
	v_mov_b32_e32 v2, 28
	v_cmp_gt_i16_sdwa s[0:1], v6, v2 src0_sel:BYTE_0 src1_sel:DWORD
	s_and_b64 vcc, exec, s[0:1]
	s_cbranch_vccz .LBB113_917
	;; [unrolled: 5-line block ×4, first 2 shown]
; %bb.911:
	v_mov_b32_e32 v2, 46
	v_cmp_eq_u16_sdwa s[0:1], v6, v2 src0_sel:BYTE_0 src1_sel:DWORD
	s_mov_b64 s[40:41], 0
	s_and_b64 vcc, exec, s[0:1]
	s_cbranch_vccz .LBB113_922
; %bb.912:
	global_load_dword v2, v[0:1], off
	s_mov_b64 s[0:1], -1
	s_mov_b64 s[38:39], 0
	s_waitcnt vmcnt(0)
	v_lshlrev_b32_e32 v2, 16, v2
	s_branch .LBB113_923
.LBB113_913:
	s_mov_b64 s[42:43], 0
	s_mov_b64 s[0:1], s[28:29]
	;; [unrolled: 1-line block ×3, first 2 shown]
.LBB113_914:
                                        ; implicit-def: $vgpr5
	s_branch .LBB113_1161
.LBB113_915:
	s_mov_b64 s[40:41], -1
	s_mov_b64 s[0:1], 0
                                        ; implicit-def: $vgpr2
	s_mov_b64 s[38:39], s[26:27]
	s_branch .LBB113_988
.LBB113_916:
	s_mov_b64 s[40:41], -1
	s_mov_b64 s[0:1], 0
	s_mov_b64 s[38:39], s[26:27]
                                        ; implicit-def: $vgpr2
	s_branch .LBB113_952
.LBB113_917:
	s_mov_b64 s[40:41], -1
	s_mov_b64 s[0:1], 0
	s_mov_b64 s[38:39], s[26:27]
                                        ; implicit-def: $vgpr2
	s_branch .LBB113_933
.LBB113_918:
	s_mov_b64 s[40:41], -1
	s_mov_b64 s[0:1], 0
	s_mov_b64 s[38:39], s[26:27]
                                        ; implicit-def: $vgpr2
	s_branch .LBB113_928
.LBB113_919:
	s_mov_b64 s[40:41], -1
	s_mov_b64 s[0:1], 0
	s_mov_b64 s[38:39], s[26:27]
                                        ; implicit-def: $vgpr2
	s_branch .LBB113_923
.LBB113_920:
	s_or_saveexec_b64 s[36:37], s[36:37]
                                        ; implicit-def: $sgpr15
	s_xor_b64 exec, exec, s[36:37]
	s_cbranch_execz .LBB113_696
.LBB113_921:
	s_mov_b32 s15, 0x42800000
	v_add_f32_e64 v8, |v3|, s15
	v_and_b32_e32 v8, 0xff, v8
	v_cmp_ne_u32_e32 vcc, 0, v8
	s_andn2_b64 s[34:35], s[34:35], exec
	s_and_b64 s[38:39], vcc, exec
	s_mov_b32 s15, 0
	s_or_b64 s[34:35], s[34:35], s[38:39]
	s_or_b64 exec, exec, s[36:37]
	v_mov_b32_e32 v9, s15
	s_and_saveexec_b64 s[36:37], s[34:35]
	s_cbranch_execnz .LBB113_697
	s_branch .LBB113_698
.LBB113_922:
	s_mov_b64 s[38:39], -1
                                        ; implicit-def: $vgpr2
	s_mov_b64 s[0:1], 0
.LBB113_923:
	s_and_b64 vcc, exec, s[40:41]
	s_cbranch_vccz .LBB113_927
; %bb.924:
	v_mov_b32_e32 v2, 44
	v_cmp_eq_u16_sdwa s[38:39], v6, v2 src0_sel:BYTE_0 src1_sel:DWORD
	s_and_b64 vcc, exec, s[38:39]
	s_cbranch_vccz .LBB113_926
; %bb.925:
	global_load_ubyte v2, v[0:1], off
	s_movk_i32 s15, 0xff
	v_mov_b32_e32 v8, 0x7f800001
	v_mov_b32_e32 v9, 0x400000
	s_mov_b64 s[0:1], -1
	s_mov_b64 s[38:39], 0
	s_waitcnt vmcnt(0)
	v_lshlrev_b32_e32 v10, 23, v2
	v_cmp_ne_u32_e32 vcc, s15, v2
	v_cndmask_b32_e32 v8, v8, v10, vcc
	v_cmp_ne_u32_e32 vcc, 0, v2
	v_cndmask_b32_e32 v2, v9, v8, vcc
	s_branch .LBB113_927
.LBB113_926:
	s_mov_b64 s[38:39], -1
                                        ; implicit-def: $vgpr2
.LBB113_927:
	s_mov_b64 s[40:41], 0
.LBB113_928:
	s_and_b64 vcc, exec, s[40:41]
	s_cbranch_vccz .LBB113_932
; %bb.929:
	v_mov_b32_e32 v2, 29
	v_cmp_eq_u16_sdwa s[38:39], v6, v2 src0_sel:BYTE_0 src1_sel:DWORD
	s_and_b64 vcc, exec, s[38:39]
	s_cbranch_vccz .LBB113_931
; %bb.930:
	global_load_dwordx2 v[8:9], v[0:1], off
	s_mov_b64 s[0:1], -1
	s_mov_b64 s[38:39], 0
	s_mov_b64 s[40:41], 0
	s_waitcnt vmcnt(0)
	v_ffbh_u32_e32 v2, v9
	v_min_u32_e32 v2, 32, v2
	v_lshlrev_b64 v[8:9], v2, v[8:9]
	v_min_u32_e32 v8, 1, v8
	v_or_b32_e32 v8, v9, v8
	v_cvt_f32_u32_e32 v8, v8
	v_sub_u32_e32 v2, 32, v2
	v_ldexp_f32 v2, v8, v2
	s_branch .LBB113_933
.LBB113_931:
	s_mov_b64 s[38:39], -1
                                        ; implicit-def: $vgpr2
.LBB113_932:
	s_mov_b64 s[40:41], 0
.LBB113_933:
	s_and_b64 vcc, exec, s[40:41]
	s_cbranch_vccz .LBB113_951
; %bb.934:
	v_mov_b32_e32 v2, 27
	v_cmp_lt_i16_sdwa s[0:1], v6, v2 src0_sel:BYTE_0 src1_sel:DWORD
	s_and_b64 vcc, exec, s[0:1]
	s_cbranch_vccnz .LBB113_937
; %bb.935:
	v_cmp_gt_i16_sdwa s[0:1], v6, v2 src0_sel:BYTE_0 src1_sel:DWORD
	s_and_b64 vcc, exec, s[0:1]
	s_cbranch_vccz .LBB113_938
; %bb.936:
	global_load_dword v2, v[0:1], off
	s_mov_b64 s[0:1], 0
	s_waitcnt vmcnt(0)
	v_cvt_f32_u32_e32 v2, v2
	s_branch .LBB113_939
.LBB113_937:
	s_mov_b64 s[0:1], -1
                                        ; implicit-def: $vgpr2
	s_branch .LBB113_942
.LBB113_938:
	s_mov_b64 s[0:1], -1
                                        ; implicit-def: $vgpr2
.LBB113_939:
	s_andn2_b64 vcc, exec, s[0:1]
	s_cbranch_vccnz .LBB113_941
; %bb.940:
	global_load_ushort v2, v[0:1], off
	s_waitcnt vmcnt(0)
	v_cvt_f32_u32_e32 v2, v2
.LBB113_941:
	s_mov_b64 s[0:1], 0
.LBB113_942:
	s_andn2_b64 vcc, exec, s[0:1]
	s_cbranch_vccnz .LBB113_950
; %bb.943:
	global_load_ubyte v8, v[0:1], off
	s_movk_i32 s0, 0x7f
                                        ; implicit-def: $sgpr15
	s_waitcnt vmcnt(0)
	v_cmp_lt_i16_e32 vcc, s0, v8
	s_mov_b64 s[0:1], 0
	s_and_saveexec_b64 s[40:41], vcc
	s_xor_b64 s[40:41], exec, s[40:41]
	s_cbranch_execz .LBB113_964
; %bb.944:
	s_movk_i32 s0, 0x80
	v_cmp_eq_u16_e32 vcc, s0, v8
	s_mov_b64 s[0:1], -1
                                        ; implicit-def: $sgpr15
	s_and_saveexec_b64 s[42:43], vcc
; %bb.945:
	s_mov_b32 s15, 0x7f800001
	s_xor_b64 s[0:1], exec, -1
; %bb.946:
	s_or_b64 exec, exec, s[42:43]
	s_and_b64 s[0:1], s[0:1], exec
	s_or_saveexec_b64 s[40:41], s[40:41]
	v_mov_b32_e32 v2, s15
	s_xor_b64 exec, exec, s[40:41]
	s_cbranch_execnz .LBB113_965
.LBB113_947:
	s_or_b64 exec, exec, s[40:41]
	s_and_saveexec_b64 s[40:41], s[0:1]
	s_cbranch_execz .LBB113_949
.LBB113_948:
	v_lshlrev_b32_e32 v2, 24, v8
	v_and_b32_e32 v8, 0xffff, v8
	v_and_b32_e32 v9, 7, v8
	v_ffbh_u32_e32 v11, v9
	v_min_u32_e32 v11, 32, v11
	v_subrev_u32_e32 v12, 28, v11
	v_bfe_u32 v10, v8, 3, 4
	v_lshlrev_b32_e32 v8, v12, v8
	v_sub_u32_e32 v11, 29, v11
	v_and_b32_e32 v8, 7, v8
	v_cmp_eq_u32_e32 vcc, 0, v10
	v_cndmask_b32_e32 v10, v10, v11, vcc
	v_cndmask_b32_e32 v8, v9, v8, vcc
	v_mov_b32_e32 v9, 0x3b800000
	v_lshlrev_b32_e32 v8, 20, v8
	v_and_b32_e32 v2, 0x80000000, v2
	v_lshl_add_u32 v9, v10, 23, v9
	v_or3_b32 v2, v2, v9, v8
.LBB113_949:
	s_or_b64 exec, exec, s[40:41]
.LBB113_950:
	s_mov_b64 s[0:1], -1
.LBB113_951:
	s_mov_b64 s[40:41], 0
.LBB113_952:
	s_and_b64 vcc, exec, s[40:41]
	s_cbranch_vccz .LBB113_987
; %bb.953:
	v_mov_b32_e32 v2, 22
	v_cmp_gt_i16_sdwa s[40:41], v6, v2 src0_sel:BYTE_0 src1_sel:DWORD
	s_and_b64 vcc, exec, s[40:41]
	s_cbranch_vccz .LBB113_963
; %bb.954:
	v_mov_b32_e32 v2, 24
	v_cmp_lt_i16_sdwa s[0:1], v6, v2 src0_sel:BYTE_0 src1_sel:DWORD
	s_and_b64 vcc, exec, s[0:1]
	s_cbranch_vccnz .LBB113_966
; %bb.955:
	v_cmp_gt_i16_sdwa s[0:1], v6, v2 src0_sel:BYTE_0 src1_sel:DWORD
	s_and_b64 vcc, exec, s[0:1]
	s_cbranch_vccz .LBB113_967
; %bb.956:
	global_load_ubyte v8, v[0:1], off
	s_movk_i32 s0, 0x7f
                                        ; implicit-def: $sgpr15
	s_waitcnt vmcnt(0)
	v_cmp_lt_i16_e32 vcc, s0, v8
	s_mov_b64 s[0:1], 0
	s_and_saveexec_b64 s[40:41], vcc
	s_xor_b64 s[40:41], exec, s[40:41]
	s_cbranch_execz .LBB113_979
; %bb.957:
	s_movk_i32 s0, 0x80
	v_cmp_eq_u16_e32 vcc, s0, v8
	s_mov_b64 s[0:1], -1
                                        ; implicit-def: $sgpr15
	s_and_saveexec_b64 s[42:43], vcc
; %bb.958:
	s_mov_b32 s15, 0x7f800001
	s_xor_b64 s[0:1], exec, -1
; %bb.959:
	s_or_b64 exec, exec, s[42:43]
	s_and_b64 s[0:1], s[0:1], exec
	s_or_saveexec_b64 s[40:41], s[40:41]
	v_mov_b32_e32 v2, s15
	s_xor_b64 exec, exec, s[40:41]
	s_cbranch_execnz .LBB113_980
.LBB113_960:
	s_or_b64 exec, exec, s[40:41]
	s_and_saveexec_b64 s[40:41], s[0:1]
	s_cbranch_execz .LBB113_962
.LBB113_961:
	v_lshlrev_b32_e32 v2, 24, v8
	v_and_b32_e32 v8, 0xffff, v8
	v_and_b32_e32 v9, 3, v8
	v_ffbh_u32_e32 v11, v9
	v_min_u32_e32 v11, 32, v11
	v_subrev_u32_e32 v12, 29, v11
	v_bfe_u32 v10, v8, 2, 5
	v_lshlrev_b32_e32 v8, v12, v8
	v_sub_u32_e32 v11, 30, v11
	v_and_b32_e32 v8, 3, v8
	v_cmp_eq_u32_e32 vcc, 0, v10
	v_cndmask_b32_e32 v10, v10, v11, vcc
	v_cndmask_b32_e32 v8, v9, v8, vcc
	v_mov_b32_e32 v9, 0x37800000
	v_lshlrev_b32_e32 v8, 21, v8
	v_and_b32_e32 v2, 0x80000000, v2
	v_lshl_add_u32 v9, v10, 23, v9
	v_or3_b32 v2, v2, v9, v8
.LBB113_962:
	s_or_b64 exec, exec, s[40:41]
	s_mov_b64 s[0:1], 0
	s_branch .LBB113_968
.LBB113_963:
	s_mov_b64 s[40:41], -1
                                        ; implicit-def: $vgpr2
	s_branch .LBB113_974
.LBB113_964:
	s_or_saveexec_b64 s[40:41], s[40:41]
	v_mov_b32_e32 v2, s15
	s_xor_b64 exec, exec, s[40:41]
	s_cbranch_execz .LBB113_947
.LBB113_965:
	v_cmp_ne_u16_e32 vcc, 0, v8
	s_andn2_b64 s[0:1], s[0:1], exec
	s_and_b64 s[42:43], vcc, exec
	v_mov_b32_e32 v2, 0
	s_or_b64 s[0:1], s[0:1], s[42:43]
	s_or_b64 exec, exec, s[40:41]
	s_and_saveexec_b64 s[40:41], s[0:1]
	s_cbranch_execnz .LBB113_948
	s_branch .LBB113_949
.LBB113_966:
	s_mov_b64 s[0:1], -1
                                        ; implicit-def: $vgpr2
	s_branch .LBB113_971
.LBB113_967:
	s_mov_b64 s[0:1], -1
                                        ; implicit-def: $vgpr2
.LBB113_968:
	s_and_b64 vcc, exec, s[0:1]
	s_cbranch_vccz .LBB113_970
; %bb.969:
	global_load_ubyte v2, v[0:1], off
	s_mov_b32 s0, 0x7f800000
	s_waitcnt vmcnt(0)
	v_lshlrev_b32_e32 v2, 24, v2
	v_and_b32_e32 v8, 0x7f000000, v2
	v_ffbh_u32_e32 v9, v8
	v_min_u32_e32 v9, 32, v9
	v_sub_u32_e64 v9, v9, 4 clamp
	v_lshlrev_b32_e32 v11, v9, v8
	v_lshlrev_b32_e32 v9, 23, v9
	v_lshrrev_b32_e32 v11, 4, v11
	v_add_u32_e32 v10, 0x1000000, v8
	v_sub_u32_e32 v9, v11, v9
	v_ashrrev_i32_e32 v10, 8, v10
	v_add_u32_e32 v9, 0x3c000000, v9
	v_and_or_b32 v9, v10, s0, v9
	v_cmp_ne_u32_e32 vcc, 0, v8
	v_cndmask_b32_e32 v8, 0, v9, vcc
	s_brev_b32 s0, 1
	v_and_or_b32 v2, v2, s0, v8
.LBB113_970:
	s_mov_b64 s[0:1], 0
.LBB113_971:
	s_andn2_b64 vcc, exec, s[0:1]
	s_cbranch_vccnz .LBB113_973
; %bb.972:
	global_load_ubyte v2, v[0:1], off
	s_movk_i32 s0, 0x7f00
	s_brev_b32 s1, 16
	s_waitcnt vmcnt(0)
	v_lshlrev_b16_e32 v8, 8, v2
	v_lshlrev_b32_e32 v2, 25, v2
	v_lshrrev_b32_e32 v9, 4, v2
	v_and_or_b32 v10, v8, s0, 0.5
	v_or_b32_e32 v9, 0x70000000, v9
	v_add_f32_e32 v10, -0.5, v10
	v_mul_f32_e32 v9, 0x7800000, v9
	v_cmp_gt_u32_e32 vcc, s1, v2
	v_bfe_i32 v8, v8, 0, 16
	v_cndmask_b32_e32 v2, v9, v10, vcc
	s_brev_b32 s0, 1
	v_and_or_b32 v2, v8, s0, v2
.LBB113_973:
	s_mov_b64 s[40:41], 0
	s_mov_b64 s[0:1], -1
.LBB113_974:
	s_andn2_b64 vcc, exec, s[40:41]
	s_cbranch_vccnz .LBB113_987
; %bb.975:
	v_mov_b32_e32 v2, 14
	v_cmp_gt_i16_sdwa s[40:41], v6, v2 src0_sel:BYTE_0 src1_sel:DWORD
	s_and_b64 vcc, exec, s[40:41]
	s_cbranch_vccz .LBB113_978
; %bb.976:
	v_mov_b32_e32 v2, 15
	v_cmp_eq_u16_sdwa s[38:39], v6, v2 src0_sel:BYTE_0 src1_sel:DWORD
	s_and_b64 vcc, exec, s[38:39]
	s_cbranch_vccz .LBB113_981
; %bb.977:
	global_load_ushort v2, v[0:1], off
	s_mov_b64 s[0:1], -1
	s_mov_b64 s[38:39], 0
	s_waitcnt vmcnt(0)
	v_lshlrev_b32_e32 v2, 16, v2
	s_branch .LBB113_982
.LBB113_978:
	s_mov_b64 s[40:41], -1
                                        ; implicit-def: $vgpr2
	s_branch .LBB113_983
.LBB113_979:
	s_or_saveexec_b64 s[40:41], s[40:41]
	v_mov_b32_e32 v2, s15
	s_xor_b64 exec, exec, s[40:41]
	s_cbranch_execz .LBB113_960
.LBB113_980:
	v_cmp_ne_u16_e32 vcc, 0, v8
	s_andn2_b64 s[0:1], s[0:1], exec
	s_and_b64 s[42:43], vcc, exec
	v_mov_b32_e32 v2, 0
	s_or_b64 s[0:1], s[0:1], s[42:43]
	s_or_b64 exec, exec, s[40:41]
	s_and_saveexec_b64 s[40:41], s[0:1]
	s_cbranch_execnz .LBB113_961
	s_branch .LBB113_962
.LBB113_981:
	s_mov_b64 s[38:39], -1
                                        ; implicit-def: $vgpr2
.LBB113_982:
	s_mov_b64 s[40:41], 0
.LBB113_983:
	s_and_b64 vcc, exec, s[40:41]
	s_cbranch_vccz .LBB113_987
; %bb.984:
	v_mov_b32_e32 v2, 11
	v_cmp_eq_u16_sdwa s[38:39], v6, v2 src0_sel:BYTE_0 src1_sel:DWORD
	s_and_b64 vcc, exec, s[38:39]
	s_cbranch_vccz .LBB113_986
; %bb.985:
	global_load_ubyte v2, v[0:1], off
	s_mov_b64 s[0:1], -1
	s_mov_b64 s[38:39], 0
	s_waitcnt vmcnt(0)
	v_cmp_ne_u16_e32 vcc, 0, v2
	v_cndmask_b32_e64 v2, 0, 1.0, vcc
	s_branch .LBB113_987
.LBB113_986:
	s_mov_b64 s[38:39], -1
                                        ; implicit-def: $vgpr2
.LBB113_987:
	s_mov_b64 s[40:41], 0
.LBB113_988:
	s_and_b64 vcc, exec, s[40:41]
	s_cbranch_vccz .LBB113_1037
; %bb.989:
	v_mov_b32_e32 v2, 5
	v_cmp_lt_i16_sdwa s[0:1], v6, v2 src0_sel:BYTE_0 src1_sel:DWORD
	s_and_b64 vcc, exec, s[0:1]
	s_cbranch_vccnz .LBB113_994
; %bb.990:
	v_mov_b32_e32 v2, 8
	v_cmp_lt_i16_sdwa s[0:1], v6, v2 src0_sel:BYTE_0 src1_sel:DWORD
	s_and_b64 vcc, exec, s[0:1]
	s_cbranch_vccnz .LBB113_995
	;; [unrolled: 5-line block ×3, first 2 shown]
; %bb.992:
	v_cmp_gt_i16_sdwa s[0:1], v6, v2 src0_sel:BYTE_0 src1_sel:DWORD
	s_and_b64 vcc, exec, s[0:1]
	s_cbranch_vccz .LBB113_997
; %bb.993:
	global_load_dwordx2 v[8:9], v[0:1], off
	s_mov_b64 s[0:1], 0
	s_waitcnt vmcnt(0)
	v_cvt_f32_f64_e32 v2, v[8:9]
	s_branch .LBB113_998
.LBB113_994:
	s_mov_b64 s[0:1], -1
                                        ; implicit-def: $vgpr2
	s_branch .LBB113_1016
.LBB113_995:
	s_mov_b64 s[0:1], -1
                                        ; implicit-def: $vgpr2
	s_branch .LBB113_1004
.LBB113_996:
	s_mov_b64 s[0:1], -1
                                        ; implicit-def: $vgpr2
	s_branch .LBB113_1001
.LBB113_997:
	s_mov_b64 s[0:1], -1
                                        ; implicit-def: $vgpr2
.LBB113_998:
	s_andn2_b64 vcc, exec, s[0:1]
	s_cbranch_vccnz .LBB113_1000
; %bb.999:
	global_load_dword v2, v[0:1], off
.LBB113_1000:
	s_mov_b64 s[0:1], 0
.LBB113_1001:
	s_andn2_b64 vcc, exec, s[0:1]
	s_cbranch_vccnz .LBB113_1003
; %bb.1002:
	global_load_dword v2, v[0:1], off
	s_waitcnt vmcnt(0)
	v_cvt_f32_f16_e32 v2, v2
.LBB113_1003:
	s_mov_b64 s[0:1], 0
.LBB113_1004:
	s_andn2_b64 vcc, exec, s[0:1]
	s_cbranch_vccnz .LBB113_1015
; %bb.1005:
	s_waitcnt vmcnt(0)
	v_mov_b32_e32 v2, 6
	v_cmp_lt_i16_sdwa s[0:1], v6, v2 src0_sel:BYTE_0 src1_sel:DWORD
	s_and_b64 vcc, exec, s[0:1]
	s_cbranch_vccnz .LBB113_1008
; %bb.1006:
	v_cmp_gt_i16_sdwa s[0:1], v6, v2 src0_sel:BYTE_0 src1_sel:DWORD
	s_and_b64 vcc, exec, s[0:1]
	s_cbranch_vccz .LBB113_1009
; %bb.1007:
	global_load_dwordx2 v[8:9], v[0:1], off
	s_mov_b64 s[0:1], 0
	s_waitcnt vmcnt(0)
	v_cvt_f32_f64_e32 v2, v[8:9]
	s_branch .LBB113_1010
.LBB113_1008:
	s_mov_b64 s[0:1], -1
                                        ; implicit-def: $vgpr2
	s_branch .LBB113_1013
.LBB113_1009:
	s_mov_b64 s[0:1], -1
                                        ; implicit-def: $vgpr2
.LBB113_1010:
	s_andn2_b64 vcc, exec, s[0:1]
	s_cbranch_vccnz .LBB113_1012
; %bb.1011:
	global_load_dword v2, v[0:1], off
.LBB113_1012:
	s_mov_b64 s[0:1], 0
.LBB113_1013:
	s_andn2_b64 vcc, exec, s[0:1]
	s_cbranch_vccnz .LBB113_1015
; %bb.1014:
	global_load_ushort v2, v[0:1], off
	s_waitcnt vmcnt(0)
	v_cvt_f32_f16_e32 v2, v2
.LBB113_1015:
	s_mov_b64 s[0:1], 0
.LBB113_1016:
	s_andn2_b64 vcc, exec, s[0:1]
	s_cbranch_vccnz .LBB113_1036
; %bb.1017:
	s_waitcnt vmcnt(0)
	v_mov_b32_e32 v2, 2
	v_cmp_lt_i16_sdwa s[0:1], v6, v2 src0_sel:BYTE_0 src1_sel:DWORD
	s_and_b64 vcc, exec, s[0:1]
	s_cbranch_vccnz .LBB113_1021
; %bb.1018:
	v_mov_b32_e32 v2, 3
	v_cmp_lt_i16_sdwa s[0:1], v6, v2 src0_sel:BYTE_0 src1_sel:DWORD
	s_and_b64 vcc, exec, s[0:1]
	s_cbranch_vccnz .LBB113_1022
; %bb.1019:
	v_cmp_gt_i16_sdwa s[0:1], v6, v2 src0_sel:BYTE_0 src1_sel:DWORD
	s_and_b64 vcc, exec, s[0:1]
	s_cbranch_vccz .LBB113_1023
; %bb.1020:
	global_load_dwordx2 v[8:9], v[0:1], off
	s_mov_b64 s[0:1], 0
	s_waitcnt vmcnt(0)
	v_xor_b32_e32 v10, v8, v9
	v_ffbh_i32_e32 v2, v9
	v_ashrrev_i32_e32 v10, 31, v10
	v_add_u32_e32 v2, -1, v2
	v_add_u32_e32 v10, 32, v10
	v_min_u32_e32 v2, v2, v10
	v_lshlrev_b64 v[8:9], v2, v[8:9]
	v_min_u32_e32 v8, 1, v8
	v_or_b32_e32 v8, v9, v8
	v_cvt_f32_i32_e32 v8, v8
	v_sub_u32_e32 v2, 32, v2
	v_ldexp_f32 v2, v8, v2
	s_branch .LBB113_1024
.LBB113_1021:
	s_mov_b64 s[0:1], -1
                                        ; implicit-def: $vgpr2
	s_branch .LBB113_1030
.LBB113_1022:
	s_mov_b64 s[0:1], -1
                                        ; implicit-def: $vgpr2
	s_branch .LBB113_1027
.LBB113_1023:
	s_mov_b64 s[0:1], -1
                                        ; implicit-def: $vgpr2
.LBB113_1024:
	s_andn2_b64 vcc, exec, s[0:1]
	s_cbranch_vccnz .LBB113_1026
; %bb.1025:
	global_load_dword v2, v[0:1], off
	s_waitcnt vmcnt(0)
	v_cvt_f32_i32_e32 v2, v2
.LBB113_1026:
	s_mov_b64 s[0:1], 0
.LBB113_1027:
	s_andn2_b64 vcc, exec, s[0:1]
	s_cbranch_vccnz .LBB113_1029
; %bb.1028:
	global_load_sshort v2, v[0:1], off
	s_waitcnt vmcnt(0)
	v_cvt_f32_i32_e32 v2, v2
.LBB113_1029:
	s_mov_b64 s[0:1], 0
.LBB113_1030:
	s_andn2_b64 vcc, exec, s[0:1]
	s_cbranch_vccnz .LBB113_1036
; %bb.1031:
	v_mov_b32_e32 v2, 0
	v_cmp_gt_i16_sdwa s[0:1], v6, v2 src0_sel:BYTE_0 src1_sel:DWORD
	s_and_b64 vcc, exec, s[0:1]
	s_cbranch_vccz .LBB113_1033
; %bb.1032:
	global_load_sbyte v2, v[0:1], off
	s_mov_b64 s[0:1], 0
	s_waitcnt vmcnt(0)
	v_cvt_f32_i32_e32 v2, v2
	s_branch .LBB113_1034
.LBB113_1033:
	s_mov_b64 s[0:1], -1
                                        ; implicit-def: $vgpr2
.LBB113_1034:
	s_andn2_b64 vcc, exec, s[0:1]
	s_cbranch_vccnz .LBB113_1036
; %bb.1035:
	global_load_ubyte v0, v[0:1], off
	s_waitcnt vmcnt(0)
	v_cvt_f32_ubyte0_e32 v2, v0
.LBB113_1036:
	s_mov_b64 s[0:1], -1
.LBB113_1037:
	s_andn2_b64 vcc, exec, s[0:1]
	s_cbranch_vccnz .LBB113_1045
; %bb.1038:
	v_mul_lo_u32 v0, v5, s12
	v_ashrrev_i32_e32 v1, 31, v0
	v_mov_b32_e32 v8, s9
	v_add_co_u32_e32 v0, vcc, s8, v0
	s_brev_b32 s0, -2
	v_addc_co_u32_e32 v1, vcc, v8, v1, vcc
	v_mov_b32_e32 v8, 11
	s_waitcnt vmcnt(0)
	v_bfi_b32 v2, s0, v3, v2
	v_cmp_lt_i16_sdwa s[0:1], v4, v8 src0_sel:BYTE_0 src1_sel:DWORD
	s_and_b64 vcc, exec, s[0:1]
	s_cbranch_vccnz .LBB113_1046
; %bb.1039:
	v_mov_b32_e32 v8, 25
	v_cmp_gt_i16_sdwa s[0:1], v4, v8 src0_sel:BYTE_0 src1_sel:DWORD
	s_and_b64 vcc, exec, s[0:1]
	s_cbranch_vccz .LBB113_1047
; %bb.1040:
	v_mov_b32_e32 v8, 28
	v_cmp_gt_i16_sdwa s[0:1], v4, v8 src0_sel:BYTE_0 src1_sel:DWORD
	s_and_b64 vcc, exec, s[0:1]
	s_cbranch_vccz .LBB113_1048
	;; [unrolled: 5-line block ×4, first 2 shown]
; %bb.1043:
	v_mov_b32_e32 v8, 46
	v_cmp_eq_u16_sdwa s[40:41], v4, v8 src0_sel:BYTE_0 src1_sel:DWORD
	s_mov_b64 s[42:43], 0
	s_mov_b64 s[0:1], -1
	s_and_b64 vcc, exec, s[40:41]
	s_mov_b64 s[40:41], 0
	s_cbranch_vccz .LBB113_1051
; %bb.1044:
	v_bfe_u32 v8, v2, 16, 1
	s_movk_i32 s0, 0x7fff
	v_add3_u32 v8, v2, v8, s0
	v_lshrrev_b32_e32 v8, 16, v8
	v_mov_b32_e32 v9, 0x7fc0
	v_cmp_o_f32_e32 vcc, v2, v2
	v_cndmask_b32_e32 v8, v9, v8, vcc
	global_store_dword v[0:1], v8, off
	s_mov_b64 s[40:41], -1
	s_mov_b64 s[0:1], 0
	s_branch .LBB113_1051
.LBB113_1045:
	s_mov_b64 s[42:43], 0
                                        ; implicit-def: $vgpr5
	s_mov_b64 s[0:1], s[28:29]
	s_branch .LBB113_1161
.LBB113_1046:
	s_mov_b64 s[42:43], -1
	s_mov_b64 s[40:41], 0
	s_mov_b64 s[0:1], s[28:29]
	s_branch .LBB113_1120
.LBB113_1047:
	s_mov_b64 s[42:43], -1
	s_mov_b64 s[40:41], 0
	s_mov_b64 s[0:1], s[28:29]
	s_branch .LBB113_1078
.LBB113_1048:
	s_mov_b64 s[42:43], -1
	s_mov_b64 s[40:41], 0
	s_mov_b64 s[0:1], s[28:29]
	s_branch .LBB113_1061
.LBB113_1049:
	s_mov_b64 s[42:43], -1
	s_mov_b64 s[40:41], 0
	s_mov_b64 s[0:1], s[28:29]
	s_branch .LBB113_1057
.LBB113_1050:
	s_mov_b64 s[42:43], -1
	s_mov_b64 s[40:41], 0
	s_mov_b64 s[0:1], s[28:29]
.LBB113_1051:
	s_and_b64 vcc, exec, s[42:43]
	s_cbranch_vccz .LBB113_1056
; %bb.1052:
	v_mov_b32_e32 v8, 44
	v_cmp_eq_u16_sdwa s[42:43], v4, v8 src0_sel:BYTE_0 src1_sel:DWORD
	s_mov_b64 s[0:1], -1
	s_and_b64 vcc, exec, s[42:43]
	s_cbranch_vccz .LBB113_1056
; %bb.1053:
	v_bfe_u32 v8, v2, 23, 8
	s_movk_i32 s0, 0xff
	v_cmp_ne_u32_e32 vcc, s0, v8
	v_mov_b32_e32 v9, 0xff
	s_and_saveexec_b64 s[40:41], vcc
; %bb.1054:
	s_mov_b32 s0, 0x3fffff
	v_and_b32_e32 v10, 0x400000, v2
	v_and_or_b32 v8, v2, s0, v8
	v_cmp_ne_u32_e32 vcc, 0, v10
	v_cmp_ne_u32_e64 s[0:1], 0, v8
	s_and_b64 s[0:1], vcc, s[0:1]
	v_lshrrev_b32_e32 v9, 23, v2
	v_cndmask_b32_e64 v8, 0, 1, s[0:1]
	v_add_u32_e32 v9, v9, v8
; %bb.1055:
	s_or_b64 exec, exec, s[40:41]
	s_mov_b64 s[40:41], -1
	s_mov_b64 s[0:1], 0
	global_store_byte v[0:1], v9, off
.LBB113_1056:
	s_mov_b64 s[42:43], 0
.LBB113_1057:
	s_and_b64 vcc, exec, s[42:43]
	s_cbranch_vccz .LBB113_1060
; %bb.1058:
	v_mov_b32_e32 v8, 29
	v_cmp_eq_u16_sdwa s[42:43], v4, v8 src0_sel:BYTE_0 src1_sel:DWORD
	s_mov_b64 s[0:1], -1
	s_and_b64 vcc, exec, s[42:43]
	s_cbranch_vccz .LBB113_1060
; %bb.1059:
	v_trunc_f32_e32 v8, v2
	v_mul_f32_e32 v9, 0x2f800000, v8
	v_floor_f32_e32 v10, v9
	v_fmac_f32_e32 v8, 0xcf800000, v10
	v_cvt_u32_f32_e32 v9, v10
	v_cvt_u32_f32_e32 v8, v8
	s_mov_b64 s[40:41], -1
	s_mov_b64 s[0:1], 0
	s_mov_b64 s[42:43], 0
	global_store_dwordx2 v[0:1], v[8:9], off
	s_branch .LBB113_1061
.LBB113_1060:
	s_mov_b64 s[42:43], 0
.LBB113_1061:
	s_and_b64 vcc, exec, s[42:43]
	s_cbranch_vccz .LBB113_1077
; %bb.1062:
	v_mov_b32_e32 v8, 27
	v_cmp_lt_i16_sdwa s[42:43], v4, v8 src0_sel:BYTE_0 src1_sel:DWORD
	s_mov_b64 s[40:41], -1
	s_and_b64 vcc, exec, s[42:43]
	s_cbranch_vccnz .LBB113_1068
; %bb.1063:
	v_cmp_gt_i16_sdwa s[42:43], v4, v8 src0_sel:BYTE_0 src1_sel:DWORD
	v_cvt_u32_f32_e32 v8, v2
	s_and_b64 vcc, exec, s[42:43]
	s_cbranch_vccz .LBB113_1065
; %bb.1064:
	s_mov_b64 s[40:41], 0
	global_store_dword v[0:1], v8, off
.LBB113_1065:
	s_andn2_b64 vcc, exec, s[40:41]
	s_cbranch_vccnz .LBB113_1067
; %bb.1066:
	global_store_short v[0:1], v8, off
.LBB113_1067:
	s_mov_b64 s[40:41], 0
.LBB113_1068:
	s_andn2_b64 vcc, exec, s[40:41]
	s_cbranch_vccnz .LBB113_1076
; %bb.1069:
	v_and_b32_e32 v8, 0x7fffffff, v3
	s_mov_b32 s15, 0x43800000
	v_cmp_gt_u32_e32 vcc, s15, v8
	v_mov_b32_e32 v9, 0x80
	s_and_saveexec_b64 s[40:41], vcc
	s_cbranch_execz .LBB113_1075
; %bb.1070:
	s_mov_b32 s15, 0x3bffffff
	v_cmp_lt_u32_e32 vcc, s15, v8
	s_mov_b64 s[42:43], 0
                                        ; implicit-def: $vgpr8
	s_and_saveexec_b64 s[44:45], vcc
	s_xor_b64 s[44:45], exec, s[44:45]
	s_cbranch_execz .LBB113_1177
; %bb.1071:
	v_bfe_u32 v8, v2, 20, 1
	s_mov_b32 s15, 0x487ffff
	v_add3_u32 v8, v2, v8, s15
	s_mov_b64 s[42:43], exec
	v_lshrrev_b32_e32 v8, 20, v8
	s_or_saveexec_b64 s[44:45], s[44:45]
                                        ; implicit-def: $sgpr15
	s_xor_b64 exec, exec, s[44:45]
	s_cbranch_execnz .LBB113_1178
.LBB113_1072:
	s_or_b64 exec, exec, s[44:45]
	v_mov_b32_e32 v9, s15
	s_and_saveexec_b64 s[44:45], s[42:43]
.LBB113_1073:
	v_lshrrev_b32_e32 v9, 24, v2
	s_movk_i32 s15, 0x80
	v_and_or_b32 v9, v9, s15, v8
.LBB113_1074:
	s_or_b64 exec, exec, s[44:45]
.LBB113_1075:
	s_or_b64 exec, exec, s[40:41]
	global_store_byte v[0:1], v9, off
.LBB113_1076:
	s_mov_b64 s[40:41], -1
.LBB113_1077:
	s_mov_b64 s[42:43], 0
.LBB113_1078:
	s_and_b64 vcc, exec, s[42:43]
	s_cbranch_vccz .LBB113_1119
; %bb.1079:
	v_mov_b32_e32 v8, 22
	v_cmp_gt_i16_sdwa s[44:45], v4, v8 src0_sel:BYTE_0 src1_sel:DWORD
	s_mov_b64 s[42:43], -1
	s_and_b64 vcc, exec, s[44:45]
	s_cbranch_vccz .LBB113_1111
; %bb.1080:
	v_mov_b32_e32 v8, 24
	v_cmp_lt_i16_sdwa s[42:43], v4, v8 src0_sel:BYTE_0 src1_sel:DWORD
	s_mov_b64 s[40:41], -1
	s_and_b64 vcc, exec, s[42:43]
	s_cbranch_vccnz .LBB113_1100
; %bb.1081:
	v_cmp_gt_i16_sdwa s[42:43], v4, v8 src0_sel:BYTE_0 src1_sel:DWORD
	s_and_b64 vcc, exec, s[42:43]
	s_cbranch_vccz .LBB113_1089
; %bb.1082:
	v_and_b32_e32 v8, 0x7fffffff, v3
	s_mov_b32 s15, 0x47800000
	v_cmp_gt_u32_e32 vcc, s15, v8
	v_mov_b32_e32 v9, 0x80
	s_and_saveexec_b64 s[40:41], vcc
	s_cbranch_execz .LBB113_1088
; %bb.1083:
	s_mov_b32 s15, 0x37ffffff
	v_cmp_lt_u32_e32 vcc, s15, v8
	s_mov_b64 s[42:43], 0
                                        ; implicit-def: $vgpr8
	s_and_saveexec_b64 s[44:45], vcc
	s_xor_b64 s[44:45], exec, s[44:45]
	s_cbranch_execz .LBB113_2200
; %bb.1084:
	v_bfe_u32 v8, v2, 21, 1
	s_mov_b32 s15, 0x88fffff
	v_add3_u32 v8, v2, v8, s15
	s_mov_b64 s[42:43], exec
	v_lshrrev_b32_e32 v8, 21, v8
	s_or_saveexec_b64 s[44:45], s[44:45]
                                        ; implicit-def: $sgpr15
	s_xor_b64 exec, exec, s[44:45]
	s_cbranch_execnz .LBB113_2201
.LBB113_1085:
	s_or_b64 exec, exec, s[44:45]
	v_mov_b32_e32 v9, s15
	s_and_saveexec_b64 s[44:45], s[42:43]
.LBB113_1086:
	v_lshrrev_b32_e32 v9, 24, v2
	s_movk_i32 s15, 0x80
	v_and_or_b32 v9, v9, s15, v8
.LBB113_1087:
	s_or_b64 exec, exec, s[44:45]
.LBB113_1088:
	s_or_b64 exec, exec, s[40:41]
	s_mov_b64 s[40:41], 0
	global_store_byte v[0:1], v9, off
.LBB113_1089:
	s_and_b64 vcc, exec, s[40:41]
	s_cbranch_vccz .LBB113_1099
; %bb.1090:
	v_and_b32_e32 v9, 0x7fffffff, v3
	s_mov_b32 s15, 0x43f00000
	v_cmp_gt_u32_e32 vcc, s15, v9
                                        ; implicit-def: $vgpr8
	s_and_saveexec_b64 s[40:41], vcc
	s_xor_b64 s[40:41], exec, s[40:41]
	s_cbranch_execz .LBB113_1096
; %bb.1091:
	s_mov_b32 s15, 0x3c7fffff
	v_cmp_lt_u32_e32 vcc, s15, v9
                                        ; implicit-def: $vgpr8
	s_and_saveexec_b64 s[42:43], vcc
	s_xor_b64 s[42:43], exec, s[42:43]
; %bb.1092:
	v_bfe_u32 v8, v2, 20, 1
	s_mov_b32 s15, 0x407ffff
	v_add3_u32 v8, v2, v8, s15
	v_lshrrev_b32_e32 v9, 20, v8
	v_and_b32_e32 v8, 0xff00000, v8
	s_mov_b32 s15, 0x7f00000
	v_mov_b32_e32 v10, 0x7e
	v_cmp_ne_u32_e32 vcc, s15, v8
	v_cndmask_b32_e32 v8, v10, v9, vcc
; %bb.1093:
	s_andn2_saveexec_b64 s[42:43], s[42:43]
; %bb.1094:
	s_mov_b32 s15, 0x46800000
	v_add_f32_e64 v8, |v3|, s15
; %bb.1095:
	s_or_b64 exec, exec, s[42:43]
                                        ; implicit-def: $vgpr9
.LBB113_1096:
	s_andn2_saveexec_b64 s[40:41], s[40:41]
; %bb.1097:
	s_mov_b32 s15, 0x7f800000
	v_mov_b32_e32 v8, 0x7e
	v_mov_b32_e32 v10, 0x7f
	v_cmp_lt_u32_e32 vcc, s15, v9
	v_cndmask_b32_e32 v8, v8, v10, vcc
; %bb.1098:
	s_or_b64 exec, exec, s[40:41]
	v_lshrrev_b32_e32 v9, 24, v2
	s_movk_i32 s15, 0x80
	v_and_or_b32 v8, v9, s15, v8
	global_store_byte v[0:1], v8, off
.LBB113_1099:
	s_mov_b64 s[40:41], 0
.LBB113_1100:
	s_andn2_b64 vcc, exec, s[40:41]
	s_cbranch_vccnz .LBB113_1110
; %bb.1101:
	v_and_b32_e32 v9, 0x7fffffff, v3
	s_mov_b32 s15, 0x47800000
	v_cmp_gt_u32_e32 vcc, s15, v9
                                        ; implicit-def: $vgpr8
	s_and_saveexec_b64 s[40:41], vcc
	s_xor_b64 s[40:41], exec, s[40:41]
	s_cbranch_execz .LBB113_1107
; %bb.1102:
	s_mov_b32 s15, 0x387fffff
	v_cmp_lt_u32_e32 vcc, s15, v9
                                        ; implicit-def: $vgpr8
	s_and_saveexec_b64 s[42:43], vcc
	s_xor_b64 s[42:43], exec, s[42:43]
; %bb.1103:
	v_bfe_u32 v3, v2, 21, 1
	s_mov_b32 s15, 0x80fffff
	v_add3_u32 v3, v2, v3, s15
	v_lshrrev_b32_e32 v8, 21, v3
                                        ; implicit-def: $vgpr3
; %bb.1104:
	s_andn2_saveexec_b64 s[42:43], s[42:43]
; %bb.1105:
	s_mov_b32 s15, 0x43000000
	v_add_f32_e64 v8, |v3|, s15
; %bb.1106:
	s_or_b64 exec, exec, s[42:43]
                                        ; implicit-def: $vgpr9
.LBB113_1107:
	s_andn2_saveexec_b64 s[40:41], s[40:41]
; %bb.1108:
	s_mov_b32 s15, 0x7f800000
	v_mov_b32_e32 v3, 0x7c
	v_mov_b32_e32 v8, 0x7f
	v_cmp_lt_u32_e32 vcc, s15, v9
	v_cndmask_b32_e32 v8, v3, v8, vcc
; %bb.1109:
	s_or_b64 exec, exec, s[40:41]
	v_lshrrev_b32_e32 v3, 24, v2
	s_movk_i32 s15, 0x80
	v_and_or_b32 v3, v3, s15, v8
	global_store_byte v[0:1], v3, off
.LBB113_1110:
	s_mov_b64 s[42:43], 0
	s_mov_b64 s[40:41], -1
.LBB113_1111:
	s_andn2_b64 vcc, exec, s[42:43]
	s_cbranch_vccnz .LBB113_1119
; %bb.1112:
	v_mov_b32_e32 v3, 14
	v_cmp_gt_i16_sdwa s[44:45], v4, v3 src0_sel:BYTE_0 src1_sel:DWORD
	s_mov_b64 s[42:43], -1
	s_and_b64 vcc, exec, s[44:45]
	s_cbranch_vccz .LBB113_1116
; %bb.1113:
	v_mov_b32_e32 v3, 15
	v_cmp_eq_u16_sdwa s[42:43], v4, v3 src0_sel:BYTE_0 src1_sel:DWORD
	s_mov_b64 s[0:1], -1
	s_and_b64 vcc, exec, s[42:43]
	s_cbranch_vccz .LBB113_1115
; %bb.1114:
	v_bfe_u32 v3, v2, 16, 1
	s_movk_i32 s0, 0x7fff
	v_add3_u32 v3, v2, v3, s0
	v_lshrrev_b32_e32 v3, 16, v3
	v_mov_b32_e32 v8, 0x7fc0
	v_cmp_o_f32_e32 vcc, v2, v2
	v_cndmask_b32_e32 v3, v8, v3, vcc
	global_store_short v[0:1], v3, off
	s_mov_b64 s[40:41], -1
	s_mov_b64 s[0:1], 0
.LBB113_1115:
	s_mov_b64 s[42:43], 0
.LBB113_1116:
	s_and_b64 vcc, exec, s[42:43]
	s_cbranch_vccz .LBB113_1119
; %bb.1117:
	v_mov_b32_e32 v3, 11
	v_cmp_eq_u16_sdwa s[42:43], v4, v3 src0_sel:BYTE_0 src1_sel:DWORD
	s_mov_b64 s[0:1], -1
	s_and_b64 vcc, exec, s[42:43]
	s_cbranch_vccz .LBB113_1119
; %bb.1118:
	v_cmp_neq_f32_e32 vcc, 0, v2
	v_cndmask_b32_e64 v3, 0, 1, vcc
	s_mov_b64 s[40:41], -1
	s_mov_b64 s[0:1], 0
	global_store_byte v[0:1], v3, off
.LBB113_1119:
	s_mov_b64 s[42:43], 0
.LBB113_1120:
	s_and_b64 vcc, exec, s[42:43]
	s_cbranch_vccz .LBB113_1159
; %bb.1121:
	v_mov_b32_e32 v3, 5
	v_cmp_lt_i16_sdwa s[42:43], v4, v3 src0_sel:BYTE_0 src1_sel:DWORD
	s_mov_b64 s[40:41], -1
	s_and_b64 vcc, exec, s[42:43]
	s_cbranch_vccnz .LBB113_1142
; %bb.1122:
	v_mov_b32_e32 v3, 8
	v_cmp_lt_i16_sdwa s[42:43], v4, v3 src0_sel:BYTE_0 src1_sel:DWORD
	s_and_b64 vcc, exec, s[42:43]
	s_cbranch_vccnz .LBB113_1132
; %bb.1123:
	v_mov_b32_e32 v3, 9
	v_cmp_lt_i16_sdwa s[42:43], v4, v3 src0_sel:BYTE_0 src1_sel:DWORD
	s_and_b64 vcc, exec, s[42:43]
	s_cbranch_vccnz .LBB113_1129
; %bb.1124:
	v_cmp_gt_i16_sdwa s[42:43], v4, v3 src0_sel:BYTE_0 src1_sel:DWORD
	s_and_b64 vcc, exec, s[42:43]
	s_cbranch_vccz .LBB113_1126
; %bb.1125:
	v_mov_b32_e32 v10, 0
	v_cvt_f64_f32_e32 v[8:9], v2
	v_mov_b32_e32 v11, v10
	s_mov_b64 s[40:41], 0
	global_store_dwordx4 v[0:1], v[8:11], off
.LBB113_1126:
	s_andn2_b64 vcc, exec, s[40:41]
	s_cbranch_vccnz .LBB113_1128
; %bb.1127:
	v_mov_b32_e32 v3, 0
	global_store_dwordx2 v[0:1], v[2:3], off
.LBB113_1128:
	s_mov_b64 s[40:41], 0
.LBB113_1129:
	s_andn2_b64 vcc, exec, s[40:41]
	s_cbranch_vccnz .LBB113_1131
; %bb.1130:
	v_cvt_f16_f32_e32 v3, v2
	global_store_dword v[0:1], v3, off
.LBB113_1131:
	s_mov_b64 s[40:41], 0
.LBB113_1132:
	s_andn2_b64 vcc, exec, s[40:41]
	s_cbranch_vccnz .LBB113_1141
; %bb.1133:
	v_mov_b32_e32 v3, 6
	v_cmp_lt_i16_sdwa s[42:43], v4, v3 src0_sel:BYTE_0 src1_sel:DWORD
	s_mov_b64 s[40:41], -1
	s_and_b64 vcc, exec, s[42:43]
	s_cbranch_vccnz .LBB113_1139
; %bb.1134:
	v_cmp_gt_i16_sdwa s[42:43], v4, v3 src0_sel:BYTE_0 src1_sel:DWORD
	s_and_b64 vcc, exec, s[42:43]
	s_cbranch_vccz .LBB113_1136
; %bb.1135:
	v_cvt_f64_f32_e32 v[8:9], v2
	s_mov_b64 s[40:41], 0
	global_store_dwordx2 v[0:1], v[8:9], off
.LBB113_1136:
	s_andn2_b64 vcc, exec, s[40:41]
	s_cbranch_vccnz .LBB113_1138
; %bb.1137:
	global_store_dword v[0:1], v2, off
.LBB113_1138:
	s_mov_b64 s[40:41], 0
.LBB113_1139:
	s_andn2_b64 vcc, exec, s[40:41]
	s_cbranch_vccnz .LBB113_1141
; %bb.1140:
	v_cvt_f16_f32_e32 v3, v2
	global_store_short v[0:1], v3, off
.LBB113_1141:
	s_mov_b64 s[40:41], 0
.LBB113_1142:
	s_andn2_b64 vcc, exec, s[40:41]
	s_cbranch_vccnz .LBB113_1158
; %bb.1143:
	v_mov_b32_e32 v3, 2
	v_cmp_lt_i16_sdwa s[42:43], v4, v3 src0_sel:BYTE_0 src1_sel:DWORD
	s_mov_b64 s[40:41], -1
	s_and_b64 vcc, exec, s[42:43]
	s_cbranch_vccnz .LBB113_1153
; %bb.1144:
	v_mov_b32_e32 v3, 3
	v_cmp_lt_i16_sdwa s[42:43], v4, v3 src0_sel:BYTE_0 src1_sel:DWORD
	s_and_b64 vcc, exec, s[42:43]
	s_cbranch_vccnz .LBB113_1150
; %bb.1145:
	v_cmp_gt_i16_sdwa s[42:43], v4, v3 src0_sel:BYTE_0 src1_sel:DWORD
	s_and_b64 vcc, exec, s[42:43]
	s_cbranch_vccz .LBB113_1147
; %bb.1146:
	v_trunc_f32_e32 v3, v2
	s_mov_b32 s15, 0x2f800000
	v_mul_f32_e64 v8, |v3|, s15
	v_floor_f32_e32 v8, v8
	s_mov_b32 s15, 0xcf800000
	v_cvt_u32_f32_e32 v9, v8
	v_fma_f32 v8, v8, s15, |v3|
	v_cvt_u32_f32_e32 v8, v8
	v_ashrrev_i32_e32 v3, 31, v3
	v_xor_b32_e32 v9, v9, v3
	s_mov_b64 s[40:41], 0
	v_xor_b32_e32 v8, v8, v3
	v_sub_co_u32_e32 v8, vcc, v8, v3
	v_subb_co_u32_e32 v9, vcc, v9, v3, vcc
	global_store_dwordx2 v[0:1], v[8:9], off
.LBB113_1147:
	s_andn2_b64 vcc, exec, s[40:41]
	s_cbranch_vccnz .LBB113_1149
; %bb.1148:
	v_cvt_i32_f32_e32 v3, v2
	global_store_dword v[0:1], v3, off
.LBB113_1149:
	s_mov_b64 s[40:41], 0
.LBB113_1150:
	s_andn2_b64 vcc, exec, s[40:41]
	s_cbranch_vccnz .LBB113_1152
; %bb.1151:
	v_cvt_i32_f32_e32 v3, v2
	global_store_short v[0:1], v3, off
.LBB113_1152:
	s_mov_b64 s[40:41], 0
.LBB113_1153:
	s_andn2_b64 vcc, exec, s[40:41]
	s_cbranch_vccnz .LBB113_1158
; %bb.1154:
	v_mov_b32_e32 v3, 0
	v_cmp_gt_i16_sdwa s[42:43], v4, v3 src0_sel:BYTE_0 src1_sel:DWORD
	s_mov_b64 s[40:41], -1
	s_and_b64 vcc, exec, s[42:43]
	s_cbranch_vccz .LBB113_1156
; %bb.1155:
	v_cvt_i32_f32_e32 v3, v2
	s_mov_b64 s[40:41], 0
	global_store_byte v[0:1], v3, off
.LBB113_1156:
	s_andn2_b64 vcc, exec, s[40:41]
	s_cbranch_vccnz .LBB113_1158
; %bb.1157:
	v_trunc_f32_e32 v2, v2
	s_mov_b32 s15, 0x2f800000
	v_mul_f32_e64 v3, |v2|, s15
	v_floor_f32_e32 v3, v3
	s_mov_b32 s15, 0xcf800000
	v_fma_f32 v3, v3, s15, |v2|
	v_cvt_u32_f32_e32 v3, v3
	v_ashrrev_i32_e32 v2, 31, v2
	v_xor_b32_e32 v3, v3, v2
	v_sub_u32_e32 v2, v3, v2
	global_store_byte v[0:1], v2, off
.LBB113_1158:
	s_mov_b64 s[40:41], -1
.LBB113_1159:
	s_andn2_b64 vcc, exec, s[40:41]
	s_cbranch_vccnz .LBB113_1172
; %bb.1160:
	v_add_u32_e32 v5, 0x80, v5
	s_mov_b64 s[42:43], -1
.LBB113_1161:
	s_andn2_b64 s[40:41], s[28:29], exec
	s_and_b64 s[0:1], s[0:1], exec
	s_or_b64 s[40:41], s[40:41], s[0:1]
	s_andn2_b64 s[0:1], s[26:27], exec
	s_and_b64 s[38:39], s[38:39], exec
	s_or_b64 s[38:39], s[0:1], s[38:39]
	;; [unrolled: 3-line block ×3, first 2 shown]
	s_orn2_b64 s[46:47], s[42:43], exec
.LBB113_1162:
	s_or_b64 exec, exec, s[34:35]
	s_mov_b64 s[42:43], 0
	s_mov_b64 s[36:37], 0
	;; [unrolled: 1-line block ×3, first 2 shown]
                                        ; implicit-def: $vgpr2
                                        ; implicit-def: $vgpr0_vgpr1
                                        ; implicit-def: $vgpr3
	s_and_saveexec_b64 s[34:35], s[46:47]
	s_cbranch_execz .LBB113_1246
; %bb.1163:
	v_cmp_gt_i32_e32 vcc, s33, v5
	s_mov_b64 s[46:47], 0
	s_mov_b64 s[48:49], s[0:1]
	;; [unrolled: 1-line block ×4, first 2 shown]
                                        ; implicit-def: $vgpr2
                                        ; implicit-def: $vgpr0_vgpr1
                                        ; implicit-def: $vgpr3
	s_and_saveexec_b64 s[36:37], vcc
	s_cbranch_execz .LBB113_1245
; %bb.1164:
	v_mul_lo_u32 v0, v5, s13
	v_ashrrev_i32_e32 v1, 31, v0
	s_waitcnt vmcnt(0)
	v_mov_b32_e32 v2, s11
	v_add_co_u32_e32 v0, vcc, s10, v0
	v_addc_co_u32_e32 v1, vcc, v2, v1, vcc
	v_and_b32_e32 v2, 0xff, v7
	v_cmp_gt_i16_e32 vcc, 11, v2
	s_cbranch_vccnz .LBB113_1171
; %bb.1165:
	v_cmp_lt_i16_e32 vcc, 25, v2
	s_cbranch_vccz .LBB113_1173
; %bb.1166:
	v_cmp_lt_i16_e32 vcc, 28, v2
	s_cbranch_vccz .LBB113_1174
	;; [unrolled: 3-line block ×4, first 2 shown]
; %bb.1169:
	v_cmp_eq_u16_e32 vcc, 46, v2
	s_mov_b64 s[48:49], 0
	s_cbranch_vccz .LBB113_1179
; %bb.1170:
	global_load_dword v3, v[0:1], off
	s_mov_b64 s[46:47], -1
	s_waitcnt vmcnt(0)
	v_lshlrev_b32_e32 v3, 16, v3
	s_branch .LBB113_1181
.LBB113_1171:
	s_mov_b64 s[48:49], -1
                                        ; implicit-def: $vgpr3
	s_mov_b64 s[42:43], s[0:1]
	s_branch .LBB113_1244
.LBB113_1172:
	s_mov_b64 s[42:43], 0
	s_branch .LBB113_914
.LBB113_1173:
	s_mov_b64 s[48:49], -1
	s_mov_b64 s[42:43], s[0:1]
                                        ; implicit-def: $vgpr3
	s_branch .LBB113_1210
.LBB113_1174:
	s_mov_b64 s[48:49], -1
	s_mov_b64 s[42:43], s[0:1]
                                        ; implicit-def: $vgpr3
	s_branch .LBB113_1191
.LBB113_1175:
	s_mov_b64 s[48:49], -1
	s_mov_b64 s[42:43], s[0:1]
                                        ; implicit-def: $vgpr3
	s_branch .LBB113_1186
.LBB113_1176:
	s_mov_b64 s[48:49], -1
	s_mov_b64 s[42:43], s[0:1]
	s_branch .LBB113_1180
.LBB113_1177:
	s_or_saveexec_b64 s[44:45], s[44:45]
                                        ; implicit-def: $sgpr15
	s_xor_b64 exec, exec, s[44:45]
	s_cbranch_execz .LBB113_1072
.LBB113_1178:
	s_mov_b32 s15, 0x46000000
	v_add_f32_e64 v8, |v3|, s15
	v_and_b32_e32 v8, 0xff, v8
	v_cmp_ne_u32_e32 vcc, 0, v8
	s_andn2_b64 s[42:43], s[42:43], exec
	s_and_b64 s[46:47], vcc, exec
	s_mov_b32 s15, 0
	s_or_b64 s[42:43], s[42:43], s[46:47]
	s_or_b64 exec, exec, s[44:45]
	v_mov_b32_e32 v9, s15
	s_and_saveexec_b64 s[44:45], s[42:43]
	s_cbranch_execnz .LBB113_1073
	s_branch .LBB113_1074
.LBB113_1179:
	s_mov_b64 s[42:43], -1
.LBB113_1180:
                                        ; implicit-def: $vgpr3
.LBB113_1181:
	s_and_b64 vcc, exec, s[48:49]
	s_cbranch_vccz .LBB113_1185
; %bb.1182:
	v_cmp_eq_u16_e32 vcc, 44, v2
	s_cbranch_vccz .LBB113_1184
; %bb.1183:
	global_load_ubyte v3, v[0:1], off
	s_movk_i32 s15, 0xff
	v_mov_b32_e32 v7, 0x7f800001
	v_mov_b32_e32 v8, 0x400000
	s_mov_b64 s[42:43], 0
	s_mov_b64 s[46:47], -1
	s_waitcnt vmcnt(0)
	v_lshlrev_b32_e32 v9, 23, v3
	v_cmp_ne_u32_e32 vcc, s15, v3
	v_cndmask_b32_e32 v7, v7, v9, vcc
	v_cmp_ne_u32_e32 vcc, 0, v3
	v_cndmask_b32_e32 v3, v8, v7, vcc
	s_branch .LBB113_1185
.LBB113_1184:
	s_mov_b64 s[42:43], -1
                                        ; implicit-def: $vgpr3
.LBB113_1185:
	s_mov_b64 s[48:49], 0
.LBB113_1186:
	s_and_b64 vcc, exec, s[48:49]
	s_cbranch_vccz .LBB113_1190
; %bb.1187:
	v_cmp_eq_u16_e32 vcc, 29, v2
	s_cbranch_vccz .LBB113_1189
; %bb.1188:
	global_load_dwordx2 v[8:9], v[0:1], off
	s_mov_b64 s[42:43], 0
	s_mov_b64 s[46:47], -1
	s_mov_b64 s[48:49], 0
	s_waitcnt vmcnt(0)
	v_ffbh_u32_e32 v3, v9
	v_min_u32_e32 v3, 32, v3
	v_lshlrev_b64 v[8:9], v3, v[8:9]
	v_min_u32_e32 v7, 1, v8
	v_or_b32_e32 v7, v9, v7
	v_cvt_f32_u32_e32 v7, v7
	v_sub_u32_e32 v3, 32, v3
	v_ldexp_f32 v3, v7, v3
	s_branch .LBB113_1191
.LBB113_1189:
	s_mov_b64 s[42:43], -1
                                        ; implicit-def: $vgpr3
.LBB113_1190:
	s_mov_b64 s[48:49], 0
.LBB113_1191:
	s_and_b64 vcc, exec, s[48:49]
	s_cbranch_vccz .LBB113_1209
; %bb.1192:
	v_cmp_gt_i16_e32 vcc, 27, v2
	s_cbranch_vccnz .LBB113_1195
; %bb.1193:
	v_cmp_lt_i16_e32 vcc, 27, v2
	s_cbranch_vccz .LBB113_1196
; %bb.1194:
	global_load_dword v3, v[0:1], off
	s_mov_b64 s[46:47], 0
	s_waitcnt vmcnt(0)
	v_cvt_f32_u32_e32 v3, v3
	s_branch .LBB113_1197
.LBB113_1195:
	s_mov_b64 s[46:47], -1
                                        ; implicit-def: $vgpr3
	s_branch .LBB113_1200
.LBB113_1196:
	s_mov_b64 s[46:47], -1
                                        ; implicit-def: $vgpr3
.LBB113_1197:
	s_andn2_b64 vcc, exec, s[46:47]
	s_cbranch_vccnz .LBB113_1199
; %bb.1198:
	global_load_ushort v3, v[0:1], off
	s_waitcnt vmcnt(0)
	v_cvt_f32_u32_e32 v3, v3
.LBB113_1199:
	s_mov_b64 s[46:47], 0
.LBB113_1200:
	s_andn2_b64 vcc, exec, s[46:47]
	s_cbranch_vccnz .LBB113_1208
; %bb.1201:
	global_load_ubyte v7, v[0:1], off
	s_movk_i32 s15, 0x7f
	s_mov_b64 s[46:47], 0
	s_waitcnt vmcnt(0)
	v_cmp_lt_i16_e32 vcc, s15, v7
                                        ; implicit-def: $sgpr15
	s_and_saveexec_b64 s[48:49], vcc
	s_xor_b64 s[48:49], exec, s[48:49]
	s_cbranch_execz .LBB113_1222
; %bb.1202:
	s_movk_i32 s15, 0x80
	v_cmp_eq_u16_e32 vcc, s15, v7
	s_mov_b64 s[46:47], -1
                                        ; implicit-def: $sgpr15
	s_and_saveexec_b64 s[50:51], vcc
; %bb.1203:
	s_mov_b32 s15, 0x7f800001
	s_xor_b64 s[46:47], exec, -1
; %bb.1204:
	s_or_b64 exec, exec, s[50:51]
	s_and_b64 s[46:47], s[46:47], exec
	s_or_saveexec_b64 s[48:49], s[48:49]
	v_mov_b32_e32 v3, s15
	s_xor_b64 exec, exec, s[48:49]
	s_cbranch_execnz .LBB113_1223
.LBB113_1205:
	s_or_b64 exec, exec, s[48:49]
	s_and_saveexec_b64 s[48:49], s[46:47]
	s_cbranch_execz .LBB113_1207
.LBB113_1206:
	v_lshlrev_b32_e32 v3, 24, v7
	v_and_b32_e32 v7, 0xffff, v7
	v_and_b32_e32 v8, 7, v7
	v_ffbh_u32_e32 v10, v8
	v_min_u32_e32 v10, 32, v10
	v_subrev_u32_e32 v11, 28, v10
	v_bfe_u32 v9, v7, 3, 4
	v_lshlrev_b32_e32 v7, v11, v7
	v_sub_u32_e32 v10, 29, v10
	v_and_b32_e32 v7, 7, v7
	v_cmp_eq_u32_e32 vcc, 0, v9
	v_cndmask_b32_e32 v9, v9, v10, vcc
	v_cndmask_b32_e32 v7, v8, v7, vcc
	v_mov_b32_e32 v8, 0x3b800000
	v_lshlrev_b32_e32 v7, 20, v7
	v_and_b32_e32 v3, 0x80000000, v3
	v_lshl_add_u32 v8, v9, 23, v8
	v_or3_b32 v3, v3, v8, v7
.LBB113_1207:
	s_or_b64 exec, exec, s[48:49]
.LBB113_1208:
	s_mov_b64 s[46:47], -1
.LBB113_1209:
	s_mov_b64 s[48:49], 0
.LBB113_1210:
	s_and_b64 vcc, exec, s[48:49]
	s_cbranch_vccz .LBB113_1243
; %bb.1211:
	v_cmp_lt_i16_e32 vcc, 22, v2
	s_cbranch_vccz .LBB113_1221
; %bb.1212:
	v_cmp_gt_i16_e32 vcc, 24, v2
	s_cbranch_vccnz .LBB113_1224
; %bb.1213:
	v_cmp_lt_i16_e32 vcc, 24, v2
	s_cbranch_vccz .LBB113_1225
; %bb.1214:
	global_load_ubyte v7, v[0:1], off
	s_movk_i32 s15, 0x7f
	s_waitcnt vmcnt(0)
	v_cmp_lt_i16_e32 vcc, s15, v7
                                        ; implicit-def: $sgpr15
	s_and_saveexec_b64 s[46:47], vcc
	s_xor_b64 s[46:47], exec, s[46:47]
	s_cbranch_execz .LBB113_1237
; %bb.1215:
	s_movk_i32 s15, 0x80
	v_cmp_eq_u16_e32 vcc, s15, v7
	s_mov_b64 s[44:45], -1
                                        ; implicit-def: $sgpr15
	s_and_saveexec_b64 s[48:49], vcc
; %bb.1216:
	s_mov_b32 s15, 0x7f800001
	s_xor_b64 s[44:45], exec, -1
; %bb.1217:
	s_or_b64 exec, exec, s[48:49]
	s_and_b64 s[44:45], s[44:45], exec
	s_or_saveexec_b64 s[46:47], s[46:47]
	v_mov_b32_e32 v3, s15
	s_xor_b64 exec, exec, s[46:47]
	s_cbranch_execnz .LBB113_1238
.LBB113_1218:
	s_or_b64 exec, exec, s[46:47]
	s_and_saveexec_b64 s[46:47], s[44:45]
	s_cbranch_execz .LBB113_1220
.LBB113_1219:
	v_lshlrev_b32_e32 v3, 24, v7
	v_and_b32_e32 v7, 0xffff, v7
	v_and_b32_e32 v8, 3, v7
	v_ffbh_u32_e32 v10, v8
	v_min_u32_e32 v10, 32, v10
	v_subrev_u32_e32 v11, 29, v10
	v_bfe_u32 v9, v7, 2, 5
	v_lshlrev_b32_e32 v7, v11, v7
	v_sub_u32_e32 v10, 30, v10
	v_and_b32_e32 v7, 3, v7
	v_cmp_eq_u32_e32 vcc, 0, v9
	v_cndmask_b32_e32 v9, v9, v10, vcc
	v_cndmask_b32_e32 v7, v8, v7, vcc
	v_mov_b32_e32 v8, 0x37800000
	v_lshlrev_b32_e32 v7, 21, v7
	v_and_b32_e32 v3, 0x80000000, v3
	v_lshl_add_u32 v8, v9, 23, v8
	v_or3_b32 v3, v3, v8, v7
.LBB113_1220:
	s_or_b64 exec, exec, s[46:47]
	s_mov_b64 s[44:45], 0
	s_branch .LBB113_1226
.LBB113_1221:
	s_mov_b64 s[44:45], -1
                                        ; implicit-def: $vgpr3
	s_branch .LBB113_1232
.LBB113_1222:
	s_or_saveexec_b64 s[48:49], s[48:49]
	v_mov_b32_e32 v3, s15
	s_xor_b64 exec, exec, s[48:49]
	s_cbranch_execz .LBB113_1205
.LBB113_1223:
	v_cmp_ne_u16_e32 vcc, 0, v7
	s_andn2_b64 s[46:47], s[46:47], exec
	s_and_b64 s[50:51], vcc, exec
	v_mov_b32_e32 v3, 0
	s_or_b64 s[46:47], s[46:47], s[50:51]
	s_or_b64 exec, exec, s[48:49]
	s_and_saveexec_b64 s[48:49], s[46:47]
	s_cbranch_execnz .LBB113_1206
	s_branch .LBB113_1207
.LBB113_1224:
	s_mov_b64 s[44:45], -1
                                        ; implicit-def: $vgpr3
	s_branch .LBB113_1229
.LBB113_1225:
	s_mov_b64 s[44:45], -1
                                        ; implicit-def: $vgpr3
.LBB113_1226:
	s_and_b64 vcc, exec, s[44:45]
	s_cbranch_vccz .LBB113_1228
; %bb.1227:
	global_load_ubyte v3, v[0:1], off
	s_mov_b32 s15, 0x7f800000
	s_waitcnt vmcnt(0)
	v_lshlrev_b32_e32 v3, 24, v3
	v_and_b32_e32 v7, 0x7f000000, v3
	v_ffbh_u32_e32 v8, v7
	v_min_u32_e32 v8, 32, v8
	v_sub_u32_e64 v8, v8, 4 clamp
	v_lshlrev_b32_e32 v10, v8, v7
	v_lshlrev_b32_e32 v8, 23, v8
	v_lshrrev_b32_e32 v10, 4, v10
	v_add_u32_e32 v9, 0x1000000, v7
	v_sub_u32_e32 v8, v10, v8
	v_ashrrev_i32_e32 v9, 8, v9
	v_add_u32_e32 v8, 0x3c000000, v8
	v_and_or_b32 v8, v9, s15, v8
	v_cmp_ne_u32_e32 vcc, 0, v7
	v_cndmask_b32_e32 v7, 0, v8, vcc
	s_brev_b32 s15, 1
	v_and_or_b32 v3, v3, s15, v7
.LBB113_1228:
	s_mov_b64 s[44:45], 0
.LBB113_1229:
	s_andn2_b64 vcc, exec, s[44:45]
	s_cbranch_vccnz .LBB113_1231
; %bb.1230:
	global_load_ubyte v3, v[0:1], off
	s_movk_i32 s15, 0x7f00
	s_brev_b32 s33, 16
	s_waitcnt vmcnt(0)
	v_lshlrev_b16_e32 v7, 8, v3
	v_lshlrev_b32_e32 v3, 25, v3
	v_lshrrev_b32_e32 v8, 4, v3
	v_and_or_b32 v9, v7, s15, 0.5
	v_or_b32_e32 v8, 0x70000000, v8
	v_add_f32_e32 v9, -0.5, v9
	v_mul_f32_e32 v8, 0x7800000, v8
	v_cmp_gt_u32_e32 vcc, s33, v3
	v_bfe_i32 v7, v7, 0, 16
	v_cndmask_b32_e32 v3, v8, v9, vcc
	s_brev_b32 s15, 1
	v_and_or_b32 v3, v7, s15, v3
.LBB113_1231:
	s_mov_b64 s[44:45], 0
	s_mov_b64 s[46:47], -1
.LBB113_1232:
	s_andn2_b64 vcc, exec, s[44:45]
	s_mov_b64 s[44:45], 0
	s_cbranch_vccnz .LBB113_1243
; %bb.1233:
	v_cmp_lt_i16_e32 vcc, 14, v2
	s_cbranch_vccz .LBB113_1236
; %bb.1234:
	v_cmp_eq_u16_e32 vcc, 15, v2
	s_cbranch_vccz .LBB113_1239
; %bb.1235:
	global_load_ushort v3, v[0:1], off
	s_mov_b64 s[42:43], 0
	s_mov_b64 s[46:47], -1
	s_waitcnt vmcnt(0)
	v_lshlrev_b32_e32 v3, 16, v3
	s_branch .LBB113_1240
.LBB113_1236:
	s_mov_b64 s[48:49], -1
                                        ; implicit-def: $vgpr3
	s_branch .LBB113_1241
.LBB113_1237:
	s_or_saveexec_b64 s[46:47], s[46:47]
	v_mov_b32_e32 v3, s15
	s_xor_b64 exec, exec, s[46:47]
	s_cbranch_execz .LBB113_1218
.LBB113_1238:
	v_cmp_ne_u16_e32 vcc, 0, v7
	s_andn2_b64 s[44:45], s[44:45], exec
	s_and_b64 s[48:49], vcc, exec
	v_mov_b32_e32 v3, 0
	s_or_b64 s[44:45], s[44:45], s[48:49]
	s_or_b64 exec, exec, s[46:47]
	s_and_saveexec_b64 s[46:47], s[44:45]
	s_cbranch_execnz .LBB113_1219
	s_branch .LBB113_1220
.LBB113_1239:
	s_mov_b64 s[42:43], -1
                                        ; implicit-def: $vgpr3
.LBB113_1240:
	s_mov_b64 s[48:49], 0
.LBB113_1241:
	s_and_b64 vcc, exec, s[48:49]
	s_cbranch_vccz .LBB113_1243
; %bb.1242:
	v_cmp_ne_u16_e32 vcc, 11, v2
	s_andn2_b64 s[42:43], s[42:43], exec
	s_and_b64 s[48:49], vcc, exec
	s_mov_b64 s[44:45], -1
	s_or_b64 s[42:43], s[42:43], s[48:49]
                                        ; implicit-def: $vgpr3
.LBB113_1243:
	s_mov_b64 s[48:49], 0
.LBB113_1244:
	s_and_b64 s[52:53], s[46:47], exec
	s_and_b64 s[46:47], s[44:45], exec
	s_andn2_b64 s[44:45], s[0:1], exec
	s_and_b64 s[42:43], s[42:43], exec
	s_and_b64 s[50:51], s[48:49], exec
	s_or_b64 s[48:49], s[44:45], s[42:43]
.LBB113_1245:
	s_or_b64 exec, exec, s[36:37]
	s_and_b64 s[42:43], s[46:47], exec
	s_andn2_b64 s[0:1], s[0:1], exec
	s_and_b64 s[46:47], s[48:49], exec
	s_and_b64 s[44:45], s[52:53], exec
	;; [unrolled: 1-line block ×3, first 2 shown]
	s_or_b64 s[0:1], s[0:1], s[46:47]
.LBB113_1246:
	s_or_b64 exec, exec, s[34:35]
	s_andn2_b64 s[28:29], s[28:29], exec
	s_and_b64 s[34:35], s[40:41], exec
	s_or_b64 s[28:29], s[28:29], s[34:35]
	s_andn2_b64 s[26:27], s[26:27], exec
	s_and_b64 s[34:35], s[38:39], exec
	s_andn2_b64 s[24:25], s[24:25], exec
	s_and_b64 s[0:1], s[0:1], exec
	s_or_b64 s[26:27], s[26:27], s[34:35]
	s_and_b64 s[38:39], s[44:45], exec
	s_and_b64 s[36:37], s[36:37], exec
	;; [unrolled: 1-line block ×3, first 2 shown]
	s_or_b64 s[24:25], s[24:25], s[0:1]
.LBB113_1247:
	s_or_b64 exec, exec, s[30:31]
	s_andn2_b64 s[0:1], s[6:7], exec
	s_and_b64 s[6:7], s[28:29], exec
	s_or_b64 s[6:7], s[0:1], s[6:7]
	s_andn2_b64 s[0:1], s[18:19], exec
	s_and_b64 s[18:19], s[26:27], exec
	s_or_b64 s[18:19], s[0:1], s[18:19]
	s_andn2_b64 s[0:1], s[20:21], exec
	s_and_b64 s[20:21], s[24:25], exec
	s_and_b64 s[28:29], s[38:39], exec
	;; [unrolled: 1-line block ×4, first 2 shown]
	s_or_b64 s[20:21], s[0:1], s[20:21]
	s_or_b64 exec, exec, s[22:23]
	s_mov_b64 s[22:23], 0
	s_and_saveexec_b64 s[0:1], s[20:21]
	s_cbranch_execz .LBB113_393
.LBB113_1248:
	s_mov_b64 s[22:23], exec
	s_andn2_b64 s[26:27], s[26:27], exec
	s_trap 2
                                        ; implicit-def: $vgpr3
	s_or_b64 exec, exec, s[0:1]
	s_and_saveexec_b64 s[0:1], s[26:27]
	s_xor_b64 s[0:1], exec, s[0:1]
	s_cbranch_execnz .LBB113_394
.LBB113_1249:
	s_or_b64 exec, exec, s[0:1]
	s_and_saveexec_b64 s[0:1], s[30:31]
	s_cbranch_execz .LBB113_1295
.LBB113_1250:
	s_waitcnt vmcnt(0)
	v_cmp_gt_i16_e32 vcc, 5, v2
	s_cbranch_vccnz .LBB113_1255
; %bb.1251:
	v_cmp_gt_i16_e32 vcc, 8, v2
	s_cbranch_vccnz .LBB113_1256
; %bb.1252:
	;; [unrolled: 3-line block ×3, first 2 shown]
	v_cmp_lt_i16_e32 vcc, 9, v2
	s_cbranch_vccz .LBB113_1258
; %bb.1254:
	global_load_dwordx2 v[8:9], v[0:1], off
	s_mov_b64 s[20:21], 0
	s_waitcnt vmcnt(0)
	v_cvt_f32_f64_e32 v3, v[8:9]
	s_branch .LBB113_1259
.LBB113_1255:
                                        ; implicit-def: $vgpr3
	s_branch .LBB113_1276
.LBB113_1256:
                                        ; implicit-def: $vgpr3
	s_branch .LBB113_1265
.LBB113_1257:
	s_mov_b64 s[20:21], -1
                                        ; implicit-def: $vgpr3
	s_branch .LBB113_1262
.LBB113_1258:
	s_mov_b64 s[20:21], -1
                                        ; implicit-def: $vgpr3
.LBB113_1259:
	s_andn2_b64 vcc, exec, s[20:21]
	s_cbranch_vccnz .LBB113_1261
; %bb.1260:
	global_load_dword v3, v[0:1], off
.LBB113_1261:
	s_mov_b64 s[20:21], 0
.LBB113_1262:
	s_andn2_b64 vcc, exec, s[20:21]
	s_cbranch_vccnz .LBB113_1264
; %bb.1263:
	global_load_dword v3, v[0:1], off
	s_waitcnt vmcnt(0)
	v_cvt_f32_f16_e32 v3, v3
.LBB113_1264:
	s_cbranch_execnz .LBB113_1275
.LBB113_1265:
	v_cmp_gt_i16_e32 vcc, 6, v2
	s_cbranch_vccnz .LBB113_1268
; %bb.1266:
	v_cmp_lt_i16_e32 vcc, 6, v2
	s_cbranch_vccz .LBB113_1269
; %bb.1267:
	global_load_dwordx2 v[8:9], v[0:1], off
	s_mov_b64 s[20:21], 0
	s_waitcnt vmcnt(0)
	v_cvt_f32_f64_e32 v3, v[8:9]
	s_branch .LBB113_1270
.LBB113_1268:
	s_mov_b64 s[20:21], -1
                                        ; implicit-def: $vgpr3
	s_branch .LBB113_1273
.LBB113_1269:
	s_mov_b64 s[20:21], -1
                                        ; implicit-def: $vgpr3
.LBB113_1270:
	s_andn2_b64 vcc, exec, s[20:21]
	s_cbranch_vccnz .LBB113_1272
; %bb.1271:
	global_load_dword v3, v[0:1], off
.LBB113_1272:
	s_mov_b64 s[20:21], 0
.LBB113_1273:
	s_andn2_b64 vcc, exec, s[20:21]
	s_cbranch_vccnz .LBB113_1275
; %bb.1274:
	global_load_ushort v3, v[0:1], off
	s_waitcnt vmcnt(0)
	v_cvt_f32_f16_e32 v3, v3
.LBB113_1275:
	s_cbranch_execnz .LBB113_1294
.LBB113_1276:
	v_cmp_gt_i16_e32 vcc, 2, v2
	s_cbranch_vccnz .LBB113_1280
; %bb.1277:
	v_cmp_gt_i16_e32 vcc, 3, v2
	s_cbranch_vccnz .LBB113_1281
; %bb.1278:
	v_cmp_lt_i16_e32 vcc, 3, v2
	s_cbranch_vccz .LBB113_1282
; %bb.1279:
	global_load_dwordx2 v[8:9], v[0:1], off
	s_mov_b64 s[20:21], 0
	s_waitcnt vmcnt(0)
	v_xor_b32_e32 v7, v8, v9
	v_ffbh_i32_e32 v3, v9
	v_ashrrev_i32_e32 v7, 31, v7
	v_add_u32_e32 v3, -1, v3
	v_add_u32_e32 v7, 32, v7
	v_min_u32_e32 v3, v3, v7
	v_lshlrev_b64 v[8:9], v3, v[8:9]
	v_min_u32_e32 v7, 1, v8
	v_or_b32_e32 v7, v9, v7
	v_cvt_f32_i32_e32 v7, v7
	v_sub_u32_e32 v3, 32, v3
	v_ldexp_f32 v3, v7, v3
	s_branch .LBB113_1283
.LBB113_1280:
                                        ; implicit-def: $vgpr3
	s_branch .LBB113_1289
.LBB113_1281:
	s_mov_b64 s[20:21], -1
                                        ; implicit-def: $vgpr3
	s_branch .LBB113_1286
.LBB113_1282:
	s_mov_b64 s[20:21], -1
                                        ; implicit-def: $vgpr3
.LBB113_1283:
	s_andn2_b64 vcc, exec, s[20:21]
	s_cbranch_vccnz .LBB113_1285
; %bb.1284:
	global_load_dword v3, v[0:1], off
	s_waitcnt vmcnt(0)
	v_cvt_f32_i32_e32 v3, v3
.LBB113_1285:
	s_mov_b64 s[20:21], 0
.LBB113_1286:
	s_andn2_b64 vcc, exec, s[20:21]
	s_cbranch_vccnz .LBB113_1288
; %bb.1287:
	global_load_sshort v3, v[0:1], off
	s_waitcnt vmcnt(0)
	v_cvt_f32_i32_e32 v3, v3
.LBB113_1288:
	s_cbranch_execnz .LBB113_1294
.LBB113_1289:
	v_cmp_lt_i16_e32 vcc, 0, v2
	s_cbranch_vccz .LBB113_1291
; %bb.1290:
	global_load_sbyte v2, v[0:1], off
	s_mov_b64 s[20:21], 0
	s_waitcnt vmcnt(0)
	v_cvt_f32_i32_e32 v3, v2
	s_branch .LBB113_1292
.LBB113_1291:
	s_mov_b64 s[20:21], -1
                                        ; implicit-def: $vgpr3
.LBB113_1292:
	s_andn2_b64 vcc, exec, s[20:21]
	s_cbranch_vccnz .LBB113_1294
; %bb.1293:
	global_load_ubyte v0, v[0:1], off
	s_waitcnt vmcnt(0)
	v_cvt_f32_ubyte0_e32 v3, v0
.LBB113_1294:
	s_or_b64 s[28:29], s[28:29], exec
.LBB113_1295:
	s_or_b64 exec, exec, s[0:1]
	s_mov_b64 s[24:25], 0
	s_mov_b64 s[30:31], 0
	;; [unrolled: 1-line block ×3, first 2 shown]
                                        ; implicit-def: $vgpr2
                                        ; implicit-def: $vgpr0_vgpr1
                                        ; implicit-def: $vgpr7
	s_and_saveexec_b64 s[0:1], s[28:29]
	s_cbranch_execz .LBB113_1303
; %bb.1296:
	v_mul_lo_u32 v0, v5, s14
	v_ashrrev_i32_e32 v1, 31, v0
	s_waitcnt vmcnt(0)
	v_mov_b32_e32 v2, s3
	v_add_co_u32_e32 v0, vcc, s2, v0
	v_addc_co_u32_e32 v1, vcc, v2, v1, vcc
	v_and_b32_e32 v2, 0xff, v6
	v_cmp_gt_i16_e32 vcc, 11, v2
	s_cbranch_vccnz .LBB113_1306
; %bb.1297:
	v_cmp_lt_i16_e32 vcc, 25, v2
	s_cbranch_vccz .LBB113_1307
; %bb.1298:
	v_cmp_lt_i16_e32 vcc, 28, v2
	s_cbranch_vccz .LBB113_1308
	;; [unrolled: 3-line block ×4, first 2 shown]
; %bb.1301:
	v_cmp_eq_u16_e32 vcc, 46, v2
	s_mov_b64 s[28:29], 0
	s_cbranch_vccz .LBB113_1311
; %bb.1302:
	global_load_dword v6, v[0:1], off
	s_mov_b64 s[20:21], 0
	s_mov_b64 s[26:27], -1
	s_waitcnt vmcnt(0)
	v_lshlrev_b32_e32 v7, 16, v6
	s_branch .LBB113_1313
.LBB113_1303:
	s_or_b64 exec, exec, s[0:1]
	s_and_saveexec_b64 s[0:1], s[18:19]
	s_cbranch_execnz .LBB113_1376
.LBB113_1304:
	s_or_b64 exec, exec, s[0:1]
	s_and_saveexec_b64 s[0:1], s[24:25]
	s_xor_b64 s[0:1], exec, s[0:1]
	s_cbranch_execz .LBB113_1377
.LBB113_1305:
	global_load_ubyte v6, v[0:1], off
	s_or_b64 s[26:27], s[26:27], exec
	s_waitcnt vmcnt(0)
	v_cmp_ne_u16_e32 vcc, 0, v6
	v_cndmask_b32_e64 v7, 0, 1.0, vcc
	s_or_b64 exec, exec, s[0:1]
	s_and_saveexec_b64 s[0:1], s[30:31]
	s_cbranch_execz .LBB113_1423
	s_branch .LBB113_1378
.LBB113_1306:
	s_mov_b64 s[28:29], -1
                                        ; implicit-def: $vgpr7
	s_mov_b64 s[20:21], s[18:19]
	s_branch .LBB113_1375
.LBB113_1307:
	s_mov_b64 s[20:21], s[18:19]
                                        ; implicit-def: $vgpr7
	s_cbranch_execnz .LBB113_1342
	s_branch .LBB113_1374
.LBB113_1308:
	s_mov_b64 s[28:29], -1
	s_mov_b64 s[20:21], s[18:19]
                                        ; implicit-def: $vgpr7
	s_branch .LBB113_1323
.LBB113_1309:
	s_mov_b64 s[28:29], -1
	s_mov_b64 s[20:21], s[18:19]
                                        ; implicit-def: $vgpr7
	s_branch .LBB113_1318
.LBB113_1310:
	s_mov_b64 s[28:29], -1
	s_mov_b64 s[20:21], s[18:19]
	s_branch .LBB113_1312
.LBB113_1311:
	s_mov_b64 s[20:21], -1
.LBB113_1312:
                                        ; implicit-def: $vgpr7
.LBB113_1313:
	s_and_b64 vcc, exec, s[28:29]
	s_cbranch_vccz .LBB113_1317
; %bb.1314:
	v_cmp_eq_u16_e32 vcc, 44, v2
	s_cbranch_vccz .LBB113_1316
; %bb.1315:
	global_load_ubyte v6, v[0:1], off
	s_movk_i32 s15, 0xff
	v_mov_b32_e32 v7, 0x7f800001
	v_mov_b32_e32 v8, 0x400000
	s_mov_b64 s[20:21], 0
	s_mov_b64 s[26:27], -1
	s_waitcnt vmcnt(0)
	v_lshlrev_b32_e32 v9, 23, v6
	v_cmp_ne_u32_e32 vcc, s15, v6
	v_cndmask_b32_e32 v7, v7, v9, vcc
	v_cmp_ne_u32_e32 vcc, 0, v6
	v_cndmask_b32_e32 v7, v8, v7, vcc
	s_branch .LBB113_1317
.LBB113_1316:
	s_mov_b64 s[20:21], -1
                                        ; implicit-def: $vgpr7
.LBB113_1317:
	s_mov_b64 s[28:29], 0
.LBB113_1318:
	s_and_b64 vcc, exec, s[28:29]
	s_cbranch_vccz .LBB113_1322
; %bb.1319:
	v_cmp_eq_u16_e32 vcc, 29, v2
	s_cbranch_vccz .LBB113_1321
; %bb.1320:
	global_load_dwordx2 v[6:7], v[0:1], off
	s_mov_b64 s[20:21], 0
	s_mov_b64 s[26:27], -1
	s_mov_b64 s[28:29], 0
	s_waitcnt vmcnt(0)
	v_ffbh_u32_e32 v8, v7
	v_min_u32_e32 v8, 32, v8
	v_lshlrev_b64 v[6:7], v8, v[6:7]
	v_min_u32_e32 v6, 1, v6
	v_or_b32_e32 v6, v7, v6
	v_cvt_f32_u32_e32 v6, v6
	v_sub_u32_e32 v7, 32, v8
	v_ldexp_f32 v7, v6, v7
	s_branch .LBB113_1323
.LBB113_1321:
	s_mov_b64 s[20:21], -1
                                        ; implicit-def: $vgpr7
.LBB113_1322:
	s_mov_b64 s[28:29], 0
.LBB113_1323:
	s_and_b64 vcc, exec, s[28:29]
	s_cbranch_vccz .LBB113_1341
; %bb.1324:
	v_cmp_gt_i16_e32 vcc, 27, v2
	s_cbranch_vccnz .LBB113_1327
; %bb.1325:
	v_cmp_lt_i16_e32 vcc, 27, v2
	s_cbranch_vccz .LBB113_1328
; %bb.1326:
	global_load_dword v6, v[0:1], off
	s_mov_b64 s[26:27], 0
	s_waitcnt vmcnt(0)
	v_cvt_f32_u32_e32 v7, v6
	s_branch .LBB113_1329
.LBB113_1327:
	s_mov_b64 s[26:27], -1
                                        ; implicit-def: $vgpr7
	s_branch .LBB113_1332
.LBB113_1328:
	s_mov_b64 s[26:27], -1
                                        ; implicit-def: $vgpr7
.LBB113_1329:
	s_andn2_b64 vcc, exec, s[26:27]
	s_cbranch_vccnz .LBB113_1331
; %bb.1330:
	global_load_ushort v6, v[0:1], off
	s_waitcnt vmcnt(0)
	v_cvt_f32_u32_e32 v7, v6
.LBB113_1331:
	s_mov_b64 s[26:27], 0
.LBB113_1332:
	s_andn2_b64 vcc, exec, s[26:27]
	s_cbranch_vccnz .LBB113_1340
; %bb.1333:
	global_load_ubyte v6, v[0:1], off
	s_movk_i32 s15, 0x7f
	s_mov_b64 s[26:27], 0
	s_waitcnt vmcnt(0)
	v_cmp_lt_i16_e32 vcc, s15, v6
                                        ; implicit-def: $sgpr15
	s_and_saveexec_b64 s[28:29], vcc
	s_xor_b64 s[28:29], exec, s[28:29]
	s_cbranch_execz .LBB113_1353
; %bb.1334:
	s_movk_i32 s15, 0x80
	v_cmp_eq_u16_e32 vcc, s15, v6
	s_mov_b64 s[26:27], -1
                                        ; implicit-def: $sgpr15
	s_and_saveexec_b64 s[30:31], vcc
; %bb.1335:
	s_mov_b32 s15, 0x7f800001
	s_xor_b64 s[26:27], exec, -1
; %bb.1336:
	s_or_b64 exec, exec, s[30:31]
	s_and_b64 s[26:27], s[26:27], exec
	s_or_saveexec_b64 s[28:29], s[28:29]
	v_mov_b32_e32 v7, s15
	s_xor_b64 exec, exec, s[28:29]
	s_cbranch_execnz .LBB113_1354
.LBB113_1337:
	s_or_b64 exec, exec, s[28:29]
	s_and_saveexec_b64 s[28:29], s[26:27]
	s_cbranch_execz .LBB113_1339
.LBB113_1338:
	v_lshlrev_b32_e32 v7, 24, v6
	v_and_b32_e32 v6, 0xffff, v6
	v_and_b32_e32 v8, 7, v6
	v_ffbh_u32_e32 v10, v8
	v_min_u32_e32 v10, 32, v10
	v_subrev_u32_e32 v11, 28, v10
	v_bfe_u32 v9, v6, 3, 4
	v_lshlrev_b32_e32 v6, v11, v6
	v_sub_u32_e32 v10, 29, v10
	v_and_b32_e32 v6, 7, v6
	v_cmp_eq_u32_e32 vcc, 0, v9
	v_cndmask_b32_e32 v9, v9, v10, vcc
	v_cndmask_b32_e32 v6, v8, v6, vcc
	v_mov_b32_e32 v8, 0x3b800000
	v_lshlrev_b32_e32 v6, 20, v6
	v_and_b32_e32 v7, 0x80000000, v7
	v_lshl_add_u32 v8, v9, 23, v8
	v_or3_b32 v7, v7, v8, v6
.LBB113_1339:
	s_or_b64 exec, exec, s[28:29]
.LBB113_1340:
	s_mov_b64 s[26:27], -1
.LBB113_1341:
	s_branch .LBB113_1374
.LBB113_1342:
	v_cmp_lt_i16_e32 vcc, 22, v2
	s_cbranch_vccz .LBB113_1352
; %bb.1343:
	v_cmp_gt_i16_e32 vcc, 24, v2
	s_cbranch_vccnz .LBB113_1355
; %bb.1344:
	v_cmp_lt_i16_e32 vcc, 24, v2
	s_cbranch_vccz .LBB113_1356
; %bb.1345:
	global_load_ubyte v6, v[0:1], off
	s_movk_i32 s15, 0x7f
	s_waitcnt vmcnt(0)
	v_cmp_lt_i16_e32 vcc, s15, v6
                                        ; implicit-def: $sgpr15
	s_and_saveexec_b64 s[26:27], vcc
	s_xor_b64 s[26:27], exec, s[26:27]
	s_cbranch_execz .LBB113_1368
; %bb.1346:
	s_movk_i32 s15, 0x80
	v_cmp_eq_u16_e32 vcc, s15, v6
	s_mov_b64 s[24:25], -1
                                        ; implicit-def: $sgpr15
	s_and_saveexec_b64 s[28:29], vcc
; %bb.1347:
	s_mov_b32 s15, 0x7f800001
	s_xor_b64 s[24:25], exec, -1
; %bb.1348:
	s_or_b64 exec, exec, s[28:29]
	s_and_b64 s[24:25], s[24:25], exec
	s_or_saveexec_b64 s[26:27], s[26:27]
	v_mov_b32_e32 v7, s15
	s_xor_b64 exec, exec, s[26:27]
	s_cbranch_execnz .LBB113_1369
.LBB113_1349:
	s_or_b64 exec, exec, s[26:27]
	s_and_saveexec_b64 s[26:27], s[24:25]
	s_cbranch_execz .LBB113_1351
.LBB113_1350:
	v_lshlrev_b32_e32 v7, 24, v6
	v_and_b32_e32 v6, 0xffff, v6
	v_and_b32_e32 v8, 3, v6
	v_ffbh_u32_e32 v10, v8
	v_min_u32_e32 v10, 32, v10
	v_subrev_u32_e32 v11, 29, v10
	v_bfe_u32 v9, v6, 2, 5
	v_lshlrev_b32_e32 v6, v11, v6
	v_sub_u32_e32 v10, 30, v10
	v_and_b32_e32 v6, 3, v6
	v_cmp_eq_u32_e32 vcc, 0, v9
	v_cndmask_b32_e32 v9, v9, v10, vcc
	v_cndmask_b32_e32 v6, v8, v6, vcc
	v_mov_b32_e32 v8, 0x37800000
	v_lshlrev_b32_e32 v6, 21, v6
	v_and_b32_e32 v7, 0x80000000, v7
	v_lshl_add_u32 v8, v9, 23, v8
	v_or3_b32 v7, v7, v8, v6
.LBB113_1351:
	s_or_b64 exec, exec, s[26:27]
	s_mov_b64 s[24:25], 0
	s_branch .LBB113_1357
.LBB113_1352:
	s_mov_b64 s[24:25], -1
                                        ; implicit-def: $vgpr7
	s_branch .LBB113_1363
.LBB113_1353:
	s_or_saveexec_b64 s[28:29], s[28:29]
	v_mov_b32_e32 v7, s15
	s_xor_b64 exec, exec, s[28:29]
	s_cbranch_execz .LBB113_1337
.LBB113_1354:
	v_cmp_ne_u16_e32 vcc, 0, v6
	s_andn2_b64 s[26:27], s[26:27], exec
	s_and_b64 s[30:31], vcc, exec
	v_mov_b32_e32 v7, 0
	s_or_b64 s[26:27], s[26:27], s[30:31]
	s_or_b64 exec, exec, s[28:29]
	s_and_saveexec_b64 s[28:29], s[26:27]
	s_cbranch_execnz .LBB113_1338
	s_branch .LBB113_1339
.LBB113_1355:
	s_mov_b64 s[24:25], -1
                                        ; implicit-def: $vgpr7
	s_branch .LBB113_1360
.LBB113_1356:
	s_mov_b64 s[24:25], -1
                                        ; implicit-def: $vgpr7
.LBB113_1357:
	s_and_b64 vcc, exec, s[24:25]
	s_cbranch_vccz .LBB113_1359
; %bb.1358:
	global_load_ubyte v6, v[0:1], off
	s_mov_b32 s15, 0x7f800000
	s_waitcnt vmcnt(0)
	v_lshlrev_b32_e32 v6, 24, v6
	v_and_b32_e32 v7, 0x7f000000, v6
	v_ffbh_u32_e32 v8, v7
	v_min_u32_e32 v8, 32, v8
	v_sub_u32_e64 v8, v8, 4 clamp
	v_lshlrev_b32_e32 v10, v8, v7
	v_lshlrev_b32_e32 v8, 23, v8
	v_lshrrev_b32_e32 v10, 4, v10
	v_add_u32_e32 v9, 0x1000000, v7
	v_sub_u32_e32 v8, v10, v8
	v_ashrrev_i32_e32 v9, 8, v9
	v_add_u32_e32 v8, 0x3c000000, v8
	v_and_or_b32 v8, v9, s15, v8
	v_cmp_ne_u32_e32 vcc, 0, v7
	v_cndmask_b32_e32 v7, 0, v8, vcc
	s_brev_b32 s15, 1
	v_and_or_b32 v7, v6, s15, v7
.LBB113_1359:
	s_mov_b64 s[24:25], 0
.LBB113_1360:
	s_andn2_b64 vcc, exec, s[24:25]
	s_cbranch_vccnz .LBB113_1362
; %bb.1361:
	global_load_ubyte v6, v[0:1], off
	s_movk_i32 s15, 0x7f00
	s_brev_b32 s24, 16
	s_waitcnt vmcnt(0)
	v_lshlrev_b16_e32 v7, 8, v6
	v_lshlrev_b32_e32 v6, 25, v6
	v_lshrrev_b32_e32 v8, 4, v6
	v_and_or_b32 v9, v7, s15, 0.5
	v_or_b32_e32 v8, 0x70000000, v8
	v_add_f32_e32 v9, -0.5, v9
	v_mul_f32_e32 v8, 0x7800000, v8
	v_cmp_gt_u32_e32 vcc, s24, v6
	v_bfe_i32 v7, v7, 0, 16
	v_cndmask_b32_e32 v6, v8, v9, vcc
	s_brev_b32 s15, 1
	v_and_or_b32 v7, v7, s15, v6
.LBB113_1362:
	s_mov_b64 s[24:25], 0
	s_mov_b64 s[26:27], -1
.LBB113_1363:
	s_andn2_b64 vcc, exec, s[24:25]
	s_mov_b64 s[24:25], 0
	s_cbranch_vccnz .LBB113_1374
; %bb.1364:
	v_cmp_lt_i16_e32 vcc, 14, v2
	s_cbranch_vccz .LBB113_1367
; %bb.1365:
	v_cmp_eq_u16_e32 vcc, 15, v2
	s_cbranch_vccz .LBB113_1370
; %bb.1366:
	global_load_ushort v6, v[0:1], off
	s_mov_b64 s[20:21], 0
	s_mov_b64 s[26:27], -1
	s_waitcnt vmcnt(0)
	v_lshlrev_b32_e32 v7, 16, v6
	s_branch .LBB113_1371
.LBB113_1367:
	s_mov_b64 s[28:29], -1
                                        ; implicit-def: $vgpr7
	s_branch .LBB113_1372
.LBB113_1368:
	s_or_saveexec_b64 s[26:27], s[26:27]
	v_mov_b32_e32 v7, s15
	s_xor_b64 exec, exec, s[26:27]
	s_cbranch_execz .LBB113_1349
.LBB113_1369:
	v_cmp_ne_u16_e32 vcc, 0, v6
	s_andn2_b64 s[24:25], s[24:25], exec
	s_and_b64 s[28:29], vcc, exec
	v_mov_b32_e32 v7, 0
	s_or_b64 s[24:25], s[24:25], s[28:29]
	s_or_b64 exec, exec, s[26:27]
	s_and_saveexec_b64 s[26:27], s[24:25]
	s_cbranch_execnz .LBB113_1350
	s_branch .LBB113_1351
.LBB113_1370:
	s_mov_b64 s[20:21], -1
                                        ; implicit-def: $vgpr7
.LBB113_1371:
	s_mov_b64 s[28:29], 0
.LBB113_1372:
	s_and_b64 vcc, exec, s[28:29]
	s_cbranch_vccz .LBB113_1374
; %bb.1373:
	v_cmp_ne_u16_e32 vcc, 11, v2
	s_andn2_b64 s[20:21], s[20:21], exec
	s_and_b64 s[28:29], vcc, exec
	s_mov_b64 s[24:25], -1
	s_or_b64 s[20:21], s[20:21], s[28:29]
                                        ; implicit-def: $vgpr7
.LBB113_1374:
	s_mov_b64 s[28:29], 0
.LBB113_1375:
	s_andn2_b64 s[18:19], s[18:19], exec
	s_and_b64 s[20:21], s[20:21], exec
	s_and_b64 s[26:27], s[26:27], exec
	;; [unrolled: 1-line block ×4, first 2 shown]
	s_or_b64 s[18:19], s[18:19], s[20:21]
	s_or_b64 exec, exec, s[0:1]
	s_and_saveexec_b64 s[0:1], s[18:19]
	s_cbranch_execz .LBB113_1304
.LBB113_1376:
	s_or_b64 s[22:23], s[22:23], exec
	s_andn2_b64 s[24:25], s[24:25], exec
	s_trap 2
                                        ; implicit-def: $vgpr7
	s_or_b64 exec, exec, s[0:1]
	s_and_saveexec_b64 s[0:1], s[24:25]
	s_xor_b64 s[0:1], exec, s[0:1]
	s_cbranch_execnz .LBB113_1305
.LBB113_1377:
	s_or_b64 exec, exec, s[0:1]
	s_and_saveexec_b64 s[0:1], s[30:31]
	s_cbranch_execz .LBB113_1423
.LBB113_1378:
	s_waitcnt vmcnt(0)
	v_cmp_gt_i16_e32 vcc, 5, v2
	s_cbranch_vccnz .LBB113_1383
; %bb.1379:
	v_cmp_gt_i16_e32 vcc, 8, v2
	s_cbranch_vccnz .LBB113_1384
; %bb.1380:
	;; [unrolled: 3-line block ×3, first 2 shown]
	v_cmp_lt_i16_e32 vcc, 9, v2
	s_cbranch_vccz .LBB113_1386
; %bb.1382:
	global_load_dwordx2 v[6:7], v[0:1], off
	s_mov_b64 s[18:19], 0
	s_waitcnt vmcnt(0)
	v_cvt_f32_f64_e32 v7, v[6:7]
	s_branch .LBB113_1387
.LBB113_1383:
                                        ; implicit-def: $vgpr7
	s_branch .LBB113_1404
.LBB113_1384:
                                        ; implicit-def: $vgpr7
	s_branch .LBB113_1393
.LBB113_1385:
	s_mov_b64 s[18:19], -1
                                        ; implicit-def: $vgpr7
	s_branch .LBB113_1390
.LBB113_1386:
	s_mov_b64 s[18:19], -1
                                        ; implicit-def: $vgpr7
.LBB113_1387:
	s_andn2_b64 vcc, exec, s[18:19]
	s_cbranch_vccnz .LBB113_1389
; %bb.1388:
	global_load_dword v7, v[0:1], off
.LBB113_1389:
	s_mov_b64 s[18:19], 0
.LBB113_1390:
	s_andn2_b64 vcc, exec, s[18:19]
	s_cbranch_vccnz .LBB113_1392
; %bb.1391:
	global_load_dword v6, v[0:1], off
	s_waitcnt vmcnt(0)
	v_cvt_f32_f16_e32 v7, v6
.LBB113_1392:
	s_cbranch_execnz .LBB113_1403
.LBB113_1393:
	v_cmp_gt_i16_e32 vcc, 6, v2
	s_cbranch_vccnz .LBB113_1396
; %bb.1394:
	v_cmp_lt_i16_e32 vcc, 6, v2
	s_cbranch_vccz .LBB113_1397
; %bb.1395:
	global_load_dwordx2 v[6:7], v[0:1], off
	s_mov_b64 s[18:19], 0
	s_waitcnt vmcnt(0)
	v_cvt_f32_f64_e32 v7, v[6:7]
	s_branch .LBB113_1398
.LBB113_1396:
	s_mov_b64 s[18:19], -1
                                        ; implicit-def: $vgpr7
	s_branch .LBB113_1401
.LBB113_1397:
	s_mov_b64 s[18:19], -1
                                        ; implicit-def: $vgpr7
.LBB113_1398:
	s_andn2_b64 vcc, exec, s[18:19]
	s_cbranch_vccnz .LBB113_1400
; %bb.1399:
	global_load_dword v7, v[0:1], off
.LBB113_1400:
	s_mov_b64 s[18:19], 0
.LBB113_1401:
	s_andn2_b64 vcc, exec, s[18:19]
	s_cbranch_vccnz .LBB113_1403
; %bb.1402:
	global_load_ushort v6, v[0:1], off
	s_waitcnt vmcnt(0)
	v_cvt_f32_f16_e32 v7, v6
.LBB113_1403:
	s_cbranch_execnz .LBB113_1422
.LBB113_1404:
	v_cmp_gt_i16_e32 vcc, 2, v2
	s_cbranch_vccnz .LBB113_1408
; %bb.1405:
	v_cmp_gt_i16_e32 vcc, 3, v2
	s_cbranch_vccnz .LBB113_1409
; %bb.1406:
	v_cmp_lt_i16_e32 vcc, 3, v2
	s_cbranch_vccz .LBB113_1410
; %bb.1407:
	global_load_dwordx2 v[6:7], v[0:1], off
	s_mov_b64 s[18:19], 0
	s_waitcnt vmcnt(0)
	v_xor_b32_e32 v9, v6, v7
	v_ffbh_i32_e32 v8, v7
	v_ashrrev_i32_e32 v9, 31, v9
	v_add_u32_e32 v8, -1, v8
	v_add_u32_e32 v9, 32, v9
	v_min_u32_e32 v8, v8, v9
	v_lshlrev_b64 v[6:7], v8, v[6:7]
	v_min_u32_e32 v6, 1, v6
	v_or_b32_e32 v6, v7, v6
	v_cvt_f32_i32_e32 v6, v6
	v_sub_u32_e32 v7, 32, v8
	v_ldexp_f32 v7, v6, v7
	s_branch .LBB113_1411
.LBB113_1408:
                                        ; implicit-def: $vgpr7
	s_branch .LBB113_1417
.LBB113_1409:
	s_mov_b64 s[18:19], -1
                                        ; implicit-def: $vgpr7
	s_branch .LBB113_1414
.LBB113_1410:
	s_mov_b64 s[18:19], -1
                                        ; implicit-def: $vgpr7
.LBB113_1411:
	s_andn2_b64 vcc, exec, s[18:19]
	s_cbranch_vccnz .LBB113_1413
; %bb.1412:
	global_load_dword v6, v[0:1], off
	s_waitcnt vmcnt(0)
	v_cvt_f32_i32_e32 v7, v6
.LBB113_1413:
	s_mov_b64 s[18:19], 0
.LBB113_1414:
	s_andn2_b64 vcc, exec, s[18:19]
	s_cbranch_vccnz .LBB113_1416
; %bb.1415:
	global_load_sshort v6, v[0:1], off
	s_waitcnt vmcnt(0)
	v_cvt_f32_i32_e32 v7, v6
.LBB113_1416:
	s_cbranch_execnz .LBB113_1422
.LBB113_1417:
	v_cmp_lt_i16_e32 vcc, 0, v2
	s_cbranch_vccz .LBB113_1419
; %bb.1418:
	global_load_sbyte v2, v[0:1], off
	s_mov_b64 s[18:19], 0
	s_waitcnt vmcnt(0)
	v_cvt_f32_i32_e32 v7, v2
	s_branch .LBB113_1420
.LBB113_1419:
	s_mov_b64 s[18:19], -1
                                        ; implicit-def: $vgpr7
.LBB113_1420:
	s_andn2_b64 vcc, exec, s[18:19]
	s_cbranch_vccnz .LBB113_1422
; %bb.1421:
	global_load_ubyte v0, v[0:1], off
	s_waitcnt vmcnt(0)
	v_cvt_f32_ubyte0_e32 v7, v0
.LBB113_1422:
	s_or_b64 s[26:27], s[26:27], exec
.LBB113_1423:
	s_or_b64 exec, exec, s[0:1]
	s_mov_b64 s[24:25], 0
	s_mov_b64 s[20:21], 0
                                        ; implicit-def: $vgpr6
                                        ; implicit-def: $vgpr0_vgpr1
                                        ; implicit-def: $vgpr2
	s_and_saveexec_b64 s[18:19], s[26:27]
	s_cbranch_execz .LBB113_1441
; %bb.1424:
	v_mul_lo_u32 v0, v5, s12
	v_ashrrev_i32_e32 v1, 31, v0
	v_mov_b32_e32 v5, s9
	v_add_co_u32_e32 v0, vcc, s8, v0
	v_addc_co_u32_e32 v1, vcc, v5, v1, vcc
	s_waitcnt vmcnt(0)
	v_and_b32_e32 v6, 0xff, v4
	s_brev_b32 s0, -2
	v_cmp_gt_i16_e32 vcc, 11, v6
	v_bfi_b32 v2, s0, v3, v7
	s_cbranch_vccnz .LBB113_1444
; %bb.1425:
	v_cmp_lt_i16_e32 vcc, 25, v6
	s_mov_b64 s[24:25], -1
	s_mov_b64 s[0:1], s[6:7]
	s_cbranch_vccz .LBB113_1462
; %bb.1426:
	v_cmp_lt_i16_e32 vcc, 28, v6
	s_mov_b64 s[20:21], -1
	s_mov_b64 s[0:1], s[6:7]
	s_cbranch_vccz .LBB113_1446
; %bb.1427:
	v_cmp_lt_i16_e32 vcc, 43, v6
	s_mov_b64 s[0:1], s[6:7]
	s_cbranch_vccz .LBB113_1438
; %bb.1428:
	v_cmp_lt_i16_e32 vcc, 45, v6
	s_mov_b64 s[0:1], s[6:7]
	s_cbranch_vccz .LBB113_1432
; %bb.1429:
	v_cmp_eq_u16_e32 vcc, 46, v6
	s_mov_b64 s[0:1], -1
	s_cbranch_vccz .LBB113_1431
; %bb.1430:
	v_bfe_u32 v4, v2, 16, 1
	s_movk_i32 s0, 0x7fff
	v_add3_u32 v4, v2, v4, s0
	v_lshrrev_b32_e32 v4, 16, v4
	v_mov_b32_e32 v5, 0x7fc0
	v_cmp_o_f32_e32 vcc, v2, v2
	v_cndmask_b32_e32 v4, v5, v4, vcc
	global_store_dword v[0:1], v4, off
	s_mov_b64 s[0:1], 0
.LBB113_1431:
	s_mov_b64 s[20:21], 0
.LBB113_1432:
	s_and_b64 vcc, exec, s[20:21]
	s_cbranch_vccz .LBB113_1437
; %bb.1433:
	v_cmp_eq_u16_e32 vcc, 44, v6
	s_mov_b64 s[0:1], -1
	s_cbranch_vccz .LBB113_1437
; %bb.1434:
	v_bfe_u32 v4, v2, 23, 8
	s_movk_i32 s0, 0xff
	v_cmp_ne_u32_e32 vcc, s0, v4
	v_mov_b32_e32 v5, 0xff
	s_and_saveexec_b64 s[20:21], vcc
; %bb.1435:
	s_mov_b32 s0, 0x3fffff
	v_and_b32_e32 v7, 0x400000, v2
	v_and_or_b32 v4, v2, s0, v4
	v_cmp_ne_u32_e32 vcc, 0, v7
	v_cmp_ne_u32_e64 s[0:1], 0, v4
	s_and_b64 s[0:1], vcc, s[0:1]
	v_lshrrev_b32_e32 v5, 23, v2
	v_cndmask_b32_e64 v4, 0, 1, s[0:1]
	v_add_u32_e32 v5, v5, v4
; %bb.1436:
	s_or_b64 exec, exec, s[20:21]
	s_mov_b64 s[0:1], 0
	global_store_byte v[0:1], v5, off
.LBB113_1437:
	s_mov_b64 s[20:21], 0
.LBB113_1438:
	s_and_b64 vcc, exec, s[20:21]
	s_cbranch_vccz .LBB113_1445
; %bb.1439:
	v_cmp_eq_u16_e32 vcc, 29, v6
	s_mov_b64 s[0:1], -1
	s_cbranch_vccz .LBB113_1445
; %bb.1440:
	v_trunc_f32_e32 v4, v2
	v_mul_f32_e32 v5, 0x2f800000, v4
	v_floor_f32_e32 v7, v5
	v_fmac_f32_e32 v4, 0xcf800000, v7
	v_cvt_u32_f32_e32 v5, v7
	v_cvt_u32_f32_e32 v4, v4
	s_mov_b64 s[0:1], 0
	s_mov_b64 s[20:21], 0
	global_store_dwordx2 v[0:1], v[4:5], off
	s_branch .LBB113_1446
.LBB113_1441:
	s_or_b64 exec, exec, s[18:19]
	s_and_saveexec_b64 s[0:1], s[6:7]
	s_cbranch_execnz .LBB113_1504
.LBB113_1442:
	s_or_b64 exec, exec, s[0:1]
	s_and_saveexec_b64 s[0:1], s[24:25]
	s_xor_b64 s[0:1], exec, s[0:1]
	s_cbranch_execz .LBB113_1505
.LBB113_1443:
	s_waitcnt vmcnt(0)
	v_cmp_neq_f32_e32 vcc, 0, v2
	v_cndmask_b32_e64 v3, 0, 1, vcc
	global_store_byte v[0:1], v3, off
	s_or_b64 exec, exec, s[0:1]
	s_and_saveexec_b64 s[0:1], s[20:21]
	s_xor_b64 s[0:1], exec, s[0:1]
	s_cbranch_execz .LBB113_1543
	s_branch .LBB113_1506
.LBB113_1444:
	s_mov_b64 s[20:21], -1
	s_mov_b64 s[0:1], s[6:7]
	s_branch .LBB113_1503
.LBB113_1445:
	s_mov_b64 s[20:21], 0
.LBB113_1446:
	s_and_b64 vcc, exec, s[20:21]
	s_cbranch_vccz .LBB113_1461
; %bb.1447:
	v_cmp_gt_i16_e32 vcc, 27, v6
	s_mov_b64 s[20:21], -1
	s_cbranch_vccnz .LBB113_1453
; %bb.1448:
	v_cvt_u32_f32_e32 v4, v2
	v_cmp_lt_i16_e32 vcc, 27, v6
	s_cbranch_vccz .LBB113_1450
; %bb.1449:
	s_mov_b64 s[20:21], 0
	global_store_dword v[0:1], v4, off
.LBB113_1450:
	s_andn2_b64 vcc, exec, s[20:21]
	s_cbranch_vccnz .LBB113_1452
; %bb.1451:
	global_store_short v[0:1], v4, off
.LBB113_1452:
	s_mov_b64 s[20:21], 0
.LBB113_1453:
	s_andn2_b64 vcc, exec, s[20:21]
	s_cbranch_vccnz .LBB113_1461
; %bb.1454:
	v_and_b32_e32 v4, 0x7fffffff, v3
	s_mov_b32 s15, 0x43800000
	v_cmp_gt_u32_e32 vcc, s15, v4
	v_mov_b32_e32 v5, 0x80
	s_and_saveexec_b64 s[20:21], vcc
	s_cbranch_execz .LBB113_1460
; %bb.1455:
	s_mov_b32 s15, 0x3bffffff
	v_cmp_lt_u32_e32 vcc, s15, v4
	s_mov_b64 s[24:25], 0
                                        ; implicit-def: $vgpr4
	s_and_saveexec_b64 s[26:27], vcc
	s_xor_b64 s[26:27], exec, s[26:27]
	s_cbranch_execz .LBB113_1558
; %bb.1456:
	v_bfe_u32 v4, v2, 20, 1
	s_mov_b32 s15, 0x487ffff
	v_add3_u32 v4, v2, v4, s15
	s_mov_b64 s[24:25], exec
	v_lshrrev_b32_e32 v4, 20, v4
	s_or_saveexec_b64 s[26:27], s[26:27]
                                        ; implicit-def: $sgpr15
	s_xor_b64 exec, exec, s[26:27]
	s_cbranch_execnz .LBB113_1559
.LBB113_1457:
	s_or_b64 exec, exec, s[26:27]
	v_mov_b32_e32 v5, s15
	s_and_saveexec_b64 s[26:27], s[24:25]
.LBB113_1458:
	v_lshrrev_b32_e32 v5, 24, v2
	s_movk_i32 s15, 0x80
	v_and_or_b32 v5, v5, s15, v4
.LBB113_1459:
	s_or_b64 exec, exec, s[26:27]
.LBB113_1460:
	s_or_b64 exec, exec, s[20:21]
	global_store_byte v[0:1], v5, off
.LBB113_1461:
	s_mov_b64 s[24:25], 0
.LBB113_1462:
	s_mov_b64 s[20:21], 0
	s_and_b64 vcc, exec, s[24:25]
	s_cbranch_vccz .LBB113_1502
; %bb.1463:
	v_cmp_lt_i16_e32 vcc, 22, v6
	s_mov_b64 s[24:25], -1
	s_cbranch_vccz .LBB113_1495
; %bb.1464:
	v_cmp_gt_i16_e32 vcc, 24, v6
	s_cbranch_vccnz .LBB113_1484
; %bb.1465:
	v_cmp_lt_i16_e32 vcc, 24, v6
	s_cbranch_vccz .LBB113_1473
; %bb.1466:
	v_and_b32_e32 v4, 0x7fffffff, v3
	s_mov_b32 s15, 0x47800000
	v_cmp_gt_u32_e32 vcc, s15, v4
	v_mov_b32_e32 v5, 0x80
	s_and_saveexec_b64 s[24:25], vcc
	s_cbranch_execz .LBB113_1472
; %bb.1467:
	s_mov_b32 s15, 0x37ffffff
	v_cmp_lt_u32_e32 vcc, s15, v4
	s_mov_b64 s[26:27], 0
                                        ; implicit-def: $vgpr4
	s_and_saveexec_b64 s[28:29], vcc
	s_xor_b64 s[28:29], exec, s[28:29]
	s_cbranch_execz .LBB113_1683
; %bb.1468:
	v_bfe_u32 v4, v2, 21, 1
	s_mov_b32 s15, 0x88fffff
	v_add3_u32 v4, v2, v4, s15
	s_mov_b64 s[26:27], exec
	v_lshrrev_b32_e32 v4, 21, v4
	s_or_saveexec_b64 s[28:29], s[28:29]
                                        ; implicit-def: $sgpr15
	s_xor_b64 exec, exec, s[28:29]
	s_cbranch_execnz .LBB113_1684
.LBB113_1469:
	s_or_b64 exec, exec, s[28:29]
	v_mov_b32_e32 v5, s15
	s_and_saveexec_b64 s[28:29], s[26:27]
.LBB113_1470:
	v_lshrrev_b32_e32 v5, 24, v2
	s_movk_i32 s15, 0x80
	v_and_or_b32 v5, v5, s15, v4
.LBB113_1471:
	s_or_b64 exec, exec, s[28:29]
.LBB113_1472:
	s_or_b64 exec, exec, s[24:25]
	s_mov_b64 s[24:25], 0
	global_store_byte v[0:1], v5, off
.LBB113_1473:
	s_and_b64 vcc, exec, s[24:25]
	s_cbranch_vccz .LBB113_1483
; %bb.1474:
	v_and_b32_e32 v5, 0x7fffffff, v3
	s_mov_b32 s15, 0x43f00000
	v_cmp_gt_u32_e32 vcc, s15, v5
                                        ; implicit-def: $vgpr4
	s_and_saveexec_b64 s[24:25], vcc
	s_xor_b64 s[24:25], exec, s[24:25]
	s_cbranch_execz .LBB113_1480
; %bb.1475:
	s_mov_b32 s15, 0x3c7fffff
	v_cmp_lt_u32_e32 vcc, s15, v5
                                        ; implicit-def: $vgpr4
	s_and_saveexec_b64 s[26:27], vcc
	s_xor_b64 s[26:27], exec, s[26:27]
; %bb.1476:
	v_bfe_u32 v4, v2, 20, 1
	s_mov_b32 s15, 0x407ffff
	v_add3_u32 v4, v2, v4, s15
	v_lshrrev_b32_e32 v5, 20, v4
	v_and_b32_e32 v4, 0xff00000, v4
	s_mov_b32 s15, 0x7f00000
	v_mov_b32_e32 v7, 0x7e
	v_cmp_ne_u32_e32 vcc, s15, v4
	v_cndmask_b32_e32 v4, v7, v5, vcc
; %bb.1477:
	s_andn2_saveexec_b64 s[26:27], s[26:27]
; %bb.1478:
	s_mov_b32 s15, 0x46800000
	v_add_f32_e64 v4, |v3|, s15
; %bb.1479:
	s_or_b64 exec, exec, s[26:27]
                                        ; implicit-def: $vgpr5
.LBB113_1480:
	s_andn2_saveexec_b64 s[24:25], s[24:25]
; %bb.1481:
	s_mov_b32 s15, 0x7f800000
	v_mov_b32_e32 v4, 0x7e
	v_mov_b32_e32 v7, 0x7f
	v_cmp_lt_u32_e32 vcc, s15, v5
	v_cndmask_b32_e32 v4, v4, v7, vcc
; %bb.1482:
	s_or_b64 exec, exec, s[24:25]
	v_lshrrev_b32_e32 v5, 24, v2
	s_movk_i32 s15, 0x80
	v_and_or_b32 v4, v5, s15, v4
	global_store_byte v[0:1], v4, off
.LBB113_1483:
	s_mov_b64 s[24:25], 0
.LBB113_1484:
	s_andn2_b64 vcc, exec, s[24:25]
	s_cbranch_vccnz .LBB113_1494
; %bb.1485:
	v_and_b32_e32 v5, 0x7fffffff, v3
	s_mov_b32 s15, 0x47800000
	v_cmp_gt_u32_e32 vcc, s15, v5
                                        ; implicit-def: $vgpr4
	s_and_saveexec_b64 s[24:25], vcc
	s_xor_b64 s[24:25], exec, s[24:25]
	s_cbranch_execz .LBB113_1491
; %bb.1486:
	s_mov_b32 s15, 0x387fffff
	v_cmp_lt_u32_e32 vcc, s15, v5
                                        ; implicit-def: $vgpr4
	s_and_saveexec_b64 s[26:27], vcc
	s_xor_b64 s[26:27], exec, s[26:27]
; %bb.1487:
	v_bfe_u32 v3, v2, 21, 1
	s_mov_b32 s15, 0x80fffff
	v_add3_u32 v3, v2, v3, s15
	v_lshrrev_b32_e32 v4, 21, v3
                                        ; implicit-def: $vgpr3
; %bb.1488:
	s_andn2_saveexec_b64 s[26:27], s[26:27]
; %bb.1489:
	s_mov_b32 s15, 0x43000000
	v_add_f32_e64 v4, |v3|, s15
; %bb.1490:
	s_or_b64 exec, exec, s[26:27]
                                        ; implicit-def: $vgpr5
.LBB113_1491:
	s_andn2_saveexec_b64 s[24:25], s[24:25]
; %bb.1492:
	s_mov_b32 s15, 0x7f800000
	v_mov_b32_e32 v3, 0x7c
	v_mov_b32_e32 v4, 0x7f
	v_cmp_lt_u32_e32 vcc, s15, v5
	v_cndmask_b32_e32 v4, v3, v4, vcc
; %bb.1493:
	s_or_b64 exec, exec, s[24:25]
	v_lshrrev_b32_e32 v3, 24, v2
	s_movk_i32 s15, 0x80
	v_and_or_b32 v3, v3, s15, v4
	global_store_byte v[0:1], v3, off
.LBB113_1494:
	s_mov_b64 s[24:25], 0
.LBB113_1495:
	s_andn2_b64 vcc, exec, s[24:25]
	s_mov_b64 s[24:25], 0
	s_cbranch_vccnz .LBB113_1503
; %bb.1496:
	v_cmp_lt_i16_e32 vcc, 14, v6
	s_mov_b64 s[26:27], -1
	s_cbranch_vccz .LBB113_1500
; %bb.1497:
	v_cmp_eq_u16_e32 vcc, 15, v6
	s_mov_b64 s[0:1], -1
	s_cbranch_vccz .LBB113_1499
; %bb.1498:
	v_bfe_u32 v3, v2, 16, 1
	s_movk_i32 s0, 0x7fff
	v_add3_u32 v3, v2, v3, s0
	v_lshrrev_b32_e32 v3, 16, v3
	v_mov_b32_e32 v4, 0x7fc0
	v_cmp_o_f32_e32 vcc, v2, v2
	v_cndmask_b32_e32 v3, v4, v3, vcc
	global_store_short v[0:1], v3, off
	s_mov_b64 s[0:1], 0
.LBB113_1499:
	s_mov_b64 s[26:27], 0
.LBB113_1500:
	s_and_b64 vcc, exec, s[26:27]
	s_cbranch_vccz .LBB113_1503
; %bb.1501:
	v_cmp_ne_u16_e32 vcc, 11, v6
	s_andn2_b64 s[0:1], s[0:1], exec
	s_and_b64 s[26:27], vcc, exec
	s_mov_b64 s[24:25], -1
	s_or_b64 s[0:1], s[0:1], s[26:27]
	s_branch .LBB113_1503
.LBB113_1502:
	s_mov_b64 s[24:25], 0
.LBB113_1503:
	s_andn2_b64 s[6:7], s[6:7], exec
	s_and_b64 s[0:1], s[0:1], exec
	s_and_b64 s[20:21], s[20:21], exec
	;; [unrolled: 1-line block ×3, first 2 shown]
	s_or_b64 s[6:7], s[6:7], s[0:1]
	s_or_b64 exec, exec, s[18:19]
	s_and_saveexec_b64 s[0:1], s[6:7]
	s_cbranch_execz .LBB113_1442
.LBB113_1504:
	s_or_b64 s[22:23], s[22:23], exec
	s_andn2_b64 s[24:25], s[24:25], exec
	s_trap 2
	s_or_b64 exec, exec, s[0:1]
	s_and_saveexec_b64 s[0:1], s[24:25]
	s_xor_b64 s[0:1], exec, s[0:1]
	s_cbranch_execnz .LBB113_1443
.LBB113_1505:
	s_or_b64 exec, exec, s[0:1]
	s_and_saveexec_b64 s[0:1], s[20:21]
	s_xor_b64 s[0:1], exec, s[0:1]
	s_cbranch_execz .LBB113_1543
.LBB113_1506:
	s_waitcnt vmcnt(0)
	v_cmp_gt_i16_e32 vcc, 5, v6
	s_mov_b64 s[6:7], -1
	s_cbranch_vccnz .LBB113_1527
; %bb.1507:
	v_cmp_gt_i16_e32 vcc, 8, v6
	s_cbranch_vccnz .LBB113_1517
; %bb.1508:
	v_cmp_gt_i16_e32 vcc, 9, v6
	s_cbranch_vccnz .LBB113_1514
; %bb.1509:
	v_cmp_lt_i16_e32 vcc, 9, v6
	s_cbranch_vccz .LBB113_1511
; %bb.1510:
	v_mov_b32_e32 v10, 0
	v_cvt_f64_f32_e32 v[8:9], v2
	v_mov_b32_e32 v11, v10
	s_mov_b64 s[6:7], 0
	global_store_dwordx4 v[0:1], v[8:11], off
.LBB113_1511:
	s_andn2_b64 vcc, exec, s[6:7]
	s_cbranch_vccnz .LBB113_1513
; %bb.1512:
	v_mov_b32_e32 v3, 0
	global_store_dwordx2 v[0:1], v[2:3], off
.LBB113_1513:
	s_mov_b64 s[6:7], 0
.LBB113_1514:
	s_andn2_b64 vcc, exec, s[6:7]
	s_cbranch_vccnz .LBB113_1516
; %bb.1515:
	v_cvt_f16_f32_e32 v3, v2
	global_store_dword v[0:1], v3, off
.LBB113_1516:
	s_mov_b64 s[6:7], 0
.LBB113_1517:
	s_andn2_b64 vcc, exec, s[6:7]
	s_cbranch_vccnz .LBB113_1526
; %bb.1518:
	v_cmp_gt_i16_e32 vcc, 6, v6
	s_mov_b64 s[6:7], -1
	s_cbranch_vccnz .LBB113_1524
; %bb.1519:
	v_cmp_lt_i16_e32 vcc, 6, v6
	s_cbranch_vccz .LBB113_1521
; %bb.1520:
	v_cvt_f64_f32_e32 v[4:5], v2
	s_mov_b64 s[6:7], 0
	global_store_dwordx2 v[0:1], v[4:5], off
.LBB113_1521:
	s_andn2_b64 vcc, exec, s[6:7]
	s_cbranch_vccnz .LBB113_1523
; %bb.1522:
	global_store_dword v[0:1], v2, off
.LBB113_1523:
	s_mov_b64 s[6:7], 0
.LBB113_1524:
	s_andn2_b64 vcc, exec, s[6:7]
	s_cbranch_vccnz .LBB113_1526
; %bb.1525:
	v_cvt_f16_f32_e32 v3, v2
	global_store_short v[0:1], v3, off
.LBB113_1526:
	s_mov_b64 s[6:7], 0
.LBB113_1527:
	s_andn2_b64 vcc, exec, s[6:7]
	s_cbranch_vccnz .LBB113_1543
; %bb.1528:
	v_cmp_gt_i16_e32 vcc, 2, v6
	s_mov_b64 s[6:7], -1
	s_cbranch_vccnz .LBB113_1538
; %bb.1529:
	v_cmp_gt_i16_e32 vcc, 3, v6
	s_cbranch_vccnz .LBB113_1535
; %bb.1530:
	v_cmp_lt_i16_e32 vcc, 3, v6
	s_cbranch_vccz .LBB113_1532
; %bb.1531:
	v_trunc_f32_e32 v3, v2
	s_mov_b32 s6, 0x2f800000
	v_mul_f32_e64 v4, |v3|, s6
	v_floor_f32_e32 v4, v4
	s_mov_b32 s6, 0xcf800000
	v_cvt_u32_f32_e32 v5, v4
	v_fma_f32 v4, v4, s6, |v3|
	v_cvt_u32_f32_e32 v4, v4
	v_ashrrev_i32_e32 v3, 31, v3
	v_xor_b32_e32 v5, v5, v3
	s_mov_b64 s[6:7], 0
	v_xor_b32_e32 v4, v4, v3
	v_sub_co_u32_e32 v4, vcc, v4, v3
	v_subb_co_u32_e32 v5, vcc, v5, v3, vcc
	global_store_dwordx2 v[0:1], v[4:5], off
.LBB113_1532:
	s_andn2_b64 vcc, exec, s[6:7]
	s_cbranch_vccnz .LBB113_1534
; %bb.1533:
	v_cvt_i32_f32_e32 v3, v2
	global_store_dword v[0:1], v3, off
.LBB113_1534:
	s_mov_b64 s[6:7], 0
.LBB113_1535:
	s_andn2_b64 vcc, exec, s[6:7]
	s_cbranch_vccnz .LBB113_1537
; %bb.1536:
	v_cvt_i32_f32_e32 v3, v2
	global_store_short v[0:1], v3, off
.LBB113_1537:
	s_mov_b64 s[6:7], 0
.LBB113_1538:
	s_andn2_b64 vcc, exec, s[6:7]
	s_cbranch_vccnz .LBB113_1543
; %bb.1539:
	v_cmp_lt_i16_e32 vcc, 0, v6
	s_mov_b64 s[6:7], -1
	s_cbranch_vccz .LBB113_1541
; %bb.1540:
	v_cvt_i32_f32_e32 v3, v2
	s_mov_b64 s[6:7], 0
	global_store_byte v[0:1], v3, off
.LBB113_1541:
	s_andn2_b64 vcc, exec, s[6:7]
	s_cbranch_vccnz .LBB113_1543
; %bb.1542:
	v_trunc_f32_e32 v2, v2
	s_mov_b32 s6, 0x2f800000
	v_mul_f32_e64 v3, |v2|, s6
	v_floor_f32_e32 v3, v3
	s_mov_b32 s6, 0xcf800000
	v_fma_f32 v3, v3, s6, |v2|
	v_cvt_u32_f32_e32 v3, v3
	v_ashrrev_i32_e32 v2, 31, v2
	v_xor_b32_e32 v3, v3, v2
	v_sub_u32_e32 v2, v3, v2
	global_store_byte v[0:1], v2, off
.LBB113_1543:
	s_or_b64 exec, exec, s[0:1]
	s_and_b64 s[6:7], s[22:23], exec
                                        ; implicit-def: $vgpr5
                                        ; implicit-def: $vgpr7
                                        ; implicit-def: $vgpr6
                                        ; implicit-def: $vgpr4
.LBB113_1544:
	s_or_saveexec_b64 s[4:5], s[4:5]
	s_mov_b64 s[0:1], 0
                                        ; implicit-def: $vgpr8
                                        ; implicit-def: $vgpr0_vgpr1
                                        ; implicit-def: $vgpr2
	s_xor_b64 exec, exec, s[4:5]
	s_cbranch_execz .LBB113_3034
; %bb.1545:
	v_mul_lo_u32 v8, s13, v5
	v_ashrrev_i32_e32 v1, 31, v8
	s_waitcnt vmcnt(0)
	v_mov_b32_e32 v2, s11
	v_add_co_u32_e32 v0, vcc, s10, v8
	v_addc_co_u32_e32 v1, vcc, v2, v1, vcc
	v_mov_b32_e32 v2, 11
	v_cmp_lt_i16_sdwa s[0:1], v7, v2 src0_sel:BYTE_0 src1_sel:DWORD
	s_and_b64 vcc, exec, s[0:1]
	s_cbranch_vccnz .LBB113_1552
; %bb.1546:
	v_mov_b32_e32 v2, 25
	v_cmp_gt_i16_sdwa s[0:1], v7, v2 src0_sel:BYTE_0 src1_sel:DWORD
	s_and_b64 vcc, exec, s[0:1]
	s_cbranch_vccz .LBB113_1554
; %bb.1547:
	v_mov_b32_e32 v2, 28
	v_cmp_gt_i16_sdwa s[0:1], v7, v2 src0_sel:BYTE_0 src1_sel:DWORD
	s_and_b64 vcc, exec, s[0:1]
	s_cbranch_vccz .LBB113_1555
	;; [unrolled: 5-line block ×4, first 2 shown]
; %bb.1550:
	v_mov_b32_e32 v2, 46
	v_cmp_eq_u16_sdwa s[0:1], v7, v2 src0_sel:BYTE_0 src1_sel:DWORD
	s_mov_b64 s[18:19], 0
	s_and_b64 vcc, exec, s[0:1]
	s_cbranch_vccz .LBB113_1560
; %bb.1551:
	global_load_dword v2, v[0:1], off
	s_mov_b64 s[0:1], 0
	s_mov_b64 s[20:21], -1
	s_waitcnt vmcnt(0)
	v_lshlrev_b32_e32 v3, 16, v2
	s_branch .LBB113_1561
.LBB113_1552:
	s_mov_b64 s[20:21], 0
                                        ; implicit-def: $vgpr3
	s_mov_b64 s[18:19], s[6:7]
	s_cbranch_execnz .LBB113_1624
.LBB113_1553:
	s_andn2_b64 vcc, exec, s[20:21]
	s_cbranch_vccz .LBB113_1669
	s_branch .LBB113_3032
.LBB113_1554:
	s_mov_b64 s[20:21], 0
	s_mov_b64 s[0:1], 0
                                        ; implicit-def: $vgpr3
	s_cbranch_execnz .LBB113_1589
	s_branch .LBB113_1620
.LBB113_1555:
	s_mov_b64 s[18:19], -1
	s_mov_b64 s[20:21], 0
	s_mov_b64 s[0:1], 0
                                        ; implicit-def: $vgpr3
	s_branch .LBB113_1570
.LBB113_1556:
	s_mov_b64 s[20:21], 0
	s_mov_b64 s[0:1], 0
                                        ; implicit-def: $vgpr3
	s_cbranch_execnz .LBB113_1566
	s_branch .LBB113_1569
.LBB113_1557:
	s_mov_b64 s[18:19], -1
	s_mov_b64 s[20:21], 0
	s_mov_b64 s[0:1], 0
                                        ; implicit-def: $vgpr3
	s_branch .LBB113_1561
.LBB113_1558:
	s_or_saveexec_b64 s[26:27], s[26:27]
                                        ; implicit-def: $sgpr15
	s_xor_b64 exec, exec, s[26:27]
	s_cbranch_execz .LBB113_1457
.LBB113_1559:
	s_mov_b32 s15, 0x46000000
	v_add_f32_e64 v4, |v3|, s15
	v_and_b32_e32 v4, 0xff, v4
	v_cmp_ne_u32_e32 vcc, 0, v4
	s_andn2_b64 s[24:25], s[24:25], exec
	s_and_b64 s[28:29], vcc, exec
	s_mov_b32 s15, 0
	s_or_b64 s[24:25], s[24:25], s[28:29]
	s_or_b64 exec, exec, s[26:27]
	v_mov_b32_e32 v5, s15
	s_and_saveexec_b64 s[26:27], s[24:25]
	s_cbranch_execnz .LBB113_1458
	s_branch .LBB113_1459
.LBB113_1560:
	s_mov_b64 s[0:1], -1
                                        ; implicit-def: $vgpr3
	s_mov_b64 s[20:21], 0
.LBB113_1561:
	s_and_b64 vcc, exec, s[18:19]
	s_cbranch_vccz .LBB113_1564
; %bb.1562:
	v_mov_b32_e32 v2, 44
	v_cmp_eq_u16_sdwa s[0:1], v7, v2 src0_sel:BYTE_0 src1_sel:DWORD
	s_and_b64 vcc, exec, s[0:1]
	s_cbranch_vccz .LBB113_1565
; %bb.1563:
	global_load_ubyte v2, v[0:1], off
	s_movk_i32 s15, 0xff
	v_mov_b32_e32 v3, 0x7f800001
	v_mov_b32_e32 v9, 0x400000
	s_mov_b64 s[0:1], 0
	s_mov_b64 s[20:21], -1
	s_waitcnt vmcnt(0)
	v_lshlrev_b32_e32 v10, 23, v2
	v_cmp_ne_u32_e32 vcc, s15, v2
	v_cndmask_b32_e32 v3, v3, v10, vcc
	v_cmp_ne_u32_e32 vcc, 0, v2
	v_cndmask_b32_e32 v3, v9, v3, vcc
.LBB113_1564:
	s_branch .LBB113_1569
.LBB113_1565:
	s_mov_b64 s[0:1], -1
                                        ; implicit-def: $vgpr3
	s_branch .LBB113_1569
.LBB113_1566:
	v_mov_b32_e32 v2, 29
	v_cmp_eq_u16_sdwa s[0:1], v7, v2 src0_sel:BYTE_0 src1_sel:DWORD
	s_and_b64 vcc, exec, s[0:1]
	s_cbranch_vccz .LBB113_1568
; %bb.1567:
	global_load_dwordx2 v[2:3], v[0:1], off
	s_mov_b64 s[0:1], 0
	s_mov_b64 s[20:21], -1
	s_mov_b64 s[18:19], 0
	s_waitcnt vmcnt(0)
	v_ffbh_u32_e32 v9, v3
	v_min_u32_e32 v9, 32, v9
	v_lshlrev_b64 v[2:3], v9, v[2:3]
	v_min_u32_e32 v2, 1, v2
	v_or_b32_e32 v2, v3, v2
	v_cvt_f32_u32_e32 v2, v2
	v_sub_u32_e32 v3, 32, v9
	v_ldexp_f32 v3, v2, v3
	s_branch .LBB113_1570
.LBB113_1568:
	s_mov_b64 s[0:1], -1
                                        ; implicit-def: $vgpr3
.LBB113_1569:
	s_mov_b64 s[18:19], 0
.LBB113_1570:
	s_and_b64 vcc, exec, s[18:19]
	s_cbranch_vccz .LBB113_1588
; %bb.1571:
	v_mov_b32_e32 v2, 27
	v_cmp_lt_i16_sdwa s[18:19], v7, v2 src0_sel:BYTE_0 src1_sel:DWORD
	s_and_b64 vcc, exec, s[18:19]
	s_cbranch_vccnz .LBB113_1574
; %bb.1572:
	v_cmp_gt_i16_sdwa s[18:19], v7, v2 src0_sel:BYTE_0 src1_sel:DWORD
	s_and_b64 vcc, exec, s[18:19]
	s_cbranch_vccz .LBB113_1575
; %bb.1573:
	global_load_dword v2, v[0:1], off
	s_mov_b64 s[18:19], 0
	s_waitcnt vmcnt(0)
	v_cvt_f32_u32_e32 v3, v2
	s_branch .LBB113_1576
.LBB113_1574:
	s_mov_b64 s[18:19], -1
                                        ; implicit-def: $vgpr3
	s_branch .LBB113_1579
.LBB113_1575:
	s_mov_b64 s[18:19], -1
                                        ; implicit-def: $vgpr3
.LBB113_1576:
	s_andn2_b64 vcc, exec, s[18:19]
	s_cbranch_vccnz .LBB113_1578
; %bb.1577:
	global_load_ushort v2, v[0:1], off
	s_waitcnt vmcnt(0)
	v_cvt_f32_u32_e32 v3, v2
.LBB113_1578:
	s_mov_b64 s[18:19], 0
.LBB113_1579:
	s_andn2_b64 vcc, exec, s[18:19]
	s_cbranch_vccnz .LBB113_1587
; %bb.1580:
	global_load_ubyte v2, v[0:1], off
	s_movk_i32 s15, 0x7f
	s_mov_b64 s[18:19], 0
	s_waitcnt vmcnt(0)
	v_cmp_lt_i16_e32 vcc, s15, v2
                                        ; implicit-def: $sgpr15
	s_and_saveexec_b64 s[20:21], vcc
	s_xor_b64 s[20:21], exec, s[20:21]
	s_cbranch_execz .LBB113_1600
; %bb.1581:
	s_movk_i32 s15, 0x80
	v_cmp_eq_u16_e32 vcc, s15, v2
	s_mov_b64 s[18:19], -1
                                        ; implicit-def: $sgpr15
	s_and_saveexec_b64 s[22:23], vcc
; %bb.1582:
	s_mov_b32 s15, 0x7f800001
	s_xor_b64 s[18:19], exec, -1
; %bb.1583:
	s_or_b64 exec, exec, s[22:23]
	s_and_b64 s[18:19], s[18:19], exec
	s_or_saveexec_b64 s[20:21], s[20:21]
	v_mov_b32_e32 v3, s15
	s_xor_b64 exec, exec, s[20:21]
	s_cbranch_execnz .LBB113_1601
.LBB113_1584:
	s_or_b64 exec, exec, s[20:21]
	s_and_saveexec_b64 s[20:21], s[18:19]
	s_cbranch_execz .LBB113_1586
.LBB113_1585:
	v_lshlrev_b32_e32 v3, 24, v2
	v_and_b32_e32 v2, 0xffff, v2
	v_and_b32_e32 v9, 7, v2
	v_ffbh_u32_e32 v11, v9
	v_min_u32_e32 v11, 32, v11
	v_subrev_u32_e32 v12, 28, v11
	v_bfe_u32 v10, v2, 3, 4
	v_lshlrev_b32_e32 v2, v12, v2
	v_sub_u32_e32 v11, 29, v11
	v_and_b32_e32 v2, 7, v2
	v_cmp_eq_u32_e32 vcc, 0, v10
	v_cndmask_b32_e32 v10, v10, v11, vcc
	v_cndmask_b32_e32 v2, v9, v2, vcc
	v_mov_b32_e32 v9, 0x3b800000
	v_lshlrev_b32_e32 v2, 20, v2
	v_and_b32_e32 v3, 0x80000000, v3
	v_lshl_add_u32 v9, v10, 23, v9
	v_or3_b32 v3, v3, v9, v2
.LBB113_1586:
	s_or_b64 exec, exec, s[20:21]
.LBB113_1587:
	s_mov_b64 s[20:21], -1
.LBB113_1588:
	s_branch .LBB113_1620
.LBB113_1589:
	v_mov_b32_e32 v2, 22
	v_cmp_gt_i16_sdwa s[16:17], v7, v2 src0_sel:BYTE_0 src1_sel:DWORD
	s_and_b64 vcc, exec, s[16:17]
	s_cbranch_vccz .LBB113_1599
; %bb.1590:
	v_mov_b32_e32 v2, 24
	v_cmp_lt_i16_sdwa s[16:17], v7, v2 src0_sel:BYTE_0 src1_sel:DWORD
	s_and_b64 vcc, exec, s[16:17]
	s_cbranch_vccnz .LBB113_1602
; %bb.1591:
	v_cmp_gt_i16_sdwa s[16:17], v7, v2 src0_sel:BYTE_0 src1_sel:DWORD
	s_and_b64 vcc, exec, s[16:17]
	s_cbranch_vccz .LBB113_1603
; %bb.1592:
	global_load_ubyte v2, v[0:1], off
	s_movk_i32 s15, 0x7f
	s_mov_b64 s[16:17], 0
	s_waitcnt vmcnt(0)
	v_cmp_lt_i16_e32 vcc, s15, v2
                                        ; implicit-def: $sgpr15
	s_and_saveexec_b64 s[18:19], vcc
	s_xor_b64 s[18:19], exec, s[18:19]
	s_cbranch_execz .LBB113_1614
; %bb.1593:
	s_movk_i32 s15, 0x80
	v_cmp_eq_u16_e32 vcc, s15, v2
	s_mov_b64 s[16:17], -1
                                        ; implicit-def: $sgpr15
	s_and_saveexec_b64 s[20:21], vcc
; %bb.1594:
	s_mov_b32 s15, 0x7f800001
	s_xor_b64 s[16:17], exec, -1
; %bb.1595:
	s_or_b64 exec, exec, s[20:21]
	s_and_b64 s[16:17], s[16:17], exec
	s_or_saveexec_b64 s[18:19], s[18:19]
	v_mov_b32_e32 v3, s15
	s_xor_b64 exec, exec, s[18:19]
	s_cbranch_execnz .LBB113_1615
.LBB113_1596:
	s_or_b64 exec, exec, s[18:19]
	s_and_saveexec_b64 s[18:19], s[16:17]
	s_cbranch_execz .LBB113_1598
.LBB113_1597:
	v_lshlrev_b32_e32 v3, 24, v2
	v_and_b32_e32 v2, 0xffff, v2
	v_and_b32_e32 v9, 3, v2
	v_ffbh_u32_e32 v11, v9
	v_min_u32_e32 v11, 32, v11
	v_subrev_u32_e32 v12, 29, v11
	v_bfe_u32 v10, v2, 2, 5
	v_lshlrev_b32_e32 v2, v12, v2
	v_sub_u32_e32 v11, 30, v11
	v_and_b32_e32 v2, 3, v2
	v_cmp_eq_u32_e32 vcc, 0, v10
	v_cndmask_b32_e32 v10, v10, v11, vcc
	v_cndmask_b32_e32 v2, v9, v2, vcc
	v_mov_b32_e32 v9, 0x37800000
	v_lshlrev_b32_e32 v2, 21, v2
	v_and_b32_e32 v3, 0x80000000, v3
	v_lshl_add_u32 v9, v10, 23, v9
	v_or3_b32 v3, v3, v9, v2
.LBB113_1598:
	s_or_b64 exec, exec, s[18:19]
	s_mov_b64 s[16:17], 0
	s_branch .LBB113_1604
.LBB113_1599:
                                        ; implicit-def: $vgpr3
	s_mov_b64 s[16:17], 0
	s_branch .LBB113_1610
.LBB113_1600:
	s_or_saveexec_b64 s[20:21], s[20:21]
	v_mov_b32_e32 v3, s15
	s_xor_b64 exec, exec, s[20:21]
	s_cbranch_execz .LBB113_1584
.LBB113_1601:
	v_cmp_ne_u16_e32 vcc, 0, v2
	s_andn2_b64 s[18:19], s[18:19], exec
	s_and_b64 s[22:23], vcc, exec
	v_mov_b32_e32 v3, 0
	s_or_b64 s[18:19], s[18:19], s[22:23]
	s_or_b64 exec, exec, s[20:21]
	s_and_saveexec_b64 s[20:21], s[18:19]
	s_cbranch_execnz .LBB113_1585
	s_branch .LBB113_1586
.LBB113_1602:
	s_mov_b64 s[16:17], -1
                                        ; implicit-def: $vgpr3
	s_branch .LBB113_1607
.LBB113_1603:
	s_mov_b64 s[16:17], -1
                                        ; implicit-def: $vgpr3
.LBB113_1604:
	s_and_b64 vcc, exec, s[16:17]
	s_cbranch_vccz .LBB113_1606
; %bb.1605:
	global_load_ubyte v2, v[0:1], off
	s_mov_b32 s15, 0x7f800000
	s_waitcnt vmcnt(0)
	v_lshlrev_b32_e32 v2, 24, v2
	v_and_b32_e32 v3, 0x7f000000, v2
	v_ffbh_u32_e32 v9, v3
	v_min_u32_e32 v9, 32, v9
	v_sub_u32_e64 v9, v9, 4 clamp
	v_lshlrev_b32_e32 v11, v9, v3
	v_lshlrev_b32_e32 v9, 23, v9
	v_lshrrev_b32_e32 v11, 4, v11
	v_add_u32_e32 v10, 0x1000000, v3
	v_sub_u32_e32 v9, v11, v9
	v_ashrrev_i32_e32 v10, 8, v10
	v_add_u32_e32 v9, 0x3c000000, v9
	v_and_or_b32 v9, v10, s15, v9
	v_cmp_ne_u32_e32 vcc, 0, v3
	v_cndmask_b32_e32 v3, 0, v9, vcc
	s_brev_b32 s15, 1
	v_and_or_b32 v3, v2, s15, v3
.LBB113_1606:
	s_mov_b64 s[16:17], 0
.LBB113_1607:
	s_andn2_b64 vcc, exec, s[16:17]
	s_cbranch_vccnz .LBB113_1609
; %bb.1608:
	global_load_ubyte v2, v[0:1], off
	s_movk_i32 s15, 0x7f00
	s_brev_b32 s16, 16
	s_waitcnt vmcnt(0)
	v_lshlrev_b16_e32 v3, 8, v2
	v_lshlrev_b32_e32 v2, 25, v2
	v_lshrrev_b32_e32 v9, 4, v2
	v_and_or_b32 v10, v3, s15, 0.5
	v_or_b32_e32 v9, 0x70000000, v9
	v_add_f32_e32 v10, -0.5, v10
	v_mul_f32_e32 v9, 0x7800000, v9
	v_cmp_gt_u32_e32 vcc, s16, v2
	v_bfe_i32 v3, v3, 0, 16
	v_cndmask_b32_e32 v2, v9, v10, vcc
	s_brev_b32 s15, 1
	v_and_or_b32 v3, v3, s15, v2
.LBB113_1609:
	s_mov_b64 s[20:21], -1
	s_mov_b64 s[16:17], 0
	s_cbranch_execnz .LBB113_1620
.LBB113_1610:
	v_mov_b32_e32 v2, 14
	v_cmp_gt_i16_sdwa s[16:17], v7, v2 src0_sel:BYTE_0 src1_sel:DWORD
	s_and_b64 vcc, exec, s[16:17]
	s_cbranch_vccz .LBB113_1613
; %bb.1611:
	v_mov_b32_e32 v2, 15
	v_cmp_eq_u16_sdwa s[0:1], v7, v2 src0_sel:BYTE_0 src1_sel:DWORD
	s_and_b64 vcc, exec, s[0:1]
	s_cbranch_vccz .LBB113_1616
; %bb.1612:
	global_load_ushort v2, v[0:1], off
	s_mov_b64 s[0:1], 0
	s_mov_b64 s[20:21], -1
	s_waitcnt vmcnt(0)
	v_lshlrev_b32_e32 v3, 16, v2
	s_branch .LBB113_1617
.LBB113_1613:
	s_mov_b64 s[18:19], -1
                                        ; implicit-def: $vgpr3
	s_branch .LBB113_1618
.LBB113_1614:
	s_or_saveexec_b64 s[18:19], s[18:19]
	v_mov_b32_e32 v3, s15
	s_xor_b64 exec, exec, s[18:19]
	s_cbranch_execz .LBB113_1596
.LBB113_1615:
	v_cmp_ne_u16_e32 vcc, 0, v2
	s_andn2_b64 s[16:17], s[16:17], exec
	s_and_b64 s[20:21], vcc, exec
	v_mov_b32_e32 v3, 0
	s_or_b64 s[16:17], s[16:17], s[20:21]
	s_or_b64 exec, exec, s[18:19]
	s_and_saveexec_b64 s[18:19], s[16:17]
	s_cbranch_execnz .LBB113_1597
	s_branch .LBB113_1598
.LBB113_1616:
	s_mov_b64 s[0:1], -1
                                        ; implicit-def: $vgpr3
.LBB113_1617:
	s_mov_b64 s[18:19], 0
.LBB113_1618:
	s_mov_b64 s[16:17], 0
	s_and_b64 vcc, exec, s[18:19]
	s_cbranch_vccz .LBB113_1620
; %bb.1619:
	v_mov_b32_e32 v2, 11
	v_cmp_ne_u16_sdwa s[0:1], v7, v2 src0_sel:BYTE_0 src1_sel:DWORD
	s_mov_b64 s[16:17], -1
                                        ; implicit-def: $vgpr3
.LBB113_1620:
	s_and_b64 vcc, exec, s[0:1]
	s_mov_b64 s[18:19], s[6:7]
	s_cbranch_vccnz .LBB113_1681
; %bb.1621:
	s_andn2_b64 vcc, exec, s[16:17]
	s_cbranch_vccnz .LBB113_1623
.LBB113_1622:
	global_load_ubyte v2, v[0:1], off
	s_mov_b64 s[20:21], -1
	s_waitcnt vmcnt(0)
	v_cmp_ne_u16_e32 vcc, 0, v2
	v_cndmask_b32_e64 v3, 0, 1.0, vcc
.LBB113_1623:
	s_branch .LBB113_1553
.LBB113_1624:
	v_mov_b32_e32 v2, 5
	v_cmp_lt_i16_sdwa s[0:1], v7, v2 src0_sel:BYTE_0 src1_sel:DWORD
	s_and_b64 vcc, exec, s[0:1]
	s_cbranch_vccnz .LBB113_1629
; %bb.1625:
	v_mov_b32_e32 v2, 8
	v_cmp_lt_i16_sdwa s[0:1], v7, v2 src0_sel:BYTE_0 src1_sel:DWORD
	s_and_b64 vcc, exec, s[0:1]
	s_cbranch_vccnz .LBB113_1630
; %bb.1626:
	;; [unrolled: 5-line block ×3, first 2 shown]
	v_cmp_gt_i16_sdwa s[0:1], v7, v2 src0_sel:BYTE_0 src1_sel:DWORD
	s_and_b64 vcc, exec, s[0:1]
	s_cbranch_vccz .LBB113_1632
; %bb.1628:
	global_load_dwordx2 v[2:3], v[0:1], off
	s_mov_b64 s[0:1], 0
	s_waitcnt vmcnt(0)
	v_cvt_f32_f64_e32 v3, v[2:3]
	s_branch .LBB113_1633
.LBB113_1629:
                                        ; implicit-def: $vgpr3
	s_branch .LBB113_1650
.LBB113_1630:
                                        ; implicit-def: $vgpr3
	s_branch .LBB113_1639
.LBB113_1631:
	s_mov_b64 s[0:1], -1
                                        ; implicit-def: $vgpr3
	s_branch .LBB113_1636
.LBB113_1632:
	s_mov_b64 s[0:1], -1
                                        ; implicit-def: $vgpr3
.LBB113_1633:
	s_andn2_b64 vcc, exec, s[0:1]
	s_cbranch_vccnz .LBB113_1635
; %bb.1634:
	global_load_dword v3, v[0:1], off
.LBB113_1635:
	s_mov_b64 s[0:1], 0
.LBB113_1636:
	s_andn2_b64 vcc, exec, s[0:1]
	s_cbranch_vccnz .LBB113_1638
; %bb.1637:
	global_load_dword v2, v[0:1], off
	s_waitcnt vmcnt(0)
	v_cvt_f32_f16_e32 v3, v2
.LBB113_1638:
	s_cbranch_execnz .LBB113_1649
.LBB113_1639:
	v_mov_b32_e32 v2, 6
	v_cmp_lt_i16_sdwa s[0:1], v7, v2 src0_sel:BYTE_0 src1_sel:DWORD
	s_and_b64 vcc, exec, s[0:1]
	s_cbranch_vccnz .LBB113_1642
; %bb.1640:
	v_cmp_gt_i16_sdwa s[0:1], v7, v2 src0_sel:BYTE_0 src1_sel:DWORD
	s_and_b64 vcc, exec, s[0:1]
	s_cbranch_vccz .LBB113_1643
; %bb.1641:
	global_load_dwordx2 v[2:3], v[0:1], off
	s_mov_b64 s[0:1], 0
	s_waitcnt vmcnt(0)
	v_cvt_f32_f64_e32 v3, v[2:3]
	s_branch .LBB113_1644
.LBB113_1642:
	s_mov_b64 s[0:1], -1
                                        ; implicit-def: $vgpr3
	s_branch .LBB113_1647
.LBB113_1643:
	s_mov_b64 s[0:1], -1
                                        ; implicit-def: $vgpr3
.LBB113_1644:
	s_andn2_b64 vcc, exec, s[0:1]
	s_cbranch_vccnz .LBB113_1646
; %bb.1645:
	global_load_dword v3, v[0:1], off
.LBB113_1646:
	s_mov_b64 s[0:1], 0
.LBB113_1647:
	s_andn2_b64 vcc, exec, s[0:1]
	s_cbranch_vccnz .LBB113_1649
; %bb.1648:
	global_load_ushort v2, v[0:1], off
	s_waitcnt vmcnt(0)
	v_cvt_f32_f16_e32 v3, v2
.LBB113_1649:
	s_cbranch_execnz .LBB113_1668
.LBB113_1650:
	v_mov_b32_e32 v2, 2
	v_cmp_lt_i16_sdwa s[0:1], v7, v2 src0_sel:BYTE_0 src1_sel:DWORD
	s_and_b64 vcc, exec, s[0:1]
	s_cbranch_vccnz .LBB113_1654
; %bb.1651:
	v_mov_b32_e32 v2, 3
	v_cmp_lt_i16_sdwa s[0:1], v7, v2 src0_sel:BYTE_0 src1_sel:DWORD
	s_and_b64 vcc, exec, s[0:1]
	s_cbranch_vccnz .LBB113_1655
; %bb.1652:
	v_cmp_gt_i16_sdwa s[0:1], v7, v2 src0_sel:BYTE_0 src1_sel:DWORD
	s_and_b64 vcc, exec, s[0:1]
	s_cbranch_vccz .LBB113_1656
; %bb.1653:
	global_load_dwordx2 v[2:3], v[0:1], off
	s_mov_b64 s[0:1], 0
	s_waitcnt vmcnt(0)
	v_xor_b32_e32 v10, v2, v3
	v_ffbh_i32_e32 v9, v3
	v_ashrrev_i32_e32 v10, 31, v10
	v_add_u32_e32 v9, -1, v9
	v_add_u32_e32 v10, 32, v10
	v_min_u32_e32 v9, v9, v10
	v_lshlrev_b64 v[2:3], v9, v[2:3]
	v_min_u32_e32 v2, 1, v2
	v_or_b32_e32 v2, v3, v2
	v_cvt_f32_i32_e32 v2, v2
	v_sub_u32_e32 v3, 32, v9
	v_ldexp_f32 v3, v2, v3
	s_branch .LBB113_1657
.LBB113_1654:
                                        ; implicit-def: $vgpr3
	s_branch .LBB113_1663
.LBB113_1655:
	s_mov_b64 s[0:1], -1
                                        ; implicit-def: $vgpr3
	s_branch .LBB113_1660
.LBB113_1656:
	s_mov_b64 s[0:1], -1
                                        ; implicit-def: $vgpr3
.LBB113_1657:
	s_andn2_b64 vcc, exec, s[0:1]
	s_cbranch_vccnz .LBB113_1659
; %bb.1658:
	global_load_dword v2, v[0:1], off
	s_waitcnt vmcnt(0)
	v_cvt_f32_i32_e32 v3, v2
.LBB113_1659:
	s_mov_b64 s[0:1], 0
.LBB113_1660:
	s_andn2_b64 vcc, exec, s[0:1]
	s_cbranch_vccnz .LBB113_1662
; %bb.1661:
	global_load_sshort v2, v[0:1], off
	s_waitcnt vmcnt(0)
	v_cvt_f32_i32_e32 v3, v2
.LBB113_1662:
	s_cbranch_execnz .LBB113_1668
.LBB113_1663:
	v_mov_b32_e32 v2, 0
	v_cmp_gt_i16_sdwa s[0:1], v7, v2 src0_sel:BYTE_0 src1_sel:DWORD
	s_and_b64 vcc, exec, s[0:1]
	s_cbranch_vccz .LBB113_1665
; %bb.1664:
	global_load_sbyte v2, v[0:1], off
	s_mov_b64 s[0:1], 0
	s_waitcnt vmcnt(0)
	v_cvt_f32_i32_e32 v3, v2
	s_branch .LBB113_1666
.LBB113_1665:
	s_mov_b64 s[0:1], -1
                                        ; implicit-def: $vgpr3
.LBB113_1666:
	s_andn2_b64 vcc, exec, s[0:1]
	s_cbranch_vccnz .LBB113_1668
; %bb.1667:
	global_load_ubyte v0, v[0:1], off
	s_waitcnt vmcnt(0)
	v_cvt_f32_ubyte0_e32 v3, v0
.LBB113_1668:
.LBB113_1669:
	v_mul_lo_u32 v9, s14, v5
	v_ashrrev_i32_e32 v1, 31, v9
	v_mov_b32_e32 v2, s3
	v_add_co_u32_e32 v0, vcc, s2, v9
	v_addc_co_u32_e32 v1, vcc, v2, v1, vcc
	v_mov_b32_e32 v2, 11
	v_cmp_lt_i16_sdwa s[0:1], v6, v2 src0_sel:BYTE_0 src1_sel:DWORD
	s_and_b64 vcc, exec, s[0:1]
	s_cbranch_vccnz .LBB113_1676
; %bb.1670:
	v_mov_b32_e32 v2, 25
	v_cmp_gt_i16_sdwa s[0:1], v6, v2 src0_sel:BYTE_0 src1_sel:DWORD
	s_mov_b64 s[16:17], 0
	s_and_b64 vcc, exec, s[0:1]
	s_cbranch_vccz .LBB113_1678
; %bb.1671:
	v_mov_b32_e32 v2, 28
	v_cmp_gt_i16_sdwa s[0:1], v6, v2 src0_sel:BYTE_0 src1_sel:DWORD
	s_and_b64 vcc, exec, s[0:1]
	s_cbranch_vccz .LBB113_1679
; %bb.1672:
	v_mov_b32_e32 v2, 43
	v_cmp_gt_i16_sdwa s[0:1], v6, v2 src0_sel:BYTE_0 src1_sel:DWORD
	;; [unrolled: 5-line block ×3, first 2 shown]
	s_and_b64 vcc, exec, s[0:1]
	s_cbranch_vccz .LBB113_1682
; %bb.1674:
	v_mov_b32_e32 v2, 46
	v_cmp_eq_u16_sdwa s[0:1], v6, v2 src0_sel:BYTE_0 src1_sel:DWORD
	s_mov_b64 s[22:23], 0
	s_and_b64 vcc, exec, s[0:1]
	s_cbranch_vccz .LBB113_1685
; %bb.1675:
	global_load_dword v2, v[0:1], off
	s_mov_b64 s[0:1], 0
	s_mov_b64 s[20:21], -1
	s_waitcnt vmcnt(0)
	v_lshlrev_b32_e32 v2, 16, v2
	s_branch .LBB113_1686
.LBB113_1676:
	s_mov_b64 s[20:21], 0
                                        ; implicit-def: $vgpr2
	s_cbranch_execnz .LBB113_1751
.LBB113_1677:
	s_andn2_b64 vcc, exec, s[20:21]
	s_cbranch_vccnz .LBB113_3032
	s_branch .LBB113_1798
.LBB113_1678:
	s_mov_b64 s[20:21], 0
	s_mov_b64 s[0:1], 0
                                        ; implicit-def: $vgpr2
	s_cbranch_execnz .LBB113_1715
	s_branch .LBB113_1747
.LBB113_1679:
	s_mov_b64 s[22:23], -1
	s_mov_b64 s[20:21], 0
	s_mov_b64 s[0:1], 0
                                        ; implicit-def: $vgpr2
	s_branch .LBB113_1696
.LBB113_1680:
	s_mov_b64 s[22:23], -1
	s_mov_b64 s[20:21], 0
	s_mov_b64 s[0:1], 0
                                        ; implicit-def: $vgpr2
	s_branch .LBB113_1691
.LBB113_1681:
	s_or_b64 s[18:19], s[6:7], exec
	s_trap 2
                                        ; implicit-def: $vgpr3
	s_cbranch_execz .LBB113_1622
	s_branch .LBB113_1623
.LBB113_1682:
	s_mov_b64 s[22:23], -1
	s_mov_b64 s[20:21], 0
	s_mov_b64 s[0:1], 0
                                        ; implicit-def: $vgpr2
	s_branch .LBB113_1686
.LBB113_1683:
	s_or_saveexec_b64 s[28:29], s[28:29]
                                        ; implicit-def: $sgpr15
	s_xor_b64 exec, exec, s[28:29]
	s_cbranch_execz .LBB113_1469
.LBB113_1684:
	s_mov_b32 s15, 0x42800000
	v_add_f32_e64 v4, |v3|, s15
	v_and_b32_e32 v4, 0xff, v4
	v_cmp_ne_u32_e32 vcc, 0, v4
	s_andn2_b64 s[26:27], s[26:27], exec
	s_and_b64 s[30:31], vcc, exec
	s_mov_b32 s15, 0
	s_or_b64 s[26:27], s[26:27], s[30:31]
	s_or_b64 exec, exec, s[28:29]
	v_mov_b32_e32 v5, s15
	s_and_saveexec_b64 s[28:29], s[26:27]
	s_cbranch_execnz .LBB113_1470
	s_branch .LBB113_1471
.LBB113_1685:
	s_mov_b64 s[0:1], -1
                                        ; implicit-def: $vgpr2
	s_mov_b64 s[20:21], 0
.LBB113_1686:
	s_and_b64 vcc, exec, s[22:23]
	s_cbranch_vccz .LBB113_1690
; %bb.1687:
	v_mov_b32_e32 v2, 44
	v_cmp_eq_u16_sdwa s[0:1], v6, v2 src0_sel:BYTE_0 src1_sel:DWORD
	s_and_b64 vcc, exec, s[0:1]
	s_cbranch_vccz .LBB113_1689
; %bb.1688:
	global_load_ubyte v2, v[0:1], off
	s_movk_i32 s15, 0xff
	v_mov_b32_e32 v10, 0x7f800001
	v_mov_b32_e32 v11, 0x400000
	s_mov_b64 s[0:1], 0
	s_mov_b64 s[20:21], -1
	s_waitcnt vmcnt(0)
	v_lshlrev_b32_e32 v12, 23, v2
	v_cmp_ne_u32_e32 vcc, s15, v2
	v_cndmask_b32_e32 v10, v10, v12, vcc
	v_cmp_ne_u32_e32 vcc, 0, v2
	v_cndmask_b32_e32 v2, v11, v10, vcc
	s_branch .LBB113_1690
.LBB113_1689:
	s_mov_b64 s[0:1], -1
                                        ; implicit-def: $vgpr2
.LBB113_1690:
	s_mov_b64 s[22:23], 0
.LBB113_1691:
	s_and_b64 vcc, exec, s[22:23]
	s_cbranch_vccz .LBB113_1695
; %bb.1692:
	v_mov_b32_e32 v2, 29
	v_cmp_eq_u16_sdwa s[0:1], v6, v2 src0_sel:BYTE_0 src1_sel:DWORD
	s_and_b64 vcc, exec, s[0:1]
	s_cbranch_vccz .LBB113_1694
; %bb.1693:
	global_load_dwordx2 v[10:11], v[0:1], off
	s_mov_b64 s[0:1], 0
	s_mov_b64 s[20:21], -1
	s_mov_b64 s[22:23], 0
	s_waitcnt vmcnt(0)
	v_ffbh_u32_e32 v2, v11
	v_min_u32_e32 v2, 32, v2
	v_lshlrev_b64 v[10:11], v2, v[10:11]
	v_min_u32_e32 v10, 1, v10
	v_or_b32_e32 v10, v11, v10
	v_cvt_f32_u32_e32 v10, v10
	v_sub_u32_e32 v2, 32, v2
	v_ldexp_f32 v2, v10, v2
	s_branch .LBB113_1696
.LBB113_1694:
	s_mov_b64 s[0:1], -1
                                        ; implicit-def: $vgpr2
.LBB113_1695:
	s_mov_b64 s[22:23], 0
.LBB113_1696:
	s_and_b64 vcc, exec, s[22:23]
	s_cbranch_vccz .LBB113_1714
; %bb.1697:
	v_mov_b32_e32 v2, 27
	v_cmp_lt_i16_sdwa s[20:21], v6, v2 src0_sel:BYTE_0 src1_sel:DWORD
	s_and_b64 vcc, exec, s[20:21]
	s_cbranch_vccnz .LBB113_1700
; %bb.1698:
	v_cmp_gt_i16_sdwa s[20:21], v6, v2 src0_sel:BYTE_0 src1_sel:DWORD
	s_and_b64 vcc, exec, s[20:21]
	s_cbranch_vccz .LBB113_1701
; %bb.1699:
	global_load_dword v2, v[0:1], off
	s_mov_b64 s[20:21], 0
	s_waitcnt vmcnt(0)
	v_cvt_f32_u32_e32 v2, v2
	s_branch .LBB113_1702
.LBB113_1700:
	s_mov_b64 s[20:21], -1
                                        ; implicit-def: $vgpr2
	s_branch .LBB113_1705
.LBB113_1701:
	s_mov_b64 s[20:21], -1
                                        ; implicit-def: $vgpr2
.LBB113_1702:
	s_andn2_b64 vcc, exec, s[20:21]
	s_cbranch_vccnz .LBB113_1704
; %bb.1703:
	global_load_ushort v2, v[0:1], off
	s_waitcnt vmcnt(0)
	v_cvt_f32_u32_e32 v2, v2
.LBB113_1704:
	s_mov_b64 s[20:21], 0
.LBB113_1705:
	s_andn2_b64 vcc, exec, s[20:21]
	s_cbranch_vccnz .LBB113_1713
; %bb.1706:
	global_load_ubyte v10, v[0:1], off
	s_movk_i32 s15, 0x7f
	s_mov_b64 s[20:21], 0
	s_waitcnt vmcnt(0)
	v_cmp_lt_i16_e32 vcc, s15, v10
                                        ; implicit-def: $sgpr15
	s_and_saveexec_b64 s[22:23], vcc
	s_xor_b64 s[22:23], exec, s[22:23]
	s_cbranch_execz .LBB113_1726
; %bb.1707:
	s_movk_i32 s15, 0x80
	v_cmp_eq_u16_e32 vcc, s15, v10
	s_mov_b64 s[20:21], -1
                                        ; implicit-def: $sgpr15
	s_and_saveexec_b64 s[24:25], vcc
; %bb.1708:
	s_mov_b32 s15, 0x7f800001
	s_xor_b64 s[20:21], exec, -1
; %bb.1709:
	s_or_b64 exec, exec, s[24:25]
	s_and_b64 s[20:21], s[20:21], exec
	s_or_saveexec_b64 s[22:23], s[22:23]
	v_mov_b32_e32 v2, s15
	s_xor_b64 exec, exec, s[22:23]
	s_cbranch_execnz .LBB113_1727
.LBB113_1710:
	s_or_b64 exec, exec, s[22:23]
	s_and_saveexec_b64 s[22:23], s[20:21]
	s_cbranch_execz .LBB113_1712
.LBB113_1711:
	v_lshlrev_b32_e32 v2, 24, v10
	v_and_b32_e32 v10, 0xffff, v10
	v_and_b32_e32 v11, 7, v10
	v_ffbh_u32_e32 v13, v11
	v_min_u32_e32 v13, 32, v13
	v_subrev_u32_e32 v14, 28, v13
	v_bfe_u32 v12, v10, 3, 4
	v_lshlrev_b32_e32 v10, v14, v10
	v_sub_u32_e32 v13, 29, v13
	v_and_b32_e32 v10, 7, v10
	v_cmp_eq_u32_e32 vcc, 0, v12
	v_cndmask_b32_e32 v12, v12, v13, vcc
	v_cndmask_b32_e32 v10, v11, v10, vcc
	v_mov_b32_e32 v11, 0x3b800000
	v_lshlrev_b32_e32 v10, 20, v10
	v_and_b32_e32 v2, 0x80000000, v2
	v_lshl_add_u32 v11, v12, 23, v11
	v_or3_b32 v2, v2, v11, v10
.LBB113_1712:
	s_or_b64 exec, exec, s[22:23]
.LBB113_1713:
	s_mov_b64 s[20:21], -1
.LBB113_1714:
	s_branch .LBB113_1747
.LBB113_1715:
	v_mov_b32_e32 v2, 22
	v_cmp_gt_i16_sdwa s[16:17], v6, v2 src0_sel:BYTE_0 src1_sel:DWORD
	s_and_b64 vcc, exec, s[16:17]
	s_cbranch_vccz .LBB113_1725
; %bb.1716:
	v_mov_b32_e32 v2, 24
	v_cmp_lt_i16_sdwa s[16:17], v6, v2 src0_sel:BYTE_0 src1_sel:DWORD
	s_and_b64 vcc, exec, s[16:17]
	s_cbranch_vccnz .LBB113_1728
; %bb.1717:
	v_cmp_gt_i16_sdwa s[16:17], v6, v2 src0_sel:BYTE_0 src1_sel:DWORD
	s_and_b64 vcc, exec, s[16:17]
	s_cbranch_vccz .LBB113_1729
; %bb.1718:
	global_load_ubyte v10, v[0:1], off
	s_movk_i32 s15, 0x7f
	s_mov_b64 s[16:17], 0
	s_waitcnt vmcnt(0)
	v_cmp_lt_i16_e32 vcc, s15, v10
                                        ; implicit-def: $sgpr15
	s_and_saveexec_b64 s[20:21], vcc
	s_xor_b64 s[20:21], exec, s[20:21]
	s_cbranch_execz .LBB113_1741
; %bb.1719:
	s_movk_i32 s15, 0x80
	v_cmp_eq_u16_e32 vcc, s15, v10
	s_mov_b64 s[16:17], -1
                                        ; implicit-def: $sgpr15
	s_and_saveexec_b64 s[22:23], vcc
; %bb.1720:
	s_mov_b32 s15, 0x7f800001
	s_xor_b64 s[16:17], exec, -1
; %bb.1721:
	s_or_b64 exec, exec, s[22:23]
	s_and_b64 s[16:17], s[16:17], exec
	s_or_saveexec_b64 s[20:21], s[20:21]
	v_mov_b32_e32 v2, s15
	s_xor_b64 exec, exec, s[20:21]
	s_cbranch_execnz .LBB113_1742
.LBB113_1722:
	s_or_b64 exec, exec, s[20:21]
	s_and_saveexec_b64 s[20:21], s[16:17]
	s_cbranch_execz .LBB113_1724
.LBB113_1723:
	v_lshlrev_b32_e32 v2, 24, v10
	v_and_b32_e32 v10, 0xffff, v10
	v_and_b32_e32 v11, 3, v10
	v_ffbh_u32_e32 v13, v11
	v_min_u32_e32 v13, 32, v13
	v_subrev_u32_e32 v14, 29, v13
	v_bfe_u32 v12, v10, 2, 5
	v_lshlrev_b32_e32 v10, v14, v10
	v_sub_u32_e32 v13, 30, v13
	v_and_b32_e32 v10, 3, v10
	v_cmp_eq_u32_e32 vcc, 0, v12
	v_cndmask_b32_e32 v12, v12, v13, vcc
	v_cndmask_b32_e32 v10, v11, v10, vcc
	v_mov_b32_e32 v11, 0x37800000
	v_lshlrev_b32_e32 v10, 21, v10
	v_and_b32_e32 v2, 0x80000000, v2
	v_lshl_add_u32 v11, v12, 23, v11
	v_or3_b32 v2, v2, v11, v10
.LBB113_1724:
	s_or_b64 exec, exec, s[20:21]
	s_mov_b64 s[16:17], 0
	s_branch .LBB113_1730
.LBB113_1725:
	s_mov_b64 s[16:17], -1
                                        ; implicit-def: $vgpr2
	s_branch .LBB113_1736
.LBB113_1726:
	s_or_saveexec_b64 s[22:23], s[22:23]
	v_mov_b32_e32 v2, s15
	s_xor_b64 exec, exec, s[22:23]
	s_cbranch_execz .LBB113_1710
.LBB113_1727:
	v_cmp_ne_u16_e32 vcc, 0, v10
	s_andn2_b64 s[20:21], s[20:21], exec
	s_and_b64 s[24:25], vcc, exec
	v_mov_b32_e32 v2, 0
	s_or_b64 s[20:21], s[20:21], s[24:25]
	s_or_b64 exec, exec, s[22:23]
	s_and_saveexec_b64 s[22:23], s[20:21]
	s_cbranch_execnz .LBB113_1711
	s_branch .LBB113_1712
.LBB113_1728:
	s_mov_b64 s[16:17], -1
                                        ; implicit-def: $vgpr2
	s_branch .LBB113_1733
.LBB113_1729:
	s_mov_b64 s[16:17], -1
                                        ; implicit-def: $vgpr2
.LBB113_1730:
	s_and_b64 vcc, exec, s[16:17]
	s_cbranch_vccz .LBB113_1732
; %bb.1731:
	global_load_ubyte v2, v[0:1], off
	s_mov_b32 s15, 0x7f800000
	s_waitcnt vmcnt(0)
	v_lshlrev_b32_e32 v2, 24, v2
	v_and_b32_e32 v10, 0x7f000000, v2
	v_ffbh_u32_e32 v11, v10
	v_min_u32_e32 v11, 32, v11
	v_sub_u32_e64 v11, v11, 4 clamp
	v_lshlrev_b32_e32 v13, v11, v10
	v_lshlrev_b32_e32 v11, 23, v11
	v_lshrrev_b32_e32 v13, 4, v13
	v_add_u32_e32 v12, 0x1000000, v10
	v_sub_u32_e32 v11, v13, v11
	v_ashrrev_i32_e32 v12, 8, v12
	v_add_u32_e32 v11, 0x3c000000, v11
	v_and_or_b32 v11, v12, s15, v11
	v_cmp_ne_u32_e32 vcc, 0, v10
	v_cndmask_b32_e32 v10, 0, v11, vcc
	s_brev_b32 s15, 1
	v_and_or_b32 v2, v2, s15, v10
.LBB113_1732:
	s_mov_b64 s[16:17], 0
.LBB113_1733:
	s_andn2_b64 vcc, exec, s[16:17]
	s_cbranch_vccnz .LBB113_1735
; %bb.1734:
	global_load_ubyte v2, v[0:1], off
	s_movk_i32 s15, 0x7f00
	s_brev_b32 s16, 16
	s_waitcnt vmcnt(0)
	v_lshlrev_b16_e32 v10, 8, v2
	v_lshlrev_b32_e32 v2, 25, v2
	v_lshrrev_b32_e32 v11, 4, v2
	v_and_or_b32 v12, v10, s15, 0.5
	v_or_b32_e32 v11, 0x70000000, v11
	v_add_f32_e32 v12, -0.5, v12
	v_mul_f32_e32 v11, 0x7800000, v11
	v_cmp_gt_u32_e32 vcc, s16, v2
	v_bfe_i32 v10, v10, 0, 16
	v_cndmask_b32_e32 v2, v11, v12, vcc
	s_brev_b32 s15, 1
	v_and_or_b32 v2, v10, s15, v2
.LBB113_1735:
	s_mov_b64 s[16:17], 0
	s_mov_b64 s[20:21], -1
.LBB113_1736:
	s_andn2_b64 vcc, exec, s[16:17]
	s_mov_b64 s[16:17], 0
	s_cbranch_vccnz .LBB113_1747
; %bb.1737:
	v_mov_b32_e32 v2, 14
	v_cmp_gt_i16_sdwa s[16:17], v6, v2 src0_sel:BYTE_0 src1_sel:DWORD
	s_and_b64 vcc, exec, s[16:17]
	s_cbranch_vccz .LBB113_1740
; %bb.1738:
	v_mov_b32_e32 v2, 15
	v_cmp_eq_u16_sdwa s[0:1], v6, v2 src0_sel:BYTE_0 src1_sel:DWORD
	s_and_b64 vcc, exec, s[0:1]
	s_cbranch_vccz .LBB113_1743
; %bb.1739:
	global_load_ushort v2, v[0:1], off
	s_mov_b64 s[0:1], 0
	s_mov_b64 s[20:21], -1
	s_waitcnt vmcnt(0)
	v_lshlrev_b32_e32 v2, 16, v2
	s_branch .LBB113_1744
.LBB113_1740:
	s_mov_b64 s[22:23], -1
                                        ; implicit-def: $vgpr2
	s_branch .LBB113_1745
.LBB113_1741:
	s_or_saveexec_b64 s[20:21], s[20:21]
	v_mov_b32_e32 v2, s15
	s_xor_b64 exec, exec, s[20:21]
	s_cbranch_execz .LBB113_1722
.LBB113_1742:
	v_cmp_ne_u16_e32 vcc, 0, v10
	s_andn2_b64 s[16:17], s[16:17], exec
	s_and_b64 s[22:23], vcc, exec
	v_mov_b32_e32 v2, 0
	s_or_b64 s[16:17], s[16:17], s[22:23]
	s_or_b64 exec, exec, s[20:21]
	s_and_saveexec_b64 s[20:21], s[16:17]
	s_cbranch_execnz .LBB113_1723
	s_branch .LBB113_1724
.LBB113_1743:
	s_mov_b64 s[0:1], -1
                                        ; implicit-def: $vgpr2
.LBB113_1744:
	s_mov_b64 s[22:23], 0
.LBB113_1745:
	s_mov_b64 s[16:17], 0
	s_and_b64 vcc, exec, s[22:23]
	s_cbranch_vccz .LBB113_1747
; %bb.1746:
	v_mov_b32_e32 v2, 11
	v_cmp_ne_u16_sdwa s[0:1], v6, v2 src0_sel:BYTE_0 src1_sel:DWORD
	s_mov_b64 s[16:17], -1
                                        ; implicit-def: $vgpr2
.LBB113_1747:
	s_and_b64 vcc, exec, s[0:1]
	s_cbranch_vccnz .LBB113_1810
; %bb.1748:
	s_andn2_b64 vcc, exec, s[16:17]
	s_cbranch_vccnz .LBB113_1750
.LBB113_1749:
	global_load_ubyte v2, v[0:1], off
	s_mov_b64 s[20:21], -1
	s_waitcnt vmcnt(0)
	v_cmp_ne_u16_e32 vcc, 0, v2
	v_cndmask_b32_e64 v2, 0, 1.0, vcc
.LBB113_1750:
	s_branch .LBB113_1677
.LBB113_1751:
	v_mov_b32_e32 v2, 5
	v_cmp_lt_i16_sdwa s[0:1], v6, v2 src0_sel:BYTE_0 src1_sel:DWORD
	s_and_b64 vcc, exec, s[0:1]
	s_cbranch_vccnz .LBB113_1756
; %bb.1752:
	v_mov_b32_e32 v2, 8
	v_cmp_lt_i16_sdwa s[0:1], v6, v2 src0_sel:BYTE_0 src1_sel:DWORD
	s_and_b64 vcc, exec, s[0:1]
	s_cbranch_vccnz .LBB113_1757
; %bb.1753:
	;; [unrolled: 5-line block ×3, first 2 shown]
	v_cmp_gt_i16_sdwa s[0:1], v6, v2 src0_sel:BYTE_0 src1_sel:DWORD
	s_and_b64 vcc, exec, s[0:1]
	s_cbranch_vccz .LBB113_1759
; %bb.1755:
	global_load_dwordx2 v[10:11], v[0:1], off
	s_mov_b64 s[0:1], 0
	s_waitcnt vmcnt(0)
	v_cvt_f32_f64_e32 v2, v[10:11]
	s_branch .LBB113_1760
.LBB113_1756:
                                        ; implicit-def: $vgpr2
	s_branch .LBB113_1778
.LBB113_1757:
	s_mov_b64 s[0:1], -1
                                        ; implicit-def: $vgpr2
	s_branch .LBB113_1766
.LBB113_1758:
	s_mov_b64 s[0:1], -1
                                        ; implicit-def: $vgpr2
	s_branch .LBB113_1763
.LBB113_1759:
	s_mov_b64 s[0:1], -1
                                        ; implicit-def: $vgpr2
.LBB113_1760:
	s_andn2_b64 vcc, exec, s[0:1]
	s_cbranch_vccnz .LBB113_1762
; %bb.1761:
	global_load_dword v2, v[0:1], off
.LBB113_1762:
	s_mov_b64 s[0:1], 0
.LBB113_1763:
	s_andn2_b64 vcc, exec, s[0:1]
	s_cbranch_vccnz .LBB113_1765
; %bb.1764:
	global_load_dword v2, v[0:1], off
	s_waitcnt vmcnt(0)
	v_cvt_f32_f16_e32 v2, v2
.LBB113_1765:
	s_mov_b64 s[0:1], 0
.LBB113_1766:
	s_andn2_b64 vcc, exec, s[0:1]
	s_cbranch_vccnz .LBB113_1777
; %bb.1767:
	s_waitcnt vmcnt(0)
	v_mov_b32_e32 v2, 6
	v_cmp_lt_i16_sdwa s[0:1], v6, v2 src0_sel:BYTE_0 src1_sel:DWORD
	s_and_b64 vcc, exec, s[0:1]
	s_cbranch_vccnz .LBB113_1770
; %bb.1768:
	v_cmp_gt_i16_sdwa s[0:1], v6, v2 src0_sel:BYTE_0 src1_sel:DWORD
	s_and_b64 vcc, exec, s[0:1]
	s_cbranch_vccz .LBB113_1771
; %bb.1769:
	global_load_dwordx2 v[10:11], v[0:1], off
	s_mov_b64 s[0:1], 0
	s_waitcnt vmcnt(0)
	v_cvt_f32_f64_e32 v2, v[10:11]
	s_branch .LBB113_1772
.LBB113_1770:
	s_mov_b64 s[0:1], -1
                                        ; implicit-def: $vgpr2
	s_branch .LBB113_1775
.LBB113_1771:
	s_mov_b64 s[0:1], -1
                                        ; implicit-def: $vgpr2
.LBB113_1772:
	s_andn2_b64 vcc, exec, s[0:1]
	s_cbranch_vccnz .LBB113_1774
; %bb.1773:
	global_load_dword v2, v[0:1], off
.LBB113_1774:
	s_mov_b64 s[0:1], 0
.LBB113_1775:
	s_andn2_b64 vcc, exec, s[0:1]
	s_cbranch_vccnz .LBB113_1777
; %bb.1776:
	global_load_ushort v2, v[0:1], off
	s_waitcnt vmcnt(0)
	v_cvt_f32_f16_e32 v2, v2
.LBB113_1777:
	s_cbranch_execnz .LBB113_1797
.LBB113_1778:
	s_waitcnt vmcnt(0)
	v_mov_b32_e32 v2, 2
	v_cmp_lt_i16_sdwa s[0:1], v6, v2 src0_sel:BYTE_0 src1_sel:DWORD
	s_and_b64 vcc, exec, s[0:1]
	s_cbranch_vccnz .LBB113_1782
; %bb.1779:
	v_mov_b32_e32 v2, 3
	v_cmp_lt_i16_sdwa s[0:1], v6, v2 src0_sel:BYTE_0 src1_sel:DWORD
	s_and_b64 vcc, exec, s[0:1]
	s_cbranch_vccnz .LBB113_1783
; %bb.1780:
	v_cmp_gt_i16_sdwa s[0:1], v6, v2 src0_sel:BYTE_0 src1_sel:DWORD
	s_and_b64 vcc, exec, s[0:1]
	s_cbranch_vccz .LBB113_1784
; %bb.1781:
	global_load_dwordx2 v[10:11], v[0:1], off
	s_mov_b64 s[0:1], 0
	s_waitcnt vmcnt(0)
	v_xor_b32_e32 v12, v10, v11
	v_ffbh_i32_e32 v2, v11
	v_ashrrev_i32_e32 v12, 31, v12
	v_add_u32_e32 v2, -1, v2
	v_add_u32_e32 v12, 32, v12
	v_min_u32_e32 v2, v2, v12
	v_lshlrev_b64 v[10:11], v2, v[10:11]
	v_min_u32_e32 v10, 1, v10
	v_or_b32_e32 v10, v11, v10
	v_cvt_f32_i32_e32 v10, v10
	v_sub_u32_e32 v2, 32, v2
	v_ldexp_f32 v2, v10, v2
	s_branch .LBB113_1785
.LBB113_1782:
	s_mov_b64 s[0:1], -1
                                        ; implicit-def: $vgpr2
	s_branch .LBB113_1791
.LBB113_1783:
	s_mov_b64 s[0:1], -1
                                        ; implicit-def: $vgpr2
	s_branch .LBB113_1788
.LBB113_1784:
	s_mov_b64 s[0:1], -1
                                        ; implicit-def: $vgpr2
.LBB113_1785:
	s_andn2_b64 vcc, exec, s[0:1]
	s_cbranch_vccnz .LBB113_1787
; %bb.1786:
	global_load_dword v2, v[0:1], off
	s_waitcnt vmcnt(0)
	v_cvt_f32_i32_e32 v2, v2
.LBB113_1787:
	s_mov_b64 s[0:1], 0
.LBB113_1788:
	s_andn2_b64 vcc, exec, s[0:1]
	s_cbranch_vccnz .LBB113_1790
; %bb.1789:
	global_load_sshort v2, v[0:1], off
	s_waitcnt vmcnt(0)
	v_cvt_f32_i32_e32 v2, v2
.LBB113_1790:
	s_mov_b64 s[0:1], 0
.LBB113_1791:
	s_andn2_b64 vcc, exec, s[0:1]
	s_cbranch_vccnz .LBB113_1797
; %bb.1792:
	v_mov_b32_e32 v2, 0
	v_cmp_gt_i16_sdwa s[0:1], v6, v2 src0_sel:BYTE_0 src1_sel:DWORD
	s_and_b64 vcc, exec, s[0:1]
	s_cbranch_vccz .LBB113_1794
; %bb.1793:
	global_load_sbyte v2, v[0:1], off
	s_mov_b64 s[0:1], 0
	s_waitcnt vmcnt(0)
	v_cvt_f32_i32_e32 v2, v2
	s_branch .LBB113_1795
.LBB113_1794:
	s_mov_b64 s[0:1], -1
                                        ; implicit-def: $vgpr2
.LBB113_1795:
	s_andn2_b64 vcc, exec, s[0:1]
	s_cbranch_vccnz .LBB113_1797
; %bb.1796:
	global_load_ubyte v0, v[0:1], off
	s_waitcnt vmcnt(0)
	v_cvt_f32_ubyte0_e32 v2, v0
.LBB113_1797:
.LBB113_1798:
	s_lshl_b32 s13, s13, 7
	v_add_u32_e32 v11, s13, v8
	v_ashrrev_i32_e32 v1, 31, v11
	v_mov_b32_e32 v8, s11
	v_add_co_u32_e32 v0, vcc, s10, v11
	v_addc_co_u32_e32 v1, vcc, v8, v1, vcc
	v_mov_b32_e32 v8, 11
	v_cmp_lt_i16_sdwa s[0:1], v7, v8 src0_sel:BYTE_0 src1_sel:DWORD
	s_and_b64 vcc, exec, s[0:1]
	s_cbranch_vccnz .LBB113_1805
; %bb.1799:
	v_mov_b32_e32 v8, 25
	v_cmp_gt_i16_sdwa s[0:1], v7, v8 src0_sel:BYTE_0 src1_sel:DWORD
	s_mov_b64 s[16:17], 0
	s_and_b64 vcc, exec, s[0:1]
	s_cbranch_vccz .LBB113_1807
; %bb.1800:
	v_mov_b32_e32 v8, 28
	v_cmp_gt_i16_sdwa s[0:1], v7, v8 src0_sel:BYTE_0 src1_sel:DWORD
	s_and_b64 vcc, exec, s[0:1]
	s_cbranch_vccz .LBB113_1808
; %bb.1801:
	v_mov_b32_e32 v8, 43
	v_cmp_gt_i16_sdwa s[0:1], v7, v8 src0_sel:BYTE_0 src1_sel:DWORD
	;; [unrolled: 5-line block ×3, first 2 shown]
	s_and_b64 vcc, exec, s[0:1]
	s_cbranch_vccz .LBB113_1811
; %bb.1803:
	v_mov_b32_e32 v8, 46
	v_cmp_eq_u16_sdwa s[0:1], v7, v8 src0_sel:BYTE_0 src1_sel:DWORD
	s_mov_b64 s[22:23], 0
	s_and_b64 vcc, exec, s[0:1]
	s_cbranch_vccz .LBB113_1812
; %bb.1804:
	global_load_dword v8, v[0:1], off
	s_mov_b64 s[0:1], 0
	s_mov_b64 s[20:21], -1
	s_waitcnt vmcnt(0)
	v_lshlrev_b32_e32 v8, 16, v8
	s_branch .LBB113_1813
.LBB113_1805:
	s_mov_b64 s[20:21], 0
                                        ; implicit-def: $vgpr8
	s_cbranch_execnz .LBB113_1879
.LBB113_1806:
	s_andn2_b64 vcc, exec, s[20:21]
	s_cbranch_vccnz .LBB113_3032
	s_branch .LBB113_1927
.LBB113_1807:
	s_mov_b64 s[22:23], -1
	s_mov_b64 s[20:21], 0
	s_mov_b64 s[0:1], 0
                                        ; implicit-def: $vgpr8
	s_branch .LBB113_1842
.LBB113_1808:
	s_mov_b64 s[22:23], -1
	s_mov_b64 s[20:21], 0
	s_mov_b64 s[0:1], 0
                                        ; implicit-def: $vgpr8
	s_branch .LBB113_1823
.LBB113_1809:
	s_mov_b64 s[22:23], -1
	s_mov_b64 s[20:21], 0
	s_mov_b64 s[0:1], 0
                                        ; implicit-def: $vgpr8
	s_branch .LBB113_1818
.LBB113_1810:
	s_trap 2
	s_or_b64 s[18:19], s[18:19], exec
                                        ; implicit-def: $vgpr2
	s_cbranch_execz .LBB113_1749
	s_branch .LBB113_1750
.LBB113_1811:
	s_mov_b64 s[22:23], -1
	s_mov_b64 s[20:21], 0
	s_mov_b64 s[0:1], 0
                                        ; implicit-def: $vgpr8
	s_branch .LBB113_1813
.LBB113_1812:
	s_mov_b64 s[0:1], -1
                                        ; implicit-def: $vgpr8
	s_mov_b64 s[20:21], 0
.LBB113_1813:
	s_and_b64 vcc, exec, s[22:23]
	s_cbranch_vccz .LBB113_1817
; %bb.1814:
	v_mov_b32_e32 v8, 44
	v_cmp_eq_u16_sdwa s[0:1], v7, v8 src0_sel:BYTE_0 src1_sel:DWORD
	s_and_b64 vcc, exec, s[0:1]
	s_cbranch_vccz .LBB113_1816
; %bb.1815:
	global_load_ubyte v8, v[0:1], off
	s_movk_i32 s15, 0xff
	v_mov_b32_e32 v10, 0x7f800001
	v_mov_b32_e32 v12, 0x400000
	s_mov_b64 s[0:1], 0
	s_mov_b64 s[20:21], -1
	s_waitcnt vmcnt(0)
	v_lshlrev_b32_e32 v13, 23, v8
	v_cmp_ne_u32_e32 vcc, s15, v8
	v_cndmask_b32_e32 v10, v10, v13, vcc
	v_cmp_ne_u32_e32 vcc, 0, v8
	v_cndmask_b32_e32 v8, v12, v10, vcc
	s_branch .LBB113_1817
.LBB113_1816:
	s_mov_b64 s[0:1], -1
                                        ; implicit-def: $vgpr8
.LBB113_1817:
	s_mov_b64 s[22:23], 0
.LBB113_1818:
	s_and_b64 vcc, exec, s[22:23]
	s_cbranch_vccz .LBB113_1822
; %bb.1819:
	v_mov_b32_e32 v8, 29
	v_cmp_eq_u16_sdwa s[0:1], v7, v8 src0_sel:BYTE_0 src1_sel:DWORD
	s_and_b64 vcc, exec, s[0:1]
	s_cbranch_vccz .LBB113_1821
; %bb.1820:
	global_load_dwordx2 v[12:13], v[0:1], off
	s_mov_b64 s[0:1], 0
	s_mov_b64 s[20:21], -1
	s_mov_b64 s[22:23], 0
	s_waitcnt vmcnt(0)
	v_ffbh_u32_e32 v8, v13
	v_min_u32_e32 v8, 32, v8
	v_lshlrev_b64 v[12:13], v8, v[12:13]
	v_min_u32_e32 v10, 1, v12
	v_or_b32_e32 v10, v13, v10
	v_cvt_f32_u32_e32 v10, v10
	v_sub_u32_e32 v8, 32, v8
	v_ldexp_f32 v8, v10, v8
	s_branch .LBB113_1823
.LBB113_1821:
	s_mov_b64 s[0:1], -1
                                        ; implicit-def: $vgpr8
.LBB113_1822:
	s_mov_b64 s[22:23], 0
.LBB113_1823:
	s_and_b64 vcc, exec, s[22:23]
	s_cbranch_vccz .LBB113_1841
; %bb.1824:
	v_mov_b32_e32 v8, 27
	v_cmp_lt_i16_sdwa s[20:21], v7, v8 src0_sel:BYTE_0 src1_sel:DWORD
	s_and_b64 vcc, exec, s[20:21]
	s_cbranch_vccnz .LBB113_1827
; %bb.1825:
	v_cmp_gt_i16_sdwa s[20:21], v7, v8 src0_sel:BYTE_0 src1_sel:DWORD
	s_and_b64 vcc, exec, s[20:21]
	s_cbranch_vccz .LBB113_1828
; %bb.1826:
	global_load_dword v8, v[0:1], off
	s_mov_b64 s[20:21], 0
	s_waitcnt vmcnt(0)
	v_cvt_f32_u32_e32 v8, v8
	s_branch .LBB113_1829
.LBB113_1827:
	s_mov_b64 s[20:21], -1
                                        ; implicit-def: $vgpr8
	s_branch .LBB113_1832
.LBB113_1828:
	s_mov_b64 s[20:21], -1
                                        ; implicit-def: $vgpr8
.LBB113_1829:
	s_andn2_b64 vcc, exec, s[20:21]
	s_cbranch_vccnz .LBB113_1831
; %bb.1830:
	global_load_ushort v8, v[0:1], off
	s_waitcnt vmcnt(0)
	v_cvt_f32_u32_e32 v8, v8
.LBB113_1831:
	s_mov_b64 s[20:21], 0
.LBB113_1832:
	s_andn2_b64 vcc, exec, s[20:21]
	s_cbranch_vccnz .LBB113_1840
; %bb.1833:
	global_load_ubyte v10, v[0:1], off
	s_movk_i32 s15, 0x7f
	s_mov_b64 s[20:21], 0
	s_waitcnt vmcnt(0)
	v_cmp_lt_i16_e32 vcc, s15, v10
                                        ; implicit-def: $sgpr15
	s_and_saveexec_b64 s[22:23], vcc
	s_xor_b64 s[22:23], exec, s[22:23]
	s_cbranch_execz .LBB113_1854
; %bb.1834:
	s_movk_i32 s15, 0x80
	v_cmp_eq_u16_e32 vcc, s15, v10
	s_mov_b64 s[20:21], -1
                                        ; implicit-def: $sgpr15
	s_and_saveexec_b64 s[24:25], vcc
; %bb.1835:
	s_mov_b32 s15, 0x7f800001
	s_xor_b64 s[20:21], exec, -1
; %bb.1836:
	s_or_b64 exec, exec, s[24:25]
	s_and_b64 s[20:21], s[20:21], exec
	s_or_saveexec_b64 s[22:23], s[22:23]
	v_mov_b32_e32 v8, s15
	s_xor_b64 exec, exec, s[22:23]
	s_cbranch_execnz .LBB113_1855
.LBB113_1837:
	s_or_b64 exec, exec, s[22:23]
	s_and_saveexec_b64 s[22:23], s[20:21]
	s_cbranch_execz .LBB113_1839
.LBB113_1838:
	v_lshlrev_b32_e32 v8, 24, v10
	v_and_b32_e32 v10, 0xffff, v10
	v_and_b32_e32 v12, 7, v10
	v_ffbh_u32_e32 v14, v12
	v_min_u32_e32 v14, 32, v14
	v_subrev_u32_e32 v15, 28, v14
	v_bfe_u32 v13, v10, 3, 4
	v_lshlrev_b32_e32 v10, v15, v10
	v_sub_u32_e32 v14, 29, v14
	v_and_b32_e32 v10, 7, v10
	v_cmp_eq_u32_e32 vcc, 0, v13
	v_cndmask_b32_e32 v13, v13, v14, vcc
	v_cndmask_b32_e32 v10, v12, v10, vcc
	v_mov_b32_e32 v12, 0x3b800000
	v_lshlrev_b32_e32 v10, 20, v10
	v_and_b32_e32 v8, 0x80000000, v8
	v_lshl_add_u32 v12, v13, 23, v12
	v_or3_b32 v8, v8, v12, v10
.LBB113_1839:
	s_or_b64 exec, exec, s[22:23]
.LBB113_1840:
	s_mov_b64 s[20:21], -1
.LBB113_1841:
	s_mov_b64 s[22:23], 0
.LBB113_1842:
	s_and_b64 vcc, exec, s[22:23]
	s_cbranch_vccz .LBB113_1875
; %bb.1843:
	v_mov_b32_e32 v8, 22
	v_cmp_gt_i16_sdwa s[16:17], v7, v8 src0_sel:BYTE_0 src1_sel:DWORD
	s_and_b64 vcc, exec, s[16:17]
	s_cbranch_vccz .LBB113_1853
; %bb.1844:
	v_mov_b32_e32 v8, 24
	v_cmp_lt_i16_sdwa s[16:17], v7, v8 src0_sel:BYTE_0 src1_sel:DWORD
	s_and_b64 vcc, exec, s[16:17]
	s_cbranch_vccnz .LBB113_1856
; %bb.1845:
	v_cmp_gt_i16_sdwa s[16:17], v7, v8 src0_sel:BYTE_0 src1_sel:DWORD
	s_and_b64 vcc, exec, s[16:17]
	s_cbranch_vccz .LBB113_1857
; %bb.1846:
	global_load_ubyte v10, v[0:1], off
	s_movk_i32 s15, 0x7f
	s_mov_b64 s[16:17], 0
	s_waitcnt vmcnt(0)
	v_cmp_lt_i16_e32 vcc, s15, v10
                                        ; implicit-def: $sgpr15
	s_and_saveexec_b64 s[20:21], vcc
	s_xor_b64 s[20:21], exec, s[20:21]
	s_cbranch_execz .LBB113_1869
; %bb.1847:
	s_movk_i32 s15, 0x80
	v_cmp_eq_u16_e32 vcc, s15, v10
	s_mov_b64 s[16:17], -1
                                        ; implicit-def: $sgpr15
	s_and_saveexec_b64 s[22:23], vcc
; %bb.1848:
	s_mov_b32 s15, 0x7f800001
	s_xor_b64 s[16:17], exec, -1
; %bb.1849:
	s_or_b64 exec, exec, s[22:23]
	s_and_b64 s[16:17], s[16:17], exec
	s_or_saveexec_b64 s[20:21], s[20:21]
	v_mov_b32_e32 v8, s15
	s_xor_b64 exec, exec, s[20:21]
	s_cbranch_execnz .LBB113_1870
.LBB113_1850:
	s_or_b64 exec, exec, s[20:21]
	s_and_saveexec_b64 s[20:21], s[16:17]
	s_cbranch_execz .LBB113_1852
.LBB113_1851:
	v_lshlrev_b32_e32 v8, 24, v10
	v_and_b32_e32 v10, 0xffff, v10
	v_and_b32_e32 v12, 3, v10
	v_ffbh_u32_e32 v14, v12
	v_min_u32_e32 v14, 32, v14
	v_subrev_u32_e32 v15, 29, v14
	v_bfe_u32 v13, v10, 2, 5
	v_lshlrev_b32_e32 v10, v15, v10
	v_sub_u32_e32 v14, 30, v14
	v_and_b32_e32 v10, 3, v10
	v_cmp_eq_u32_e32 vcc, 0, v13
	v_cndmask_b32_e32 v13, v13, v14, vcc
	v_cndmask_b32_e32 v10, v12, v10, vcc
	v_mov_b32_e32 v12, 0x37800000
	v_lshlrev_b32_e32 v10, 21, v10
	v_and_b32_e32 v8, 0x80000000, v8
	v_lshl_add_u32 v12, v13, 23, v12
	v_or3_b32 v8, v8, v12, v10
.LBB113_1852:
	s_or_b64 exec, exec, s[20:21]
	s_mov_b64 s[16:17], 0
	s_branch .LBB113_1858
.LBB113_1853:
	s_mov_b64 s[16:17], -1
                                        ; implicit-def: $vgpr8
	s_branch .LBB113_1864
.LBB113_1854:
	s_or_saveexec_b64 s[22:23], s[22:23]
	v_mov_b32_e32 v8, s15
	s_xor_b64 exec, exec, s[22:23]
	s_cbranch_execz .LBB113_1837
.LBB113_1855:
	v_cmp_ne_u16_e32 vcc, 0, v10
	s_andn2_b64 s[20:21], s[20:21], exec
	s_and_b64 s[24:25], vcc, exec
	v_mov_b32_e32 v8, 0
	s_or_b64 s[20:21], s[20:21], s[24:25]
	s_or_b64 exec, exec, s[22:23]
	s_and_saveexec_b64 s[22:23], s[20:21]
	s_cbranch_execnz .LBB113_1838
	s_branch .LBB113_1839
.LBB113_1856:
	s_mov_b64 s[16:17], -1
                                        ; implicit-def: $vgpr8
	s_branch .LBB113_1861
.LBB113_1857:
	s_mov_b64 s[16:17], -1
                                        ; implicit-def: $vgpr8
.LBB113_1858:
	s_and_b64 vcc, exec, s[16:17]
	s_cbranch_vccz .LBB113_1860
; %bb.1859:
	global_load_ubyte v8, v[0:1], off
	s_mov_b32 s15, 0x7f800000
	s_waitcnt vmcnt(0)
	v_lshlrev_b32_e32 v8, 24, v8
	v_and_b32_e32 v10, 0x7f000000, v8
	v_ffbh_u32_e32 v12, v10
	v_min_u32_e32 v12, 32, v12
	v_sub_u32_e64 v12, v12, 4 clamp
	v_lshlrev_b32_e32 v14, v12, v10
	v_lshlrev_b32_e32 v12, 23, v12
	v_lshrrev_b32_e32 v14, 4, v14
	v_add_u32_e32 v13, 0x1000000, v10
	v_sub_u32_e32 v12, v14, v12
	v_ashrrev_i32_e32 v13, 8, v13
	v_add_u32_e32 v12, 0x3c000000, v12
	v_and_or_b32 v12, v13, s15, v12
	v_cmp_ne_u32_e32 vcc, 0, v10
	v_cndmask_b32_e32 v10, 0, v12, vcc
	s_brev_b32 s15, 1
	v_and_or_b32 v8, v8, s15, v10
.LBB113_1860:
	s_mov_b64 s[16:17], 0
.LBB113_1861:
	s_andn2_b64 vcc, exec, s[16:17]
	s_cbranch_vccnz .LBB113_1863
; %bb.1862:
	global_load_ubyte v8, v[0:1], off
	s_movk_i32 s15, 0x7f00
	s_brev_b32 s16, 16
	s_waitcnt vmcnt(0)
	v_lshlrev_b16_e32 v10, 8, v8
	v_lshlrev_b32_e32 v8, 25, v8
	v_lshrrev_b32_e32 v12, 4, v8
	v_and_or_b32 v13, v10, s15, 0.5
	v_or_b32_e32 v12, 0x70000000, v12
	v_add_f32_e32 v13, -0.5, v13
	v_mul_f32_e32 v12, 0x7800000, v12
	v_cmp_gt_u32_e32 vcc, s16, v8
	v_bfe_i32 v10, v10, 0, 16
	v_cndmask_b32_e32 v8, v12, v13, vcc
	s_brev_b32 s15, 1
	v_and_or_b32 v8, v10, s15, v8
.LBB113_1863:
	s_mov_b64 s[16:17], 0
	s_mov_b64 s[20:21], -1
.LBB113_1864:
	s_andn2_b64 vcc, exec, s[16:17]
	s_mov_b64 s[16:17], 0
	s_cbranch_vccnz .LBB113_1875
; %bb.1865:
	v_mov_b32_e32 v8, 14
	v_cmp_gt_i16_sdwa s[16:17], v7, v8 src0_sel:BYTE_0 src1_sel:DWORD
	s_and_b64 vcc, exec, s[16:17]
	s_cbranch_vccz .LBB113_1868
; %bb.1866:
	v_mov_b32_e32 v8, 15
	v_cmp_eq_u16_sdwa s[0:1], v7, v8 src0_sel:BYTE_0 src1_sel:DWORD
	s_and_b64 vcc, exec, s[0:1]
	s_cbranch_vccz .LBB113_1871
; %bb.1867:
	global_load_ushort v8, v[0:1], off
	s_mov_b64 s[0:1], 0
	s_mov_b64 s[20:21], -1
	s_waitcnt vmcnt(0)
	v_lshlrev_b32_e32 v8, 16, v8
	s_branch .LBB113_1872
.LBB113_1868:
	s_mov_b64 s[22:23], -1
                                        ; implicit-def: $vgpr8
	s_branch .LBB113_1873
.LBB113_1869:
	s_or_saveexec_b64 s[20:21], s[20:21]
	v_mov_b32_e32 v8, s15
	s_xor_b64 exec, exec, s[20:21]
	s_cbranch_execz .LBB113_1850
.LBB113_1870:
	v_cmp_ne_u16_e32 vcc, 0, v10
	s_andn2_b64 s[16:17], s[16:17], exec
	s_and_b64 s[22:23], vcc, exec
	v_mov_b32_e32 v8, 0
	s_or_b64 s[16:17], s[16:17], s[22:23]
	s_or_b64 exec, exec, s[20:21]
	s_and_saveexec_b64 s[20:21], s[16:17]
	s_cbranch_execnz .LBB113_1851
	s_branch .LBB113_1852
.LBB113_1871:
	s_mov_b64 s[0:1], -1
                                        ; implicit-def: $vgpr8
.LBB113_1872:
	s_mov_b64 s[22:23], 0
.LBB113_1873:
	s_mov_b64 s[16:17], 0
	s_and_b64 vcc, exec, s[22:23]
	s_cbranch_vccz .LBB113_1875
; %bb.1874:
	v_mov_b32_e32 v8, 11
	v_cmp_ne_u16_sdwa s[0:1], v7, v8 src0_sel:BYTE_0 src1_sel:DWORD
	s_mov_b64 s[16:17], -1
                                        ; implicit-def: $vgpr8
.LBB113_1875:
	s_and_b64 vcc, exec, s[0:1]
	s_cbranch_vccnz .LBB113_1938
; %bb.1876:
	s_andn2_b64 vcc, exec, s[16:17]
	s_cbranch_vccnz .LBB113_1878
.LBB113_1877:
	global_load_ubyte v8, v[0:1], off
	s_mov_b64 s[20:21], -1
	s_waitcnt vmcnt(0)
	v_cmp_ne_u16_e32 vcc, 0, v8
	v_cndmask_b32_e64 v8, 0, 1.0, vcc
.LBB113_1878:
	s_branch .LBB113_1806
.LBB113_1879:
	v_mov_b32_e32 v8, 5
	v_cmp_lt_i16_sdwa s[0:1], v7, v8 src0_sel:BYTE_0 src1_sel:DWORD
	s_and_b64 vcc, exec, s[0:1]
	s_cbranch_vccnz .LBB113_1884
; %bb.1880:
	v_mov_b32_e32 v8, 8
	v_cmp_lt_i16_sdwa s[0:1], v7, v8 src0_sel:BYTE_0 src1_sel:DWORD
	s_and_b64 vcc, exec, s[0:1]
	s_cbranch_vccnz .LBB113_1885
; %bb.1881:
	;; [unrolled: 5-line block ×3, first 2 shown]
	v_cmp_gt_i16_sdwa s[0:1], v7, v8 src0_sel:BYTE_0 src1_sel:DWORD
	s_and_b64 vcc, exec, s[0:1]
	s_cbranch_vccz .LBB113_1887
; %bb.1883:
	global_load_dwordx2 v[12:13], v[0:1], off
	s_mov_b64 s[0:1], 0
	s_waitcnt vmcnt(0)
	v_cvt_f32_f64_e32 v8, v[12:13]
	s_branch .LBB113_1888
.LBB113_1884:
	s_mov_b64 s[0:1], -1
                                        ; implicit-def: $vgpr8
	s_branch .LBB113_1906
.LBB113_1885:
	s_mov_b64 s[0:1], -1
                                        ; implicit-def: $vgpr8
	s_branch .LBB113_1894
.LBB113_1886:
	s_mov_b64 s[0:1], -1
                                        ; implicit-def: $vgpr8
	s_branch .LBB113_1891
.LBB113_1887:
	s_mov_b64 s[0:1], -1
                                        ; implicit-def: $vgpr8
.LBB113_1888:
	s_andn2_b64 vcc, exec, s[0:1]
	s_cbranch_vccnz .LBB113_1890
; %bb.1889:
	global_load_dword v8, v[0:1], off
.LBB113_1890:
	s_mov_b64 s[0:1], 0
.LBB113_1891:
	s_andn2_b64 vcc, exec, s[0:1]
	s_cbranch_vccnz .LBB113_1893
; %bb.1892:
	global_load_dword v8, v[0:1], off
	s_waitcnt vmcnt(0)
	v_cvt_f32_f16_e32 v8, v8
.LBB113_1893:
	s_mov_b64 s[0:1], 0
.LBB113_1894:
	s_andn2_b64 vcc, exec, s[0:1]
	s_cbranch_vccnz .LBB113_1905
; %bb.1895:
	s_waitcnt vmcnt(0)
	v_mov_b32_e32 v8, 6
	v_cmp_lt_i16_sdwa s[0:1], v7, v8 src0_sel:BYTE_0 src1_sel:DWORD
	s_and_b64 vcc, exec, s[0:1]
	s_cbranch_vccnz .LBB113_1898
; %bb.1896:
	v_cmp_gt_i16_sdwa s[0:1], v7, v8 src0_sel:BYTE_0 src1_sel:DWORD
	s_and_b64 vcc, exec, s[0:1]
	s_cbranch_vccz .LBB113_1899
; %bb.1897:
	global_load_dwordx2 v[12:13], v[0:1], off
	s_mov_b64 s[0:1], 0
	s_waitcnt vmcnt(0)
	v_cvt_f32_f64_e32 v8, v[12:13]
	s_branch .LBB113_1900
.LBB113_1898:
	s_mov_b64 s[0:1], -1
                                        ; implicit-def: $vgpr8
	s_branch .LBB113_1903
.LBB113_1899:
	s_mov_b64 s[0:1], -1
                                        ; implicit-def: $vgpr8
.LBB113_1900:
	s_andn2_b64 vcc, exec, s[0:1]
	s_cbranch_vccnz .LBB113_1902
; %bb.1901:
	global_load_dword v8, v[0:1], off
.LBB113_1902:
	s_mov_b64 s[0:1], 0
.LBB113_1903:
	s_andn2_b64 vcc, exec, s[0:1]
	s_cbranch_vccnz .LBB113_1905
; %bb.1904:
	global_load_ushort v8, v[0:1], off
	s_waitcnt vmcnt(0)
	v_cvt_f32_f16_e32 v8, v8
.LBB113_1905:
	s_mov_b64 s[0:1], 0
.LBB113_1906:
	s_andn2_b64 vcc, exec, s[0:1]
	s_cbranch_vccnz .LBB113_1926
; %bb.1907:
	s_waitcnt vmcnt(0)
	v_mov_b32_e32 v8, 2
	v_cmp_lt_i16_sdwa s[0:1], v7, v8 src0_sel:BYTE_0 src1_sel:DWORD
	s_and_b64 vcc, exec, s[0:1]
	s_cbranch_vccnz .LBB113_1911
; %bb.1908:
	v_mov_b32_e32 v8, 3
	v_cmp_lt_i16_sdwa s[0:1], v7, v8 src0_sel:BYTE_0 src1_sel:DWORD
	s_and_b64 vcc, exec, s[0:1]
	s_cbranch_vccnz .LBB113_1912
; %bb.1909:
	v_cmp_gt_i16_sdwa s[0:1], v7, v8 src0_sel:BYTE_0 src1_sel:DWORD
	s_and_b64 vcc, exec, s[0:1]
	s_cbranch_vccz .LBB113_1913
; %bb.1910:
	global_load_dwordx2 v[12:13], v[0:1], off
	s_mov_b64 s[0:1], 0
	s_waitcnt vmcnt(0)
	v_xor_b32_e32 v10, v12, v13
	v_ffbh_i32_e32 v8, v13
	v_ashrrev_i32_e32 v10, 31, v10
	v_add_u32_e32 v8, -1, v8
	v_add_u32_e32 v10, 32, v10
	v_min_u32_e32 v8, v8, v10
	v_lshlrev_b64 v[12:13], v8, v[12:13]
	v_min_u32_e32 v10, 1, v12
	v_or_b32_e32 v10, v13, v10
	v_cvt_f32_i32_e32 v10, v10
	v_sub_u32_e32 v8, 32, v8
	v_ldexp_f32 v8, v10, v8
	s_branch .LBB113_1914
.LBB113_1911:
	s_mov_b64 s[0:1], -1
                                        ; implicit-def: $vgpr8
	s_branch .LBB113_1920
.LBB113_1912:
	s_mov_b64 s[0:1], -1
                                        ; implicit-def: $vgpr8
	s_branch .LBB113_1917
.LBB113_1913:
	s_mov_b64 s[0:1], -1
                                        ; implicit-def: $vgpr8
.LBB113_1914:
	s_andn2_b64 vcc, exec, s[0:1]
	s_cbranch_vccnz .LBB113_1916
; %bb.1915:
	global_load_dword v8, v[0:1], off
	s_waitcnt vmcnt(0)
	v_cvt_f32_i32_e32 v8, v8
.LBB113_1916:
	s_mov_b64 s[0:1], 0
.LBB113_1917:
	s_andn2_b64 vcc, exec, s[0:1]
	s_cbranch_vccnz .LBB113_1919
; %bb.1918:
	global_load_sshort v8, v[0:1], off
	s_waitcnt vmcnt(0)
	v_cvt_f32_i32_e32 v8, v8
.LBB113_1919:
	s_mov_b64 s[0:1], 0
.LBB113_1920:
	s_andn2_b64 vcc, exec, s[0:1]
	s_cbranch_vccnz .LBB113_1926
; %bb.1921:
	v_mov_b32_e32 v8, 0
	v_cmp_gt_i16_sdwa s[0:1], v7, v8 src0_sel:BYTE_0 src1_sel:DWORD
	s_and_b64 vcc, exec, s[0:1]
	s_cbranch_vccz .LBB113_1923
; %bb.1922:
	global_load_sbyte v8, v[0:1], off
	s_mov_b64 s[0:1], 0
	s_waitcnt vmcnt(0)
	v_cvt_f32_i32_e32 v8, v8
	s_branch .LBB113_1924
.LBB113_1923:
	s_mov_b64 s[0:1], -1
                                        ; implicit-def: $vgpr8
.LBB113_1924:
	s_andn2_b64 vcc, exec, s[0:1]
	s_cbranch_vccnz .LBB113_1926
; %bb.1925:
	global_load_ubyte v0, v[0:1], off
	s_waitcnt vmcnt(0)
	v_cvt_f32_ubyte0_e32 v8, v0
.LBB113_1926:
.LBB113_1927:
	s_lshl_b32 s24, s14, 7
	v_add_u32_e32 v12, s24, v9
	v_ashrrev_i32_e32 v1, 31, v12
	v_mov_b32_e32 v9, s3
	v_add_co_u32_e32 v0, vcc, s2, v12
	v_addc_co_u32_e32 v1, vcc, v9, v1, vcc
	v_mov_b32_e32 v9, 11
	v_cmp_lt_i16_sdwa s[0:1], v6, v9 src0_sel:BYTE_0 src1_sel:DWORD
	s_and_b64 vcc, exec, s[0:1]
	s_cbranch_vccnz .LBB113_1934
; %bb.1928:
	v_mov_b32_e32 v9, 25
	v_cmp_gt_i16_sdwa s[0:1], v6, v9 src0_sel:BYTE_0 src1_sel:DWORD
	s_mov_b64 s[14:15], 0
	s_and_b64 vcc, exec, s[0:1]
	s_cbranch_vccz .LBB113_1935
; %bb.1929:
	v_mov_b32_e32 v9, 28
	v_cmp_gt_i16_sdwa s[0:1], v6, v9 src0_sel:BYTE_0 src1_sel:DWORD
	s_and_b64 vcc, exec, s[0:1]
	s_cbranch_vccz .LBB113_1936
; %bb.1930:
	v_mov_b32_e32 v9, 43
	v_cmp_gt_i16_sdwa s[0:1], v6, v9 src0_sel:BYTE_0 src1_sel:DWORD
	;; [unrolled: 5-line block ×3, first 2 shown]
	s_and_b64 vcc, exec, s[0:1]
	s_cbranch_vccz .LBB113_1939
; %bb.1932:
	v_mov_b32_e32 v9, 46
	v_cmp_eq_u16_sdwa s[0:1], v6, v9 src0_sel:BYTE_0 src1_sel:DWORD
	s_mov_b64 s[20:21], 0
	s_and_b64 vcc, exec, s[0:1]
	s_cbranch_vccz .LBB113_1940
; %bb.1933:
	global_load_dword v9, v[0:1], off
	s_mov_b64 s[0:1], 0
	s_mov_b64 s[16:17], -1
	s_waitcnt vmcnt(0)
	v_lshlrev_b32_e32 v10, 16, v9
	s_branch .LBB113_1941
.LBB113_1934:
	s_mov_b64 s[0:1], -1
	s_mov_b64 s[16:17], 0
                                        ; implicit-def: $vgpr10
	s_branch .LBB113_2007
.LBB113_1935:
	s_mov_b64 s[20:21], -1
	s_mov_b64 s[16:17], 0
	s_mov_b64 s[0:1], 0
                                        ; implicit-def: $vgpr10
	s_branch .LBB113_1970
.LBB113_1936:
	s_mov_b64 s[20:21], -1
	s_mov_b64 s[16:17], 0
	s_mov_b64 s[0:1], 0
                                        ; implicit-def: $vgpr10
	s_branch .LBB113_1951
.LBB113_1937:
	s_mov_b64 s[20:21], -1
	s_mov_b64 s[16:17], 0
	s_mov_b64 s[0:1], 0
                                        ; implicit-def: $vgpr10
	s_branch .LBB113_1946
.LBB113_1938:
	s_trap 2
	s_or_b64 s[18:19], s[18:19], exec
                                        ; implicit-def: $vgpr8
	s_cbranch_execz .LBB113_1877
	s_branch .LBB113_1878
.LBB113_1939:
	s_mov_b64 s[20:21], -1
	s_mov_b64 s[16:17], 0
	s_mov_b64 s[0:1], 0
                                        ; implicit-def: $vgpr10
	s_branch .LBB113_1941
.LBB113_1940:
	s_mov_b64 s[0:1], -1
                                        ; implicit-def: $vgpr10
	s_mov_b64 s[16:17], 0
.LBB113_1941:
	s_and_b64 vcc, exec, s[20:21]
	s_cbranch_vccz .LBB113_1945
; %bb.1942:
	v_mov_b32_e32 v9, 44
	v_cmp_eq_u16_sdwa s[0:1], v6, v9 src0_sel:BYTE_0 src1_sel:DWORD
	s_and_b64 vcc, exec, s[0:1]
	s_cbranch_vccz .LBB113_1944
; %bb.1943:
	global_load_ubyte v9, v[0:1], off
	s_movk_i32 s16, 0xff
	v_mov_b32_e32 v10, 0x7f800001
	v_mov_b32_e32 v13, 0x400000
	s_mov_b64 s[0:1], 0
	s_waitcnt vmcnt(0)
	v_lshlrev_b32_e32 v14, 23, v9
	v_cmp_ne_u32_e32 vcc, s16, v9
	v_cndmask_b32_e32 v10, v10, v14, vcc
	v_cmp_ne_u32_e32 vcc, 0, v9
	v_cndmask_b32_e32 v10, v13, v10, vcc
	s_mov_b64 s[16:17], -1
	s_branch .LBB113_1945
.LBB113_1944:
	s_mov_b64 s[0:1], -1
                                        ; implicit-def: $vgpr10
.LBB113_1945:
	s_mov_b64 s[20:21], 0
.LBB113_1946:
	s_and_b64 vcc, exec, s[20:21]
	s_cbranch_vccz .LBB113_1950
; %bb.1947:
	v_mov_b32_e32 v9, 29
	v_cmp_eq_u16_sdwa s[0:1], v6, v9 src0_sel:BYTE_0 src1_sel:DWORD
	s_and_b64 vcc, exec, s[0:1]
	s_cbranch_vccz .LBB113_1949
; %bb.1948:
	global_load_dwordx2 v[14:15], v[0:1], off
	s_mov_b64 s[0:1], 0
	s_mov_b64 s[16:17], -1
	s_mov_b64 s[20:21], 0
	s_waitcnt vmcnt(0)
	v_ffbh_u32_e32 v9, v15
	v_min_u32_e32 v9, 32, v9
	v_lshlrev_b64 v[14:15], v9, v[14:15]
	v_min_u32_e32 v10, 1, v14
	v_or_b32_e32 v10, v15, v10
	v_cvt_f32_u32_e32 v10, v10
	v_sub_u32_e32 v9, 32, v9
	v_ldexp_f32 v10, v10, v9
	s_branch .LBB113_1951
.LBB113_1949:
	s_mov_b64 s[0:1], -1
                                        ; implicit-def: $vgpr10
.LBB113_1950:
	s_mov_b64 s[20:21], 0
.LBB113_1951:
	s_and_b64 vcc, exec, s[20:21]
	s_cbranch_vccz .LBB113_1969
; %bb.1952:
	v_mov_b32_e32 v9, 27
	v_cmp_lt_i16_sdwa s[16:17], v6, v9 src0_sel:BYTE_0 src1_sel:DWORD
	s_and_b64 vcc, exec, s[16:17]
	s_cbranch_vccnz .LBB113_1955
; %bb.1953:
	v_cmp_gt_i16_sdwa s[16:17], v6, v9 src0_sel:BYTE_0 src1_sel:DWORD
	s_and_b64 vcc, exec, s[16:17]
	s_cbranch_vccz .LBB113_1956
; %bb.1954:
	global_load_dword v9, v[0:1], off
	s_mov_b64 s[16:17], 0
	s_waitcnt vmcnt(0)
	v_cvt_f32_u32_e32 v10, v9
	s_branch .LBB113_1957
.LBB113_1955:
	s_mov_b64 s[16:17], -1
                                        ; implicit-def: $vgpr10
	s_branch .LBB113_1960
.LBB113_1956:
	s_mov_b64 s[16:17], -1
                                        ; implicit-def: $vgpr10
.LBB113_1957:
	s_andn2_b64 vcc, exec, s[16:17]
	s_cbranch_vccnz .LBB113_1959
; %bb.1958:
	global_load_ushort v9, v[0:1], off
	s_waitcnt vmcnt(0)
	v_cvt_f32_u32_e32 v10, v9
.LBB113_1959:
	s_mov_b64 s[16:17], 0
.LBB113_1960:
	s_andn2_b64 vcc, exec, s[16:17]
	s_cbranch_vccnz .LBB113_1968
; %bb.1961:
	global_load_ubyte v9, v[0:1], off
	s_movk_i32 s16, 0x7f
                                        ; implicit-def: $sgpr25
	s_waitcnt vmcnt(0)
	v_cmp_lt_i16_e32 vcc, s16, v9
	s_mov_b64 s[16:17], 0
	s_and_saveexec_b64 s[20:21], vcc
	s_xor_b64 s[20:21], exec, s[20:21]
	s_cbranch_execz .LBB113_1982
; %bb.1962:
	s_movk_i32 s16, 0x80
	v_cmp_eq_u16_e32 vcc, s16, v9
	s_mov_b64 s[16:17], -1
                                        ; implicit-def: $sgpr25
	s_and_saveexec_b64 s[22:23], vcc
; %bb.1963:
	s_mov_b32 s25, 0x7f800001
	s_xor_b64 s[16:17], exec, -1
; %bb.1964:
	s_or_b64 exec, exec, s[22:23]
	s_and_b64 s[16:17], s[16:17], exec
	s_or_saveexec_b64 s[20:21], s[20:21]
	v_mov_b32_e32 v10, s25
	s_xor_b64 exec, exec, s[20:21]
	s_cbranch_execnz .LBB113_1983
.LBB113_1965:
	s_or_b64 exec, exec, s[20:21]
	s_and_saveexec_b64 s[20:21], s[16:17]
	s_cbranch_execz .LBB113_1967
.LBB113_1966:
	v_lshlrev_b32_e32 v10, 24, v9
	v_and_b32_e32 v9, 0xffff, v9
	v_and_b32_e32 v13, 7, v9
	v_ffbh_u32_e32 v15, v13
	v_min_u32_e32 v15, 32, v15
	v_subrev_u32_e32 v16, 28, v15
	v_bfe_u32 v14, v9, 3, 4
	v_lshlrev_b32_e32 v9, v16, v9
	v_sub_u32_e32 v15, 29, v15
	v_and_b32_e32 v9, 7, v9
	v_cmp_eq_u32_e32 vcc, 0, v14
	v_cndmask_b32_e32 v14, v14, v15, vcc
	v_cndmask_b32_e32 v9, v13, v9, vcc
	v_mov_b32_e32 v13, 0x3b800000
	v_lshlrev_b32_e32 v9, 20, v9
	v_and_b32_e32 v10, 0x80000000, v10
	v_lshl_add_u32 v13, v14, 23, v13
	v_or3_b32 v10, v10, v13, v9
.LBB113_1967:
	s_or_b64 exec, exec, s[20:21]
.LBB113_1968:
	s_mov_b64 s[16:17], -1
.LBB113_1969:
	s_mov_b64 s[20:21], 0
.LBB113_1970:
	s_and_b64 vcc, exec, s[20:21]
	s_cbranch_vccz .LBB113_2003
; %bb.1971:
	v_mov_b32_e32 v9, 22
	v_cmp_gt_i16_sdwa s[14:15], v6, v9 src0_sel:BYTE_0 src1_sel:DWORD
	s_and_b64 vcc, exec, s[14:15]
	s_cbranch_vccz .LBB113_1981
; %bb.1972:
	v_mov_b32_e32 v9, 24
	v_cmp_lt_i16_sdwa s[14:15], v6, v9 src0_sel:BYTE_0 src1_sel:DWORD
	s_and_b64 vcc, exec, s[14:15]
	s_cbranch_vccnz .LBB113_1984
; %bb.1973:
	v_cmp_gt_i16_sdwa s[14:15], v6, v9 src0_sel:BYTE_0 src1_sel:DWORD
	s_and_b64 vcc, exec, s[14:15]
	s_cbranch_vccz .LBB113_1985
; %bb.1974:
	global_load_ubyte v9, v[0:1], off
	s_movk_i32 s14, 0x7f
                                        ; implicit-def: $sgpr22
	s_waitcnt vmcnt(0)
	v_cmp_lt_i16_e32 vcc, s14, v9
	s_mov_b64 s[14:15], 0
	s_and_saveexec_b64 s[16:17], vcc
	s_xor_b64 s[16:17], exec, s[16:17]
	s_cbranch_execz .LBB113_1997
; %bb.1975:
	s_movk_i32 s14, 0x80
	v_cmp_eq_u16_e32 vcc, s14, v9
	s_mov_b64 s[14:15], -1
                                        ; implicit-def: $sgpr22
	s_and_saveexec_b64 s[20:21], vcc
; %bb.1976:
	s_mov_b32 s22, 0x7f800001
	s_xor_b64 s[14:15], exec, -1
; %bb.1977:
	s_or_b64 exec, exec, s[20:21]
	s_and_b64 s[14:15], s[14:15], exec
	s_or_saveexec_b64 s[16:17], s[16:17]
	v_mov_b32_e32 v10, s22
	s_xor_b64 exec, exec, s[16:17]
	s_cbranch_execnz .LBB113_1998
.LBB113_1978:
	s_or_b64 exec, exec, s[16:17]
	s_and_saveexec_b64 s[16:17], s[14:15]
	s_cbranch_execz .LBB113_1980
.LBB113_1979:
	v_lshlrev_b32_e32 v10, 24, v9
	v_and_b32_e32 v9, 0xffff, v9
	v_and_b32_e32 v13, 3, v9
	v_ffbh_u32_e32 v15, v13
	v_min_u32_e32 v15, 32, v15
	v_subrev_u32_e32 v16, 29, v15
	v_bfe_u32 v14, v9, 2, 5
	v_lshlrev_b32_e32 v9, v16, v9
	v_sub_u32_e32 v15, 30, v15
	v_and_b32_e32 v9, 3, v9
	v_cmp_eq_u32_e32 vcc, 0, v14
	v_cndmask_b32_e32 v14, v14, v15, vcc
	v_cndmask_b32_e32 v9, v13, v9, vcc
	v_mov_b32_e32 v13, 0x37800000
	v_lshlrev_b32_e32 v9, 21, v9
	v_and_b32_e32 v10, 0x80000000, v10
	v_lshl_add_u32 v13, v14, 23, v13
	v_or3_b32 v10, v10, v13, v9
.LBB113_1980:
	s_or_b64 exec, exec, s[16:17]
	s_mov_b64 s[14:15], 0
	s_branch .LBB113_1986
.LBB113_1981:
	s_mov_b64 s[14:15], -1
                                        ; implicit-def: $vgpr10
	s_branch .LBB113_1992
.LBB113_1982:
	s_or_saveexec_b64 s[20:21], s[20:21]
	v_mov_b32_e32 v10, s25
	s_xor_b64 exec, exec, s[20:21]
	s_cbranch_execz .LBB113_1965
.LBB113_1983:
	v_cmp_ne_u16_e32 vcc, 0, v9
	s_andn2_b64 s[16:17], s[16:17], exec
	s_and_b64 s[22:23], vcc, exec
	v_mov_b32_e32 v10, 0
	s_or_b64 s[16:17], s[16:17], s[22:23]
	s_or_b64 exec, exec, s[20:21]
	s_and_saveexec_b64 s[20:21], s[16:17]
	s_cbranch_execnz .LBB113_1966
	s_branch .LBB113_1967
.LBB113_1984:
	s_mov_b64 s[14:15], -1
                                        ; implicit-def: $vgpr10
	s_branch .LBB113_1989
.LBB113_1985:
	s_mov_b64 s[14:15], -1
                                        ; implicit-def: $vgpr10
.LBB113_1986:
	s_and_b64 vcc, exec, s[14:15]
	s_cbranch_vccz .LBB113_1988
; %bb.1987:
	global_load_ubyte v9, v[0:1], off
	s_mov_b32 s14, 0x7f800000
	s_waitcnt vmcnt(0)
	v_lshlrev_b32_e32 v9, 24, v9
	v_and_b32_e32 v10, 0x7f000000, v9
	v_ffbh_u32_e32 v13, v10
	v_min_u32_e32 v13, 32, v13
	v_sub_u32_e64 v13, v13, 4 clamp
	v_lshlrev_b32_e32 v15, v13, v10
	v_lshlrev_b32_e32 v13, 23, v13
	v_lshrrev_b32_e32 v15, 4, v15
	v_add_u32_e32 v14, 0x1000000, v10
	v_sub_u32_e32 v13, v15, v13
	v_ashrrev_i32_e32 v14, 8, v14
	v_add_u32_e32 v13, 0x3c000000, v13
	v_and_or_b32 v13, v14, s14, v13
	v_cmp_ne_u32_e32 vcc, 0, v10
	v_cndmask_b32_e32 v10, 0, v13, vcc
	s_brev_b32 s14, 1
	v_and_or_b32 v10, v9, s14, v10
.LBB113_1988:
	s_mov_b64 s[14:15], 0
.LBB113_1989:
	s_andn2_b64 vcc, exec, s[14:15]
	s_cbranch_vccnz .LBB113_1991
; %bb.1990:
	global_load_ubyte v9, v[0:1], off
	s_movk_i32 s14, 0x7f00
	s_brev_b32 s15, 16
	s_waitcnt vmcnt(0)
	v_lshlrev_b16_e32 v10, 8, v9
	v_lshlrev_b32_e32 v9, 25, v9
	v_lshrrev_b32_e32 v13, 4, v9
	v_and_or_b32 v14, v10, s14, 0.5
	v_or_b32_e32 v13, 0x70000000, v13
	v_add_f32_e32 v14, -0.5, v14
	v_mul_f32_e32 v13, 0x7800000, v13
	v_cmp_gt_u32_e32 vcc, s15, v9
	v_bfe_i32 v10, v10, 0, 16
	v_cndmask_b32_e32 v9, v13, v14, vcc
	s_brev_b32 s14, 1
	v_and_or_b32 v10, v10, s14, v9
.LBB113_1991:
	s_mov_b64 s[14:15], 0
	s_mov_b64 s[16:17], -1
.LBB113_1992:
	s_andn2_b64 vcc, exec, s[14:15]
	s_mov_b64 s[14:15], 0
	s_cbranch_vccnz .LBB113_2003
; %bb.1993:
	v_mov_b32_e32 v9, 14
	v_cmp_gt_i16_sdwa s[14:15], v6, v9 src0_sel:BYTE_0 src1_sel:DWORD
	s_and_b64 vcc, exec, s[14:15]
	s_cbranch_vccz .LBB113_1996
; %bb.1994:
	v_mov_b32_e32 v9, 15
	v_cmp_eq_u16_sdwa s[0:1], v6, v9 src0_sel:BYTE_0 src1_sel:DWORD
	s_and_b64 vcc, exec, s[0:1]
	s_cbranch_vccz .LBB113_1999
; %bb.1995:
	global_load_ushort v9, v[0:1], off
	s_mov_b64 s[0:1], 0
	s_mov_b64 s[16:17], -1
	s_waitcnt vmcnt(0)
	v_lshlrev_b32_e32 v10, 16, v9
	s_branch .LBB113_2000
.LBB113_1996:
	s_mov_b64 s[20:21], -1
                                        ; implicit-def: $vgpr10
	s_branch .LBB113_2001
.LBB113_1997:
	s_or_saveexec_b64 s[16:17], s[16:17]
	v_mov_b32_e32 v10, s22
	s_xor_b64 exec, exec, s[16:17]
	s_cbranch_execz .LBB113_1978
.LBB113_1998:
	v_cmp_ne_u16_e32 vcc, 0, v9
	s_andn2_b64 s[14:15], s[14:15], exec
	s_and_b64 s[20:21], vcc, exec
	v_mov_b32_e32 v10, 0
	s_or_b64 s[14:15], s[14:15], s[20:21]
	s_or_b64 exec, exec, s[16:17]
	s_and_saveexec_b64 s[16:17], s[14:15]
	s_cbranch_execnz .LBB113_1979
	s_branch .LBB113_1980
.LBB113_1999:
	s_mov_b64 s[0:1], -1
                                        ; implicit-def: $vgpr10
.LBB113_2000:
	s_mov_b64 s[20:21], 0
.LBB113_2001:
	s_mov_b64 s[14:15], 0
	s_and_b64 vcc, exec, s[20:21]
	s_cbranch_vccz .LBB113_2003
; %bb.2002:
	v_mov_b32_e32 v9, 11
	v_cmp_ne_u16_sdwa s[0:1], v6, v9 src0_sel:BYTE_0 src1_sel:DWORD
	s_mov_b64 s[14:15], -1
                                        ; implicit-def: $vgpr10
.LBB113_2003:
	s_and_b64 vcc, exec, s[0:1]
	s_cbranch_vccnz .LBB113_2068
; %bb.2004:
	s_andn2_b64 vcc, exec, s[14:15]
	s_cbranch_vccnz .LBB113_2006
.LBB113_2005:
	global_load_ubyte v9, v[0:1], off
	s_mov_b64 s[16:17], -1
	s_waitcnt vmcnt(0)
	v_cmp_ne_u16_e32 vcc, 0, v9
	v_cndmask_b32_e64 v10, 0, 1.0, vcc
.LBB113_2006:
	s_mov_b64 s[0:1], 0
.LBB113_2007:
	s_and_b64 vcc, exec, s[0:1]
	s_cbranch_vccz .LBB113_2056
; %bb.2008:
	v_mov_b32_e32 v9, 5
	v_cmp_lt_i16_sdwa s[0:1], v6, v9 src0_sel:BYTE_0 src1_sel:DWORD
	s_and_b64 vcc, exec, s[0:1]
	s_cbranch_vccnz .LBB113_2013
; %bb.2009:
	v_mov_b32_e32 v9, 8
	v_cmp_lt_i16_sdwa s[0:1], v6, v9 src0_sel:BYTE_0 src1_sel:DWORD
	s_and_b64 vcc, exec, s[0:1]
	s_cbranch_vccnz .LBB113_2014
	;; [unrolled: 5-line block ×3, first 2 shown]
; %bb.2011:
	v_cmp_gt_i16_sdwa s[0:1], v6, v9 src0_sel:BYTE_0 src1_sel:DWORD
	s_and_b64 vcc, exec, s[0:1]
	s_cbranch_vccz .LBB113_2016
; %bb.2012:
	global_load_dwordx2 v[14:15], v[0:1], off
	s_mov_b64 s[0:1], 0
	s_waitcnt vmcnt(0)
	v_cvt_f32_f64_e32 v10, v[14:15]
	s_branch .LBB113_2017
.LBB113_2013:
	s_mov_b64 s[0:1], -1
                                        ; implicit-def: $vgpr10
	s_branch .LBB113_2035
.LBB113_2014:
	s_mov_b64 s[0:1], -1
                                        ; implicit-def: $vgpr10
	s_branch .LBB113_2023
.LBB113_2015:
	s_mov_b64 s[0:1], -1
                                        ; implicit-def: $vgpr10
	s_branch .LBB113_2020
.LBB113_2016:
	s_mov_b64 s[0:1], -1
                                        ; implicit-def: $vgpr10
.LBB113_2017:
	s_andn2_b64 vcc, exec, s[0:1]
	s_cbranch_vccnz .LBB113_2019
; %bb.2018:
	global_load_dword v10, v[0:1], off
.LBB113_2019:
	s_mov_b64 s[0:1], 0
.LBB113_2020:
	s_andn2_b64 vcc, exec, s[0:1]
	s_cbranch_vccnz .LBB113_2022
; %bb.2021:
	global_load_dword v9, v[0:1], off
	s_waitcnt vmcnt(0)
	v_cvt_f32_f16_e32 v10, v9
.LBB113_2022:
	s_mov_b64 s[0:1], 0
.LBB113_2023:
	s_andn2_b64 vcc, exec, s[0:1]
	s_cbranch_vccnz .LBB113_2034
; %bb.2024:
	v_mov_b32_e32 v9, 6
	v_cmp_lt_i16_sdwa s[0:1], v6, v9 src0_sel:BYTE_0 src1_sel:DWORD
	s_and_b64 vcc, exec, s[0:1]
	s_cbranch_vccnz .LBB113_2027
; %bb.2025:
	v_cmp_gt_i16_sdwa s[0:1], v6, v9 src0_sel:BYTE_0 src1_sel:DWORD
	s_and_b64 vcc, exec, s[0:1]
	s_cbranch_vccz .LBB113_2028
; %bb.2026:
	global_load_dwordx2 v[14:15], v[0:1], off
	s_mov_b64 s[0:1], 0
	s_waitcnt vmcnt(0)
	v_cvt_f32_f64_e32 v10, v[14:15]
	s_branch .LBB113_2029
.LBB113_2027:
	s_mov_b64 s[0:1], -1
                                        ; implicit-def: $vgpr10
	s_branch .LBB113_2032
.LBB113_2028:
	s_mov_b64 s[0:1], -1
                                        ; implicit-def: $vgpr10
.LBB113_2029:
	s_andn2_b64 vcc, exec, s[0:1]
	s_cbranch_vccnz .LBB113_2031
; %bb.2030:
	global_load_dword v10, v[0:1], off
.LBB113_2031:
	s_mov_b64 s[0:1], 0
.LBB113_2032:
	s_andn2_b64 vcc, exec, s[0:1]
	s_cbranch_vccnz .LBB113_2034
; %bb.2033:
	global_load_ushort v9, v[0:1], off
	s_waitcnt vmcnt(0)
	v_cvt_f32_f16_e32 v10, v9
.LBB113_2034:
	s_mov_b64 s[0:1], 0
.LBB113_2035:
	s_andn2_b64 vcc, exec, s[0:1]
	s_cbranch_vccnz .LBB113_2055
; %bb.2036:
	v_mov_b32_e32 v9, 2
	v_cmp_lt_i16_sdwa s[0:1], v6, v9 src0_sel:BYTE_0 src1_sel:DWORD
	s_and_b64 vcc, exec, s[0:1]
	s_cbranch_vccnz .LBB113_2040
; %bb.2037:
	v_mov_b32_e32 v9, 3
	v_cmp_lt_i16_sdwa s[0:1], v6, v9 src0_sel:BYTE_0 src1_sel:DWORD
	s_and_b64 vcc, exec, s[0:1]
	s_cbranch_vccnz .LBB113_2041
; %bb.2038:
	v_cmp_gt_i16_sdwa s[0:1], v6, v9 src0_sel:BYTE_0 src1_sel:DWORD
	s_and_b64 vcc, exec, s[0:1]
	s_cbranch_vccz .LBB113_2042
; %bb.2039:
	global_load_dwordx2 v[14:15], v[0:1], off
	s_mov_b64 s[0:1], 0
	s_waitcnt vmcnt(0)
	v_xor_b32_e32 v10, v14, v15
	v_ffbh_i32_e32 v9, v15
	v_ashrrev_i32_e32 v10, 31, v10
	v_add_u32_e32 v9, -1, v9
	v_add_u32_e32 v10, 32, v10
	v_min_u32_e32 v9, v9, v10
	v_lshlrev_b64 v[14:15], v9, v[14:15]
	v_min_u32_e32 v10, 1, v14
	v_or_b32_e32 v10, v15, v10
	v_cvt_f32_i32_e32 v10, v10
	v_sub_u32_e32 v9, 32, v9
	v_ldexp_f32 v10, v10, v9
	s_branch .LBB113_2043
.LBB113_2040:
	s_mov_b64 s[0:1], -1
                                        ; implicit-def: $vgpr10
	s_branch .LBB113_2049
.LBB113_2041:
	s_mov_b64 s[0:1], -1
                                        ; implicit-def: $vgpr10
	s_branch .LBB113_2046
.LBB113_2042:
	s_mov_b64 s[0:1], -1
                                        ; implicit-def: $vgpr10
.LBB113_2043:
	s_andn2_b64 vcc, exec, s[0:1]
	s_cbranch_vccnz .LBB113_2045
; %bb.2044:
	global_load_dword v9, v[0:1], off
	s_waitcnt vmcnt(0)
	v_cvt_f32_i32_e32 v10, v9
.LBB113_2045:
	s_mov_b64 s[0:1], 0
.LBB113_2046:
	s_andn2_b64 vcc, exec, s[0:1]
	s_cbranch_vccnz .LBB113_2048
; %bb.2047:
	global_load_sshort v9, v[0:1], off
	s_waitcnt vmcnt(0)
	v_cvt_f32_i32_e32 v10, v9
.LBB113_2048:
	s_mov_b64 s[0:1], 0
.LBB113_2049:
	s_andn2_b64 vcc, exec, s[0:1]
	s_cbranch_vccnz .LBB113_2055
; %bb.2050:
	v_mov_b32_e32 v9, 0
	v_cmp_gt_i16_sdwa s[0:1], v6, v9 src0_sel:BYTE_0 src1_sel:DWORD
	s_and_b64 vcc, exec, s[0:1]
	s_cbranch_vccz .LBB113_2052
; %bb.2051:
	global_load_sbyte v9, v[0:1], off
	s_mov_b64 s[0:1], 0
	s_waitcnt vmcnt(0)
	v_cvt_f32_i32_e32 v10, v9
	s_branch .LBB113_2053
.LBB113_2052:
	s_mov_b64 s[0:1], -1
                                        ; implicit-def: $vgpr10
.LBB113_2053:
	s_andn2_b64 vcc, exec, s[0:1]
	s_cbranch_vccnz .LBB113_2055
; %bb.2054:
	global_load_ubyte v0, v[0:1], off
	s_waitcnt vmcnt(0)
	v_cvt_f32_ubyte0_e32 v10, v0
.LBB113_2055:
	s_mov_b64 s[16:17], -1
.LBB113_2056:
	s_andn2_b64 vcc, exec, s[16:17]
	s_cbranch_vccnz .LBB113_3032
; %bb.2057:
	v_add_u32_e32 v11, s13, v11
	v_ashrrev_i32_e32 v1, 31, v11
	v_mov_b32_e32 v9, s11
	v_add_co_u32_e32 v0, vcc, s10, v11
	v_addc_co_u32_e32 v1, vcc, v9, v1, vcc
	v_mov_b32_e32 v9, 11
	v_cmp_lt_i16_sdwa s[0:1], v7, v9 src0_sel:BYTE_0 src1_sel:DWORD
	s_and_b64 vcc, exec, s[0:1]
	s_cbranch_vccnz .LBB113_2064
; %bb.2058:
	v_mov_b32_e32 v9, 25
	v_cmp_gt_i16_sdwa s[0:1], v7, v9 src0_sel:BYTE_0 src1_sel:DWORD
	s_mov_b64 s[14:15], 0
	s_and_b64 vcc, exec, s[0:1]
	s_cbranch_vccz .LBB113_2065
; %bb.2059:
	v_mov_b32_e32 v9, 28
	v_cmp_gt_i16_sdwa s[0:1], v7, v9 src0_sel:BYTE_0 src1_sel:DWORD
	s_and_b64 vcc, exec, s[0:1]
	s_cbranch_vccz .LBB113_2066
; %bb.2060:
	v_mov_b32_e32 v9, 43
	v_cmp_gt_i16_sdwa s[0:1], v7, v9 src0_sel:BYTE_0 src1_sel:DWORD
	;; [unrolled: 5-line block ×3, first 2 shown]
	s_and_b64 vcc, exec, s[0:1]
	s_cbranch_vccz .LBB113_2069
; %bb.2062:
	v_mov_b32_e32 v9, 46
	v_cmp_eq_u16_sdwa s[0:1], v7, v9 src0_sel:BYTE_0 src1_sel:DWORD
	s_mov_b64 s[20:21], 0
	s_and_b64 vcc, exec, s[0:1]
	s_cbranch_vccz .LBB113_2070
; %bb.2063:
	global_load_dword v9, v[0:1], off
	s_mov_b64 s[0:1], 0
	s_mov_b64 s[16:17], -1
	s_waitcnt vmcnt(0)
	v_lshlrev_b32_e32 v9, 16, v9
	s_branch .LBB113_2071
.LBB113_2064:
	s_mov_b64 s[0:1], -1
	s_mov_b64 s[16:17], 0
                                        ; implicit-def: $vgpr9
	s_branch .LBB113_2137
.LBB113_2065:
	s_mov_b64 s[20:21], -1
	s_mov_b64 s[16:17], 0
	s_mov_b64 s[0:1], 0
                                        ; implicit-def: $vgpr9
	s_branch .LBB113_2100
.LBB113_2066:
	s_mov_b64 s[20:21], -1
	s_mov_b64 s[16:17], 0
	s_mov_b64 s[0:1], 0
                                        ; implicit-def: $vgpr9
	s_branch .LBB113_2081
.LBB113_2067:
	s_mov_b64 s[20:21], -1
	s_mov_b64 s[16:17], 0
	s_mov_b64 s[0:1], 0
                                        ; implicit-def: $vgpr9
	s_branch .LBB113_2076
.LBB113_2068:
	s_trap 2
	s_or_b64 s[18:19], s[18:19], exec
                                        ; implicit-def: $vgpr10
	s_cbranch_execz .LBB113_2005
	s_branch .LBB113_2006
.LBB113_2069:
	s_mov_b64 s[20:21], -1
	s_mov_b64 s[16:17], 0
	s_mov_b64 s[0:1], 0
                                        ; implicit-def: $vgpr9
	s_branch .LBB113_2071
.LBB113_2070:
	s_mov_b64 s[0:1], -1
                                        ; implicit-def: $vgpr9
	s_mov_b64 s[16:17], 0
.LBB113_2071:
	s_and_b64 vcc, exec, s[20:21]
	s_cbranch_vccz .LBB113_2075
; %bb.2072:
	v_mov_b32_e32 v9, 44
	v_cmp_eq_u16_sdwa s[0:1], v7, v9 src0_sel:BYTE_0 src1_sel:DWORD
	s_and_b64 vcc, exec, s[0:1]
	s_cbranch_vccz .LBB113_2074
; %bb.2073:
	global_load_ubyte v9, v[0:1], off
	s_movk_i32 s16, 0xff
	v_mov_b32_e32 v13, 0x7f800001
	v_mov_b32_e32 v14, 0x400000
	s_mov_b64 s[0:1], 0
	s_waitcnt vmcnt(0)
	v_lshlrev_b32_e32 v15, 23, v9
	v_cmp_ne_u32_e32 vcc, s16, v9
	v_cndmask_b32_e32 v13, v13, v15, vcc
	v_cmp_ne_u32_e32 vcc, 0, v9
	v_cndmask_b32_e32 v9, v14, v13, vcc
	s_mov_b64 s[16:17], -1
	s_branch .LBB113_2075
.LBB113_2074:
	s_mov_b64 s[0:1], -1
                                        ; implicit-def: $vgpr9
.LBB113_2075:
	s_mov_b64 s[20:21], 0
.LBB113_2076:
	s_and_b64 vcc, exec, s[20:21]
	s_cbranch_vccz .LBB113_2080
; %bb.2077:
	v_mov_b32_e32 v9, 29
	v_cmp_eq_u16_sdwa s[0:1], v7, v9 src0_sel:BYTE_0 src1_sel:DWORD
	s_and_b64 vcc, exec, s[0:1]
	s_cbranch_vccz .LBB113_2079
; %bb.2078:
	global_load_dwordx2 v[14:15], v[0:1], off
	s_mov_b64 s[0:1], 0
	s_mov_b64 s[16:17], -1
	s_mov_b64 s[20:21], 0
	s_waitcnt vmcnt(0)
	v_ffbh_u32_e32 v9, v15
	v_min_u32_e32 v9, 32, v9
	v_lshlrev_b64 v[14:15], v9, v[14:15]
	v_min_u32_e32 v13, 1, v14
	v_or_b32_e32 v13, v15, v13
	v_cvt_f32_u32_e32 v13, v13
	v_sub_u32_e32 v9, 32, v9
	v_ldexp_f32 v9, v13, v9
	s_branch .LBB113_2081
.LBB113_2079:
	s_mov_b64 s[0:1], -1
                                        ; implicit-def: $vgpr9
.LBB113_2080:
	s_mov_b64 s[20:21], 0
.LBB113_2081:
	s_and_b64 vcc, exec, s[20:21]
	s_cbranch_vccz .LBB113_2099
; %bb.2082:
	v_mov_b32_e32 v9, 27
	v_cmp_lt_i16_sdwa s[16:17], v7, v9 src0_sel:BYTE_0 src1_sel:DWORD
	s_and_b64 vcc, exec, s[16:17]
	s_cbranch_vccnz .LBB113_2085
; %bb.2083:
	v_cmp_gt_i16_sdwa s[16:17], v7, v9 src0_sel:BYTE_0 src1_sel:DWORD
	s_and_b64 vcc, exec, s[16:17]
	s_cbranch_vccz .LBB113_2086
; %bb.2084:
	global_load_dword v9, v[0:1], off
	s_mov_b64 s[16:17], 0
	s_waitcnt vmcnt(0)
	v_cvt_f32_u32_e32 v9, v9
	s_branch .LBB113_2087
.LBB113_2085:
	s_mov_b64 s[16:17], -1
                                        ; implicit-def: $vgpr9
	s_branch .LBB113_2090
.LBB113_2086:
	s_mov_b64 s[16:17], -1
                                        ; implicit-def: $vgpr9
.LBB113_2087:
	s_andn2_b64 vcc, exec, s[16:17]
	s_cbranch_vccnz .LBB113_2089
; %bb.2088:
	global_load_ushort v9, v[0:1], off
	s_waitcnt vmcnt(0)
	v_cvt_f32_u32_e32 v9, v9
.LBB113_2089:
	s_mov_b64 s[16:17], 0
.LBB113_2090:
	s_andn2_b64 vcc, exec, s[16:17]
	s_cbranch_vccnz .LBB113_2098
; %bb.2091:
	global_load_ubyte v13, v[0:1], off
	s_movk_i32 s16, 0x7f
                                        ; implicit-def: $sgpr25
	s_waitcnt vmcnt(0)
	v_cmp_lt_i16_e32 vcc, s16, v13
	s_mov_b64 s[16:17], 0
	s_and_saveexec_b64 s[20:21], vcc
	s_xor_b64 s[20:21], exec, s[20:21]
	s_cbranch_execz .LBB113_2112
; %bb.2092:
	s_movk_i32 s16, 0x80
	v_cmp_eq_u16_e32 vcc, s16, v13
	s_mov_b64 s[16:17], -1
                                        ; implicit-def: $sgpr25
	s_and_saveexec_b64 s[22:23], vcc
; %bb.2093:
	s_mov_b32 s25, 0x7f800001
	s_xor_b64 s[16:17], exec, -1
; %bb.2094:
	s_or_b64 exec, exec, s[22:23]
	s_and_b64 s[16:17], s[16:17], exec
	s_or_saveexec_b64 s[20:21], s[20:21]
	v_mov_b32_e32 v9, s25
	s_xor_b64 exec, exec, s[20:21]
	s_cbranch_execnz .LBB113_2113
.LBB113_2095:
	s_or_b64 exec, exec, s[20:21]
	s_and_saveexec_b64 s[20:21], s[16:17]
	s_cbranch_execz .LBB113_2097
.LBB113_2096:
	v_lshlrev_b32_e32 v9, 24, v13
	v_and_b32_e32 v13, 0xffff, v13
	v_and_b32_e32 v14, 7, v13
	v_ffbh_u32_e32 v16, v14
	v_min_u32_e32 v16, 32, v16
	v_subrev_u32_e32 v17, 28, v16
	v_bfe_u32 v15, v13, 3, 4
	v_lshlrev_b32_e32 v13, v17, v13
	v_sub_u32_e32 v16, 29, v16
	v_and_b32_e32 v13, 7, v13
	v_cmp_eq_u32_e32 vcc, 0, v15
	v_cndmask_b32_e32 v15, v15, v16, vcc
	v_cndmask_b32_e32 v13, v14, v13, vcc
	v_mov_b32_e32 v14, 0x3b800000
	v_lshlrev_b32_e32 v13, 20, v13
	v_and_b32_e32 v9, 0x80000000, v9
	v_lshl_add_u32 v14, v15, 23, v14
	v_or3_b32 v9, v9, v14, v13
.LBB113_2097:
	s_or_b64 exec, exec, s[20:21]
.LBB113_2098:
	s_mov_b64 s[16:17], -1
.LBB113_2099:
	s_mov_b64 s[20:21], 0
.LBB113_2100:
	s_and_b64 vcc, exec, s[20:21]
	s_cbranch_vccz .LBB113_2133
; %bb.2101:
	v_mov_b32_e32 v9, 22
	v_cmp_gt_i16_sdwa s[14:15], v7, v9 src0_sel:BYTE_0 src1_sel:DWORD
	s_and_b64 vcc, exec, s[14:15]
	s_cbranch_vccz .LBB113_2111
; %bb.2102:
	v_mov_b32_e32 v9, 24
	v_cmp_lt_i16_sdwa s[14:15], v7, v9 src0_sel:BYTE_0 src1_sel:DWORD
	s_and_b64 vcc, exec, s[14:15]
	s_cbranch_vccnz .LBB113_2114
; %bb.2103:
	v_cmp_gt_i16_sdwa s[14:15], v7, v9 src0_sel:BYTE_0 src1_sel:DWORD
	s_and_b64 vcc, exec, s[14:15]
	s_cbranch_vccz .LBB113_2115
; %bb.2104:
	global_load_ubyte v13, v[0:1], off
	s_movk_i32 s14, 0x7f
                                        ; implicit-def: $sgpr22
	s_waitcnt vmcnt(0)
	v_cmp_lt_i16_e32 vcc, s14, v13
	s_mov_b64 s[14:15], 0
	s_and_saveexec_b64 s[16:17], vcc
	s_xor_b64 s[16:17], exec, s[16:17]
	s_cbranch_execz .LBB113_2127
; %bb.2105:
	s_movk_i32 s14, 0x80
	v_cmp_eq_u16_e32 vcc, s14, v13
	s_mov_b64 s[14:15], -1
                                        ; implicit-def: $sgpr22
	s_and_saveexec_b64 s[20:21], vcc
; %bb.2106:
	s_mov_b32 s22, 0x7f800001
	s_xor_b64 s[14:15], exec, -1
; %bb.2107:
	s_or_b64 exec, exec, s[20:21]
	s_and_b64 s[14:15], s[14:15], exec
	s_or_saveexec_b64 s[16:17], s[16:17]
	v_mov_b32_e32 v9, s22
	s_xor_b64 exec, exec, s[16:17]
	s_cbranch_execnz .LBB113_2128
.LBB113_2108:
	s_or_b64 exec, exec, s[16:17]
	s_and_saveexec_b64 s[16:17], s[14:15]
	s_cbranch_execz .LBB113_2110
.LBB113_2109:
	v_lshlrev_b32_e32 v9, 24, v13
	v_and_b32_e32 v13, 0xffff, v13
	v_and_b32_e32 v14, 3, v13
	v_ffbh_u32_e32 v16, v14
	v_min_u32_e32 v16, 32, v16
	v_subrev_u32_e32 v17, 29, v16
	v_bfe_u32 v15, v13, 2, 5
	v_lshlrev_b32_e32 v13, v17, v13
	v_sub_u32_e32 v16, 30, v16
	v_and_b32_e32 v13, 3, v13
	v_cmp_eq_u32_e32 vcc, 0, v15
	v_cndmask_b32_e32 v15, v15, v16, vcc
	v_cndmask_b32_e32 v13, v14, v13, vcc
	v_mov_b32_e32 v14, 0x37800000
	v_lshlrev_b32_e32 v13, 21, v13
	v_and_b32_e32 v9, 0x80000000, v9
	v_lshl_add_u32 v14, v15, 23, v14
	v_or3_b32 v9, v9, v14, v13
.LBB113_2110:
	s_or_b64 exec, exec, s[16:17]
	s_mov_b64 s[14:15], 0
	s_branch .LBB113_2116
.LBB113_2111:
	s_mov_b64 s[14:15], -1
                                        ; implicit-def: $vgpr9
	s_branch .LBB113_2122
.LBB113_2112:
	s_or_saveexec_b64 s[20:21], s[20:21]
	v_mov_b32_e32 v9, s25
	s_xor_b64 exec, exec, s[20:21]
	s_cbranch_execz .LBB113_2095
.LBB113_2113:
	v_cmp_ne_u16_e32 vcc, 0, v13
	s_andn2_b64 s[16:17], s[16:17], exec
	s_and_b64 s[22:23], vcc, exec
	v_mov_b32_e32 v9, 0
	s_or_b64 s[16:17], s[16:17], s[22:23]
	s_or_b64 exec, exec, s[20:21]
	s_and_saveexec_b64 s[20:21], s[16:17]
	s_cbranch_execnz .LBB113_2096
	s_branch .LBB113_2097
.LBB113_2114:
	s_mov_b64 s[14:15], -1
                                        ; implicit-def: $vgpr9
	s_branch .LBB113_2119
.LBB113_2115:
	s_mov_b64 s[14:15], -1
                                        ; implicit-def: $vgpr9
.LBB113_2116:
	s_and_b64 vcc, exec, s[14:15]
	s_cbranch_vccz .LBB113_2118
; %bb.2117:
	global_load_ubyte v9, v[0:1], off
	s_mov_b32 s14, 0x7f800000
	s_waitcnt vmcnt(0)
	v_lshlrev_b32_e32 v9, 24, v9
	v_and_b32_e32 v13, 0x7f000000, v9
	v_ffbh_u32_e32 v14, v13
	v_min_u32_e32 v14, 32, v14
	v_sub_u32_e64 v14, v14, 4 clamp
	v_lshlrev_b32_e32 v16, v14, v13
	v_lshlrev_b32_e32 v14, 23, v14
	v_lshrrev_b32_e32 v16, 4, v16
	v_add_u32_e32 v15, 0x1000000, v13
	v_sub_u32_e32 v14, v16, v14
	v_ashrrev_i32_e32 v15, 8, v15
	v_add_u32_e32 v14, 0x3c000000, v14
	v_and_or_b32 v14, v15, s14, v14
	v_cmp_ne_u32_e32 vcc, 0, v13
	v_cndmask_b32_e32 v13, 0, v14, vcc
	s_brev_b32 s14, 1
	v_and_or_b32 v9, v9, s14, v13
.LBB113_2118:
	s_mov_b64 s[14:15], 0
.LBB113_2119:
	s_andn2_b64 vcc, exec, s[14:15]
	s_cbranch_vccnz .LBB113_2121
; %bb.2120:
	global_load_ubyte v9, v[0:1], off
	s_movk_i32 s14, 0x7f00
	s_brev_b32 s15, 16
	s_waitcnt vmcnt(0)
	v_lshlrev_b16_e32 v13, 8, v9
	v_lshlrev_b32_e32 v9, 25, v9
	v_lshrrev_b32_e32 v14, 4, v9
	v_and_or_b32 v15, v13, s14, 0.5
	v_or_b32_e32 v14, 0x70000000, v14
	v_add_f32_e32 v15, -0.5, v15
	v_mul_f32_e32 v14, 0x7800000, v14
	v_cmp_gt_u32_e32 vcc, s15, v9
	v_bfe_i32 v13, v13, 0, 16
	v_cndmask_b32_e32 v9, v14, v15, vcc
	s_brev_b32 s14, 1
	v_and_or_b32 v9, v13, s14, v9
.LBB113_2121:
	s_mov_b64 s[14:15], 0
	s_mov_b64 s[16:17], -1
.LBB113_2122:
	s_andn2_b64 vcc, exec, s[14:15]
	s_mov_b64 s[14:15], 0
	s_cbranch_vccnz .LBB113_2133
; %bb.2123:
	v_mov_b32_e32 v9, 14
	v_cmp_gt_i16_sdwa s[14:15], v7, v9 src0_sel:BYTE_0 src1_sel:DWORD
	s_and_b64 vcc, exec, s[14:15]
	s_cbranch_vccz .LBB113_2126
; %bb.2124:
	v_mov_b32_e32 v9, 15
	v_cmp_eq_u16_sdwa s[0:1], v7, v9 src0_sel:BYTE_0 src1_sel:DWORD
	s_and_b64 vcc, exec, s[0:1]
	s_cbranch_vccz .LBB113_2129
; %bb.2125:
	global_load_ushort v9, v[0:1], off
	s_mov_b64 s[0:1], 0
	s_mov_b64 s[16:17], -1
	s_waitcnt vmcnt(0)
	v_lshlrev_b32_e32 v9, 16, v9
	s_branch .LBB113_2130
.LBB113_2126:
	s_mov_b64 s[20:21], -1
                                        ; implicit-def: $vgpr9
	s_branch .LBB113_2131
.LBB113_2127:
	s_or_saveexec_b64 s[16:17], s[16:17]
	v_mov_b32_e32 v9, s22
	s_xor_b64 exec, exec, s[16:17]
	s_cbranch_execz .LBB113_2108
.LBB113_2128:
	v_cmp_ne_u16_e32 vcc, 0, v13
	s_andn2_b64 s[14:15], s[14:15], exec
	s_and_b64 s[20:21], vcc, exec
	v_mov_b32_e32 v9, 0
	s_or_b64 s[14:15], s[14:15], s[20:21]
	s_or_b64 exec, exec, s[16:17]
	s_and_saveexec_b64 s[16:17], s[14:15]
	s_cbranch_execnz .LBB113_2109
	s_branch .LBB113_2110
.LBB113_2129:
	s_mov_b64 s[0:1], -1
                                        ; implicit-def: $vgpr9
.LBB113_2130:
	s_mov_b64 s[20:21], 0
.LBB113_2131:
	s_mov_b64 s[14:15], 0
	s_and_b64 vcc, exec, s[20:21]
	s_cbranch_vccz .LBB113_2133
; %bb.2132:
	v_mov_b32_e32 v9, 11
	v_cmp_ne_u16_sdwa s[0:1], v7, v9 src0_sel:BYTE_0 src1_sel:DWORD
	s_mov_b64 s[14:15], -1
                                        ; implicit-def: $vgpr9
.LBB113_2133:
	s_and_b64 vcc, exec, s[0:1]
	s_cbranch_vccnz .LBB113_2198
; %bb.2134:
	s_andn2_b64 vcc, exec, s[14:15]
	s_cbranch_vccnz .LBB113_2136
.LBB113_2135:
	global_load_ubyte v9, v[0:1], off
	s_mov_b64 s[16:17], -1
	s_waitcnt vmcnt(0)
	v_cmp_ne_u16_e32 vcc, 0, v9
	v_cndmask_b32_e64 v9, 0, 1.0, vcc
.LBB113_2136:
	s_mov_b64 s[0:1], 0
.LBB113_2137:
	s_and_b64 vcc, exec, s[0:1]
	s_cbranch_vccz .LBB113_2186
; %bb.2138:
	v_mov_b32_e32 v9, 5
	v_cmp_lt_i16_sdwa s[0:1], v7, v9 src0_sel:BYTE_0 src1_sel:DWORD
	s_and_b64 vcc, exec, s[0:1]
	s_cbranch_vccnz .LBB113_2143
; %bb.2139:
	v_mov_b32_e32 v9, 8
	v_cmp_lt_i16_sdwa s[0:1], v7, v9 src0_sel:BYTE_0 src1_sel:DWORD
	s_and_b64 vcc, exec, s[0:1]
	s_cbranch_vccnz .LBB113_2144
	;; [unrolled: 5-line block ×3, first 2 shown]
; %bb.2141:
	v_cmp_gt_i16_sdwa s[0:1], v7, v9 src0_sel:BYTE_0 src1_sel:DWORD
	s_and_b64 vcc, exec, s[0:1]
	s_cbranch_vccz .LBB113_2146
; %bb.2142:
	global_load_dwordx2 v[14:15], v[0:1], off
	s_mov_b64 s[0:1], 0
	s_waitcnt vmcnt(0)
	v_cvt_f32_f64_e32 v9, v[14:15]
	s_branch .LBB113_2147
.LBB113_2143:
	s_mov_b64 s[0:1], -1
                                        ; implicit-def: $vgpr9
	s_branch .LBB113_2165
.LBB113_2144:
	s_mov_b64 s[0:1], -1
                                        ; implicit-def: $vgpr9
	s_branch .LBB113_2153
.LBB113_2145:
	s_mov_b64 s[0:1], -1
                                        ; implicit-def: $vgpr9
	s_branch .LBB113_2150
.LBB113_2146:
	s_mov_b64 s[0:1], -1
                                        ; implicit-def: $vgpr9
.LBB113_2147:
	s_andn2_b64 vcc, exec, s[0:1]
	s_cbranch_vccnz .LBB113_2149
; %bb.2148:
	global_load_dword v9, v[0:1], off
.LBB113_2149:
	s_mov_b64 s[0:1], 0
.LBB113_2150:
	s_andn2_b64 vcc, exec, s[0:1]
	s_cbranch_vccnz .LBB113_2152
; %bb.2151:
	global_load_dword v9, v[0:1], off
	s_waitcnt vmcnt(0)
	v_cvt_f32_f16_e32 v9, v9
.LBB113_2152:
	s_mov_b64 s[0:1], 0
.LBB113_2153:
	s_andn2_b64 vcc, exec, s[0:1]
	s_cbranch_vccnz .LBB113_2164
; %bb.2154:
	s_waitcnt vmcnt(0)
	v_mov_b32_e32 v9, 6
	v_cmp_lt_i16_sdwa s[0:1], v7, v9 src0_sel:BYTE_0 src1_sel:DWORD
	s_and_b64 vcc, exec, s[0:1]
	s_cbranch_vccnz .LBB113_2157
; %bb.2155:
	v_cmp_gt_i16_sdwa s[0:1], v7, v9 src0_sel:BYTE_0 src1_sel:DWORD
	s_and_b64 vcc, exec, s[0:1]
	s_cbranch_vccz .LBB113_2158
; %bb.2156:
	global_load_dwordx2 v[14:15], v[0:1], off
	s_mov_b64 s[0:1], 0
	s_waitcnt vmcnt(0)
	v_cvt_f32_f64_e32 v9, v[14:15]
	s_branch .LBB113_2159
.LBB113_2157:
	s_mov_b64 s[0:1], -1
                                        ; implicit-def: $vgpr9
	s_branch .LBB113_2162
.LBB113_2158:
	s_mov_b64 s[0:1], -1
                                        ; implicit-def: $vgpr9
.LBB113_2159:
	s_andn2_b64 vcc, exec, s[0:1]
	s_cbranch_vccnz .LBB113_2161
; %bb.2160:
	global_load_dword v9, v[0:1], off
.LBB113_2161:
	s_mov_b64 s[0:1], 0
.LBB113_2162:
	s_andn2_b64 vcc, exec, s[0:1]
	s_cbranch_vccnz .LBB113_2164
; %bb.2163:
	global_load_ushort v9, v[0:1], off
	s_waitcnt vmcnt(0)
	v_cvt_f32_f16_e32 v9, v9
.LBB113_2164:
	s_mov_b64 s[0:1], 0
.LBB113_2165:
	s_andn2_b64 vcc, exec, s[0:1]
	s_cbranch_vccnz .LBB113_2185
; %bb.2166:
	s_waitcnt vmcnt(0)
	v_mov_b32_e32 v9, 2
	v_cmp_lt_i16_sdwa s[0:1], v7, v9 src0_sel:BYTE_0 src1_sel:DWORD
	s_and_b64 vcc, exec, s[0:1]
	s_cbranch_vccnz .LBB113_2170
; %bb.2167:
	v_mov_b32_e32 v9, 3
	v_cmp_lt_i16_sdwa s[0:1], v7, v9 src0_sel:BYTE_0 src1_sel:DWORD
	s_and_b64 vcc, exec, s[0:1]
	s_cbranch_vccnz .LBB113_2171
; %bb.2168:
	v_cmp_gt_i16_sdwa s[0:1], v7, v9 src0_sel:BYTE_0 src1_sel:DWORD
	s_and_b64 vcc, exec, s[0:1]
	s_cbranch_vccz .LBB113_2172
; %bb.2169:
	global_load_dwordx2 v[14:15], v[0:1], off
	s_mov_b64 s[0:1], 0
	s_waitcnt vmcnt(0)
	v_xor_b32_e32 v13, v14, v15
	v_ffbh_i32_e32 v9, v15
	v_ashrrev_i32_e32 v13, 31, v13
	v_add_u32_e32 v9, -1, v9
	v_add_u32_e32 v13, 32, v13
	v_min_u32_e32 v9, v9, v13
	v_lshlrev_b64 v[14:15], v9, v[14:15]
	v_min_u32_e32 v13, 1, v14
	v_or_b32_e32 v13, v15, v13
	v_cvt_f32_i32_e32 v13, v13
	v_sub_u32_e32 v9, 32, v9
	v_ldexp_f32 v9, v13, v9
	s_branch .LBB113_2173
.LBB113_2170:
	s_mov_b64 s[0:1], -1
                                        ; implicit-def: $vgpr9
	s_branch .LBB113_2179
.LBB113_2171:
	s_mov_b64 s[0:1], -1
                                        ; implicit-def: $vgpr9
	s_branch .LBB113_2176
.LBB113_2172:
	s_mov_b64 s[0:1], -1
                                        ; implicit-def: $vgpr9
.LBB113_2173:
	s_andn2_b64 vcc, exec, s[0:1]
	s_cbranch_vccnz .LBB113_2175
; %bb.2174:
	global_load_dword v9, v[0:1], off
	s_waitcnt vmcnt(0)
	v_cvt_f32_i32_e32 v9, v9
.LBB113_2175:
	s_mov_b64 s[0:1], 0
.LBB113_2176:
	s_andn2_b64 vcc, exec, s[0:1]
	s_cbranch_vccnz .LBB113_2178
; %bb.2177:
	global_load_sshort v9, v[0:1], off
	s_waitcnt vmcnt(0)
	v_cvt_f32_i32_e32 v9, v9
.LBB113_2178:
	s_mov_b64 s[0:1], 0
.LBB113_2179:
	s_andn2_b64 vcc, exec, s[0:1]
	s_cbranch_vccnz .LBB113_2185
; %bb.2180:
	v_mov_b32_e32 v9, 0
	v_cmp_gt_i16_sdwa s[0:1], v7, v9 src0_sel:BYTE_0 src1_sel:DWORD
	s_and_b64 vcc, exec, s[0:1]
	s_cbranch_vccz .LBB113_2182
; %bb.2181:
	global_load_sbyte v9, v[0:1], off
	s_mov_b64 s[0:1], 0
	s_waitcnt vmcnt(0)
	v_cvt_f32_i32_e32 v9, v9
	s_branch .LBB113_2183
.LBB113_2182:
	s_mov_b64 s[0:1], -1
                                        ; implicit-def: $vgpr9
.LBB113_2183:
	s_andn2_b64 vcc, exec, s[0:1]
	s_cbranch_vccnz .LBB113_2185
; %bb.2184:
	global_load_ubyte v0, v[0:1], off
	s_waitcnt vmcnt(0)
	v_cvt_f32_ubyte0_e32 v9, v0
.LBB113_2185:
	s_mov_b64 s[16:17], -1
.LBB113_2186:
	s_andn2_b64 vcc, exec, s[16:17]
	s_cbranch_vccnz .LBB113_3032
; %bb.2187:
	v_add_u32_e32 v13, s24, v12
	v_ashrrev_i32_e32 v1, 31, v13
	v_mov_b32_e32 v12, s3
	v_add_co_u32_e32 v0, vcc, s2, v13
	v_addc_co_u32_e32 v1, vcc, v12, v1, vcc
	v_mov_b32_e32 v12, 11
	v_cmp_lt_i16_sdwa s[0:1], v6, v12 src0_sel:BYTE_0 src1_sel:DWORD
	s_and_b64 vcc, exec, s[0:1]
	s_cbranch_vccnz .LBB113_2194
; %bb.2188:
	v_mov_b32_e32 v12, 25
	v_cmp_gt_i16_sdwa s[0:1], v6, v12 src0_sel:BYTE_0 src1_sel:DWORD
	s_mov_b64 s[14:15], 0
	s_and_b64 vcc, exec, s[0:1]
	s_cbranch_vccz .LBB113_2195
; %bb.2189:
	v_mov_b32_e32 v12, 28
	v_cmp_gt_i16_sdwa s[0:1], v6, v12 src0_sel:BYTE_0 src1_sel:DWORD
	s_and_b64 vcc, exec, s[0:1]
	s_cbranch_vccz .LBB113_2196
; %bb.2190:
	v_mov_b32_e32 v12, 43
	v_cmp_gt_i16_sdwa s[0:1], v6, v12 src0_sel:BYTE_0 src1_sel:DWORD
	;; [unrolled: 5-line block ×3, first 2 shown]
	s_and_b64 vcc, exec, s[0:1]
	s_cbranch_vccz .LBB113_2199
; %bb.2192:
	v_mov_b32_e32 v12, 46
	v_cmp_eq_u16_sdwa s[0:1], v6, v12 src0_sel:BYTE_0 src1_sel:DWORD
	s_mov_b64 s[20:21], 0
	s_and_b64 vcc, exec, s[0:1]
	s_cbranch_vccz .LBB113_2202
; %bb.2193:
	global_load_dword v12, v[0:1], off
	s_mov_b64 s[0:1], 0
	s_mov_b64 s[16:17], -1
	s_waitcnt vmcnt(0)
	v_lshlrev_b32_e32 v12, 16, v12
	s_branch .LBB113_2203
.LBB113_2194:
	s_mov_b64 s[0:1], -1
	s_mov_b64 s[16:17], 0
                                        ; implicit-def: $vgpr12
	s_branch .LBB113_2269
.LBB113_2195:
	s_mov_b64 s[20:21], -1
	s_mov_b64 s[16:17], 0
	s_mov_b64 s[0:1], 0
                                        ; implicit-def: $vgpr12
	s_branch .LBB113_2232
.LBB113_2196:
	s_mov_b64 s[20:21], -1
	s_mov_b64 s[16:17], 0
	s_mov_b64 s[0:1], 0
                                        ; implicit-def: $vgpr12
	s_branch .LBB113_2213
.LBB113_2197:
	s_mov_b64 s[20:21], -1
	s_mov_b64 s[16:17], 0
	s_mov_b64 s[0:1], 0
                                        ; implicit-def: $vgpr12
	s_branch .LBB113_2208
.LBB113_2198:
	s_trap 2
	s_or_b64 s[18:19], s[18:19], exec
                                        ; implicit-def: $vgpr9
	s_cbranch_execz .LBB113_2135
	s_branch .LBB113_2136
.LBB113_2199:
	s_mov_b64 s[20:21], -1
	s_mov_b64 s[16:17], 0
	s_mov_b64 s[0:1], 0
                                        ; implicit-def: $vgpr12
	s_branch .LBB113_2203
.LBB113_2200:
	s_or_saveexec_b64 s[44:45], s[44:45]
                                        ; implicit-def: $sgpr15
	s_xor_b64 exec, exec, s[44:45]
	s_cbranch_execz .LBB113_1085
.LBB113_2201:
	s_mov_b32 s15, 0x42800000
	v_add_f32_e64 v8, |v3|, s15
	v_and_b32_e32 v8, 0xff, v8
	v_cmp_ne_u32_e32 vcc, 0, v8
	s_andn2_b64 s[42:43], s[42:43], exec
	s_and_b64 s[46:47], vcc, exec
	s_mov_b32 s15, 0
	s_or_b64 s[42:43], s[42:43], s[46:47]
	s_or_b64 exec, exec, s[44:45]
	v_mov_b32_e32 v9, s15
	s_and_saveexec_b64 s[44:45], s[42:43]
	s_cbranch_execnz .LBB113_1086
	s_branch .LBB113_1087
.LBB113_2202:
	s_mov_b64 s[0:1], -1
                                        ; implicit-def: $vgpr12
	s_mov_b64 s[16:17], 0
.LBB113_2203:
	s_and_b64 vcc, exec, s[20:21]
	s_cbranch_vccz .LBB113_2207
; %bb.2204:
	v_mov_b32_e32 v12, 44
	v_cmp_eq_u16_sdwa s[0:1], v6, v12 src0_sel:BYTE_0 src1_sel:DWORD
	s_and_b64 vcc, exec, s[0:1]
	s_cbranch_vccz .LBB113_2206
; %bb.2205:
	global_load_ubyte v12, v[0:1], off
	s_movk_i32 s16, 0xff
	v_mov_b32_e32 v14, 0x7f800001
	v_mov_b32_e32 v15, 0x400000
	s_mov_b64 s[0:1], 0
	s_waitcnt vmcnt(0)
	v_lshlrev_b32_e32 v16, 23, v12
	v_cmp_ne_u32_e32 vcc, s16, v12
	v_cndmask_b32_e32 v14, v14, v16, vcc
	v_cmp_ne_u32_e32 vcc, 0, v12
	v_cndmask_b32_e32 v12, v15, v14, vcc
	s_mov_b64 s[16:17], -1
	s_branch .LBB113_2207
.LBB113_2206:
	s_mov_b64 s[0:1], -1
                                        ; implicit-def: $vgpr12
.LBB113_2207:
	s_mov_b64 s[20:21], 0
.LBB113_2208:
	s_and_b64 vcc, exec, s[20:21]
	s_cbranch_vccz .LBB113_2212
; %bb.2209:
	v_mov_b32_e32 v12, 29
	v_cmp_eq_u16_sdwa s[0:1], v6, v12 src0_sel:BYTE_0 src1_sel:DWORD
	s_and_b64 vcc, exec, s[0:1]
	s_cbranch_vccz .LBB113_2211
; %bb.2210:
	global_load_dwordx2 v[14:15], v[0:1], off
	s_mov_b64 s[0:1], 0
	s_mov_b64 s[16:17], -1
	s_mov_b64 s[20:21], 0
	s_waitcnt vmcnt(0)
	v_ffbh_u32_e32 v12, v15
	v_min_u32_e32 v12, 32, v12
	v_lshlrev_b64 v[14:15], v12, v[14:15]
	v_min_u32_e32 v14, 1, v14
	v_or_b32_e32 v14, v15, v14
	v_cvt_f32_u32_e32 v14, v14
	v_sub_u32_e32 v12, 32, v12
	v_ldexp_f32 v12, v14, v12
	s_branch .LBB113_2213
.LBB113_2211:
	s_mov_b64 s[0:1], -1
                                        ; implicit-def: $vgpr12
.LBB113_2212:
	s_mov_b64 s[20:21], 0
.LBB113_2213:
	s_and_b64 vcc, exec, s[20:21]
	s_cbranch_vccz .LBB113_2231
; %bb.2214:
	v_mov_b32_e32 v12, 27
	v_cmp_lt_i16_sdwa s[16:17], v6, v12 src0_sel:BYTE_0 src1_sel:DWORD
	s_and_b64 vcc, exec, s[16:17]
	s_cbranch_vccnz .LBB113_2217
; %bb.2215:
	v_cmp_gt_i16_sdwa s[16:17], v6, v12 src0_sel:BYTE_0 src1_sel:DWORD
	s_and_b64 vcc, exec, s[16:17]
	s_cbranch_vccz .LBB113_2218
; %bb.2216:
	global_load_dword v12, v[0:1], off
	s_mov_b64 s[16:17], 0
	s_waitcnt vmcnt(0)
	v_cvt_f32_u32_e32 v12, v12
	s_branch .LBB113_2219
.LBB113_2217:
	s_mov_b64 s[16:17], -1
                                        ; implicit-def: $vgpr12
	s_branch .LBB113_2222
.LBB113_2218:
	s_mov_b64 s[16:17], -1
                                        ; implicit-def: $vgpr12
.LBB113_2219:
	s_andn2_b64 vcc, exec, s[16:17]
	s_cbranch_vccnz .LBB113_2221
; %bb.2220:
	global_load_ushort v12, v[0:1], off
	s_waitcnt vmcnt(0)
	v_cvt_f32_u32_e32 v12, v12
.LBB113_2221:
	s_mov_b64 s[16:17], 0
.LBB113_2222:
	s_andn2_b64 vcc, exec, s[16:17]
	s_cbranch_vccnz .LBB113_2230
; %bb.2223:
	global_load_ubyte v14, v[0:1], off
	s_movk_i32 s16, 0x7f
                                        ; implicit-def: $sgpr25
	s_waitcnt vmcnt(0)
	v_cmp_lt_i16_e32 vcc, s16, v14
	s_mov_b64 s[16:17], 0
	s_and_saveexec_b64 s[20:21], vcc
	s_xor_b64 s[20:21], exec, s[20:21]
	s_cbranch_execz .LBB113_2244
; %bb.2224:
	s_movk_i32 s16, 0x80
	v_cmp_eq_u16_e32 vcc, s16, v14
	s_mov_b64 s[16:17], -1
                                        ; implicit-def: $sgpr25
	s_and_saveexec_b64 s[22:23], vcc
; %bb.2225:
	s_mov_b32 s25, 0x7f800001
	s_xor_b64 s[16:17], exec, -1
; %bb.2226:
	s_or_b64 exec, exec, s[22:23]
	s_and_b64 s[16:17], s[16:17], exec
	s_or_saveexec_b64 s[20:21], s[20:21]
	v_mov_b32_e32 v12, s25
	s_xor_b64 exec, exec, s[20:21]
	s_cbranch_execnz .LBB113_2245
.LBB113_2227:
	s_or_b64 exec, exec, s[20:21]
	s_and_saveexec_b64 s[20:21], s[16:17]
	s_cbranch_execz .LBB113_2229
.LBB113_2228:
	v_lshlrev_b32_e32 v12, 24, v14
	v_and_b32_e32 v14, 0xffff, v14
	v_and_b32_e32 v15, 7, v14
	v_ffbh_u32_e32 v17, v15
	v_min_u32_e32 v17, 32, v17
	v_subrev_u32_e32 v18, 28, v17
	v_bfe_u32 v16, v14, 3, 4
	v_lshlrev_b32_e32 v14, v18, v14
	v_sub_u32_e32 v17, 29, v17
	v_and_b32_e32 v14, 7, v14
	v_cmp_eq_u32_e32 vcc, 0, v16
	v_cndmask_b32_e32 v16, v16, v17, vcc
	v_cndmask_b32_e32 v14, v15, v14, vcc
	v_mov_b32_e32 v15, 0x3b800000
	v_lshlrev_b32_e32 v14, 20, v14
	v_and_b32_e32 v12, 0x80000000, v12
	v_lshl_add_u32 v15, v16, 23, v15
	v_or3_b32 v12, v12, v15, v14
.LBB113_2229:
	s_or_b64 exec, exec, s[20:21]
.LBB113_2230:
	s_mov_b64 s[16:17], -1
.LBB113_2231:
	s_mov_b64 s[20:21], 0
.LBB113_2232:
	s_and_b64 vcc, exec, s[20:21]
	s_cbranch_vccz .LBB113_2265
; %bb.2233:
	v_mov_b32_e32 v12, 22
	v_cmp_gt_i16_sdwa s[14:15], v6, v12 src0_sel:BYTE_0 src1_sel:DWORD
	s_and_b64 vcc, exec, s[14:15]
	s_cbranch_vccz .LBB113_2243
; %bb.2234:
	v_mov_b32_e32 v12, 24
	v_cmp_lt_i16_sdwa s[14:15], v6, v12 src0_sel:BYTE_0 src1_sel:DWORD
	s_and_b64 vcc, exec, s[14:15]
	s_cbranch_vccnz .LBB113_2246
; %bb.2235:
	v_cmp_gt_i16_sdwa s[14:15], v6, v12 src0_sel:BYTE_0 src1_sel:DWORD
	s_and_b64 vcc, exec, s[14:15]
	s_cbranch_vccz .LBB113_2247
; %bb.2236:
	global_load_ubyte v14, v[0:1], off
	s_movk_i32 s14, 0x7f
                                        ; implicit-def: $sgpr22
	s_waitcnt vmcnt(0)
	v_cmp_lt_i16_e32 vcc, s14, v14
	s_mov_b64 s[14:15], 0
	s_and_saveexec_b64 s[16:17], vcc
	s_xor_b64 s[16:17], exec, s[16:17]
	s_cbranch_execz .LBB113_2259
; %bb.2237:
	s_movk_i32 s14, 0x80
	v_cmp_eq_u16_e32 vcc, s14, v14
	s_mov_b64 s[14:15], -1
                                        ; implicit-def: $sgpr22
	s_and_saveexec_b64 s[20:21], vcc
; %bb.2238:
	s_mov_b32 s22, 0x7f800001
	s_xor_b64 s[14:15], exec, -1
; %bb.2239:
	s_or_b64 exec, exec, s[20:21]
	s_and_b64 s[14:15], s[14:15], exec
	s_or_saveexec_b64 s[16:17], s[16:17]
	v_mov_b32_e32 v12, s22
	s_xor_b64 exec, exec, s[16:17]
	s_cbranch_execnz .LBB113_2260
.LBB113_2240:
	s_or_b64 exec, exec, s[16:17]
	s_and_saveexec_b64 s[16:17], s[14:15]
	s_cbranch_execz .LBB113_2242
.LBB113_2241:
	v_lshlrev_b32_e32 v12, 24, v14
	v_and_b32_e32 v14, 0xffff, v14
	v_and_b32_e32 v15, 3, v14
	v_ffbh_u32_e32 v17, v15
	v_min_u32_e32 v17, 32, v17
	v_subrev_u32_e32 v18, 29, v17
	v_bfe_u32 v16, v14, 2, 5
	v_lshlrev_b32_e32 v14, v18, v14
	v_sub_u32_e32 v17, 30, v17
	v_and_b32_e32 v14, 3, v14
	v_cmp_eq_u32_e32 vcc, 0, v16
	v_cndmask_b32_e32 v16, v16, v17, vcc
	v_cndmask_b32_e32 v14, v15, v14, vcc
	v_mov_b32_e32 v15, 0x37800000
	v_lshlrev_b32_e32 v14, 21, v14
	v_and_b32_e32 v12, 0x80000000, v12
	v_lshl_add_u32 v15, v16, 23, v15
	v_or3_b32 v12, v12, v15, v14
.LBB113_2242:
	s_or_b64 exec, exec, s[16:17]
	s_mov_b64 s[14:15], 0
	s_branch .LBB113_2248
.LBB113_2243:
	s_mov_b64 s[14:15], -1
                                        ; implicit-def: $vgpr12
	s_branch .LBB113_2254
.LBB113_2244:
	s_or_saveexec_b64 s[20:21], s[20:21]
	v_mov_b32_e32 v12, s25
	s_xor_b64 exec, exec, s[20:21]
	s_cbranch_execz .LBB113_2227
.LBB113_2245:
	v_cmp_ne_u16_e32 vcc, 0, v14
	s_andn2_b64 s[16:17], s[16:17], exec
	s_and_b64 s[22:23], vcc, exec
	v_mov_b32_e32 v12, 0
	s_or_b64 s[16:17], s[16:17], s[22:23]
	s_or_b64 exec, exec, s[20:21]
	s_and_saveexec_b64 s[20:21], s[16:17]
	s_cbranch_execnz .LBB113_2228
	s_branch .LBB113_2229
.LBB113_2246:
	s_mov_b64 s[14:15], -1
                                        ; implicit-def: $vgpr12
	s_branch .LBB113_2251
.LBB113_2247:
	s_mov_b64 s[14:15], -1
                                        ; implicit-def: $vgpr12
.LBB113_2248:
	s_and_b64 vcc, exec, s[14:15]
	s_cbranch_vccz .LBB113_2250
; %bb.2249:
	global_load_ubyte v12, v[0:1], off
	s_mov_b32 s14, 0x7f800000
	s_waitcnt vmcnt(0)
	v_lshlrev_b32_e32 v12, 24, v12
	v_and_b32_e32 v14, 0x7f000000, v12
	v_ffbh_u32_e32 v15, v14
	v_min_u32_e32 v15, 32, v15
	v_sub_u32_e64 v15, v15, 4 clamp
	v_lshlrev_b32_e32 v17, v15, v14
	v_lshlrev_b32_e32 v15, 23, v15
	v_lshrrev_b32_e32 v17, 4, v17
	v_add_u32_e32 v16, 0x1000000, v14
	v_sub_u32_e32 v15, v17, v15
	v_ashrrev_i32_e32 v16, 8, v16
	v_add_u32_e32 v15, 0x3c000000, v15
	v_and_or_b32 v15, v16, s14, v15
	v_cmp_ne_u32_e32 vcc, 0, v14
	v_cndmask_b32_e32 v14, 0, v15, vcc
	s_brev_b32 s14, 1
	v_and_or_b32 v12, v12, s14, v14
.LBB113_2250:
	s_mov_b64 s[14:15], 0
.LBB113_2251:
	s_andn2_b64 vcc, exec, s[14:15]
	s_cbranch_vccnz .LBB113_2253
; %bb.2252:
	global_load_ubyte v12, v[0:1], off
	s_movk_i32 s14, 0x7f00
	s_brev_b32 s15, 16
	s_waitcnt vmcnt(0)
	v_lshlrev_b16_e32 v14, 8, v12
	v_lshlrev_b32_e32 v12, 25, v12
	v_lshrrev_b32_e32 v15, 4, v12
	v_and_or_b32 v16, v14, s14, 0.5
	v_or_b32_e32 v15, 0x70000000, v15
	v_add_f32_e32 v16, -0.5, v16
	v_mul_f32_e32 v15, 0x7800000, v15
	v_cmp_gt_u32_e32 vcc, s15, v12
	v_bfe_i32 v14, v14, 0, 16
	v_cndmask_b32_e32 v12, v15, v16, vcc
	s_brev_b32 s14, 1
	v_and_or_b32 v12, v14, s14, v12
.LBB113_2253:
	s_mov_b64 s[14:15], 0
	s_mov_b64 s[16:17], -1
.LBB113_2254:
	s_andn2_b64 vcc, exec, s[14:15]
	s_mov_b64 s[14:15], 0
	s_cbranch_vccnz .LBB113_2265
; %bb.2255:
	v_mov_b32_e32 v12, 14
	v_cmp_gt_i16_sdwa s[14:15], v6, v12 src0_sel:BYTE_0 src1_sel:DWORD
	s_and_b64 vcc, exec, s[14:15]
	s_cbranch_vccz .LBB113_2258
; %bb.2256:
	v_mov_b32_e32 v12, 15
	v_cmp_eq_u16_sdwa s[0:1], v6, v12 src0_sel:BYTE_0 src1_sel:DWORD
	s_and_b64 vcc, exec, s[0:1]
	s_cbranch_vccz .LBB113_2261
; %bb.2257:
	global_load_ushort v12, v[0:1], off
	s_mov_b64 s[0:1], 0
	s_mov_b64 s[16:17], -1
	s_waitcnt vmcnt(0)
	v_lshlrev_b32_e32 v12, 16, v12
	s_branch .LBB113_2262
.LBB113_2258:
	s_mov_b64 s[20:21], -1
                                        ; implicit-def: $vgpr12
	s_branch .LBB113_2263
.LBB113_2259:
	s_or_saveexec_b64 s[16:17], s[16:17]
	v_mov_b32_e32 v12, s22
	s_xor_b64 exec, exec, s[16:17]
	s_cbranch_execz .LBB113_2240
.LBB113_2260:
	v_cmp_ne_u16_e32 vcc, 0, v14
	s_andn2_b64 s[14:15], s[14:15], exec
	s_and_b64 s[20:21], vcc, exec
	v_mov_b32_e32 v12, 0
	s_or_b64 s[14:15], s[14:15], s[20:21]
	s_or_b64 exec, exec, s[16:17]
	s_and_saveexec_b64 s[16:17], s[14:15]
	s_cbranch_execnz .LBB113_2241
	s_branch .LBB113_2242
.LBB113_2261:
	s_mov_b64 s[0:1], -1
                                        ; implicit-def: $vgpr12
.LBB113_2262:
	s_mov_b64 s[20:21], 0
.LBB113_2263:
	s_mov_b64 s[14:15], 0
	s_and_b64 vcc, exec, s[20:21]
	s_cbranch_vccz .LBB113_2265
; %bb.2264:
	v_mov_b32_e32 v12, 11
	v_cmp_ne_u16_sdwa s[0:1], v6, v12 src0_sel:BYTE_0 src1_sel:DWORD
	s_mov_b64 s[14:15], -1
                                        ; implicit-def: $vgpr12
.LBB113_2265:
	s_and_b64 vcc, exec, s[0:1]
	s_cbranch_vccnz .LBB113_2330
; %bb.2266:
	s_andn2_b64 vcc, exec, s[14:15]
	s_cbranch_vccnz .LBB113_2268
.LBB113_2267:
	global_load_ubyte v12, v[0:1], off
	s_mov_b64 s[16:17], -1
	s_waitcnt vmcnt(0)
	v_cmp_ne_u16_e32 vcc, 0, v12
	v_cndmask_b32_e64 v12, 0, 1.0, vcc
.LBB113_2268:
	s_mov_b64 s[0:1], 0
.LBB113_2269:
	s_and_b64 vcc, exec, s[0:1]
	s_cbranch_vccz .LBB113_2318
; %bb.2270:
	v_mov_b32_e32 v12, 5
	v_cmp_lt_i16_sdwa s[0:1], v6, v12 src0_sel:BYTE_0 src1_sel:DWORD
	s_and_b64 vcc, exec, s[0:1]
	s_cbranch_vccnz .LBB113_2275
; %bb.2271:
	v_mov_b32_e32 v12, 8
	v_cmp_lt_i16_sdwa s[0:1], v6, v12 src0_sel:BYTE_0 src1_sel:DWORD
	s_and_b64 vcc, exec, s[0:1]
	s_cbranch_vccnz .LBB113_2276
	;; [unrolled: 5-line block ×3, first 2 shown]
; %bb.2273:
	v_cmp_gt_i16_sdwa s[0:1], v6, v12 src0_sel:BYTE_0 src1_sel:DWORD
	s_and_b64 vcc, exec, s[0:1]
	s_cbranch_vccz .LBB113_2278
; %bb.2274:
	global_load_dwordx2 v[14:15], v[0:1], off
	s_mov_b64 s[0:1], 0
	s_waitcnt vmcnt(0)
	v_cvt_f32_f64_e32 v12, v[14:15]
	s_branch .LBB113_2279
.LBB113_2275:
	s_mov_b64 s[0:1], -1
                                        ; implicit-def: $vgpr12
	s_branch .LBB113_2297
.LBB113_2276:
	s_mov_b64 s[0:1], -1
                                        ; implicit-def: $vgpr12
	s_branch .LBB113_2285
.LBB113_2277:
	s_mov_b64 s[0:1], -1
                                        ; implicit-def: $vgpr12
	s_branch .LBB113_2282
.LBB113_2278:
	s_mov_b64 s[0:1], -1
                                        ; implicit-def: $vgpr12
.LBB113_2279:
	s_andn2_b64 vcc, exec, s[0:1]
	s_cbranch_vccnz .LBB113_2281
; %bb.2280:
	global_load_dword v12, v[0:1], off
.LBB113_2281:
	s_mov_b64 s[0:1], 0
.LBB113_2282:
	s_andn2_b64 vcc, exec, s[0:1]
	s_cbranch_vccnz .LBB113_2284
; %bb.2283:
	global_load_dword v12, v[0:1], off
	s_waitcnt vmcnt(0)
	v_cvt_f32_f16_e32 v12, v12
.LBB113_2284:
	s_mov_b64 s[0:1], 0
.LBB113_2285:
	s_andn2_b64 vcc, exec, s[0:1]
	s_cbranch_vccnz .LBB113_2296
; %bb.2286:
	s_waitcnt vmcnt(0)
	v_mov_b32_e32 v12, 6
	v_cmp_lt_i16_sdwa s[0:1], v6, v12 src0_sel:BYTE_0 src1_sel:DWORD
	s_and_b64 vcc, exec, s[0:1]
	s_cbranch_vccnz .LBB113_2289
; %bb.2287:
	v_cmp_gt_i16_sdwa s[0:1], v6, v12 src0_sel:BYTE_0 src1_sel:DWORD
	s_and_b64 vcc, exec, s[0:1]
	s_cbranch_vccz .LBB113_2290
; %bb.2288:
	global_load_dwordx2 v[14:15], v[0:1], off
	s_mov_b64 s[0:1], 0
	s_waitcnt vmcnt(0)
	v_cvt_f32_f64_e32 v12, v[14:15]
	s_branch .LBB113_2291
.LBB113_2289:
	s_mov_b64 s[0:1], -1
                                        ; implicit-def: $vgpr12
	s_branch .LBB113_2294
.LBB113_2290:
	s_mov_b64 s[0:1], -1
                                        ; implicit-def: $vgpr12
.LBB113_2291:
	s_andn2_b64 vcc, exec, s[0:1]
	s_cbranch_vccnz .LBB113_2293
; %bb.2292:
	global_load_dword v12, v[0:1], off
.LBB113_2293:
	s_mov_b64 s[0:1], 0
.LBB113_2294:
	s_andn2_b64 vcc, exec, s[0:1]
	s_cbranch_vccnz .LBB113_2296
; %bb.2295:
	global_load_ushort v12, v[0:1], off
	s_waitcnt vmcnt(0)
	v_cvt_f32_f16_e32 v12, v12
.LBB113_2296:
	s_mov_b64 s[0:1], 0
.LBB113_2297:
	s_andn2_b64 vcc, exec, s[0:1]
	s_cbranch_vccnz .LBB113_2317
; %bb.2298:
	s_waitcnt vmcnt(0)
	v_mov_b32_e32 v12, 2
	v_cmp_lt_i16_sdwa s[0:1], v6, v12 src0_sel:BYTE_0 src1_sel:DWORD
	s_and_b64 vcc, exec, s[0:1]
	s_cbranch_vccnz .LBB113_2302
; %bb.2299:
	v_mov_b32_e32 v12, 3
	v_cmp_lt_i16_sdwa s[0:1], v6, v12 src0_sel:BYTE_0 src1_sel:DWORD
	s_and_b64 vcc, exec, s[0:1]
	s_cbranch_vccnz .LBB113_2303
; %bb.2300:
	v_cmp_gt_i16_sdwa s[0:1], v6, v12 src0_sel:BYTE_0 src1_sel:DWORD
	s_and_b64 vcc, exec, s[0:1]
	s_cbranch_vccz .LBB113_2304
; %bb.2301:
	global_load_dwordx2 v[14:15], v[0:1], off
	s_mov_b64 s[0:1], 0
	s_waitcnt vmcnt(0)
	v_xor_b32_e32 v16, v14, v15
	v_ffbh_i32_e32 v12, v15
	v_ashrrev_i32_e32 v16, 31, v16
	v_add_u32_e32 v12, -1, v12
	v_add_u32_e32 v16, 32, v16
	v_min_u32_e32 v12, v12, v16
	v_lshlrev_b64 v[14:15], v12, v[14:15]
	v_min_u32_e32 v14, 1, v14
	v_or_b32_e32 v14, v15, v14
	v_cvt_f32_i32_e32 v14, v14
	v_sub_u32_e32 v12, 32, v12
	v_ldexp_f32 v12, v14, v12
	s_branch .LBB113_2305
.LBB113_2302:
	s_mov_b64 s[0:1], -1
                                        ; implicit-def: $vgpr12
	s_branch .LBB113_2311
.LBB113_2303:
	s_mov_b64 s[0:1], -1
                                        ; implicit-def: $vgpr12
	s_branch .LBB113_2308
.LBB113_2304:
	s_mov_b64 s[0:1], -1
                                        ; implicit-def: $vgpr12
.LBB113_2305:
	s_andn2_b64 vcc, exec, s[0:1]
	s_cbranch_vccnz .LBB113_2307
; %bb.2306:
	global_load_dword v12, v[0:1], off
	s_waitcnt vmcnt(0)
	v_cvt_f32_i32_e32 v12, v12
.LBB113_2307:
	s_mov_b64 s[0:1], 0
.LBB113_2308:
	s_andn2_b64 vcc, exec, s[0:1]
	s_cbranch_vccnz .LBB113_2310
; %bb.2309:
	global_load_sshort v12, v[0:1], off
	s_waitcnt vmcnt(0)
	v_cvt_f32_i32_e32 v12, v12
.LBB113_2310:
	s_mov_b64 s[0:1], 0
.LBB113_2311:
	s_andn2_b64 vcc, exec, s[0:1]
	s_cbranch_vccnz .LBB113_2317
; %bb.2312:
	v_mov_b32_e32 v12, 0
	v_cmp_gt_i16_sdwa s[0:1], v6, v12 src0_sel:BYTE_0 src1_sel:DWORD
	s_and_b64 vcc, exec, s[0:1]
	s_cbranch_vccz .LBB113_2314
; %bb.2313:
	global_load_sbyte v12, v[0:1], off
	s_mov_b64 s[0:1], 0
	s_waitcnt vmcnt(0)
	v_cvt_f32_i32_e32 v12, v12
	s_branch .LBB113_2315
.LBB113_2314:
	s_mov_b64 s[0:1], -1
                                        ; implicit-def: $vgpr12
.LBB113_2315:
	s_andn2_b64 vcc, exec, s[0:1]
	s_cbranch_vccnz .LBB113_2317
; %bb.2316:
	global_load_ubyte v0, v[0:1], off
	s_waitcnt vmcnt(0)
	v_cvt_f32_ubyte0_e32 v12, v0
.LBB113_2317:
	s_mov_b64 s[16:17], -1
.LBB113_2318:
	s_andn2_b64 vcc, exec, s[16:17]
	s_cbranch_vccnz .LBB113_3032
; %bb.2319:
	v_add_u32_e32 v0, s13, v11
	v_ashrrev_i32_e32 v1, 31, v0
	v_mov_b32_e32 v11, s11
	v_add_co_u32_e32 v0, vcc, s10, v0
	v_addc_co_u32_e32 v1, vcc, v11, v1, vcc
	v_mov_b32_e32 v11, 11
	v_cmp_lt_i16_sdwa s[0:1], v7, v11 src0_sel:BYTE_0 src1_sel:DWORD
	s_and_b64 vcc, exec, s[0:1]
	s_cbranch_vccnz .LBB113_2326
; %bb.2320:
	v_mov_b32_e32 v11, 25
	v_cmp_gt_i16_sdwa s[0:1], v7, v11 src0_sel:BYTE_0 src1_sel:DWORD
	s_mov_b64 s[10:11], 0
	s_and_b64 vcc, exec, s[0:1]
	s_cbranch_vccz .LBB113_2327
; %bb.2321:
	v_mov_b32_e32 v11, 28
	v_cmp_gt_i16_sdwa s[0:1], v7, v11 src0_sel:BYTE_0 src1_sel:DWORD
	s_and_b64 vcc, exec, s[0:1]
	s_cbranch_vccz .LBB113_2328
; %bb.2322:
	v_mov_b32_e32 v11, 43
	v_cmp_gt_i16_sdwa s[0:1], v7, v11 src0_sel:BYTE_0 src1_sel:DWORD
	;; [unrolled: 5-line block ×3, first 2 shown]
	s_and_b64 vcc, exec, s[0:1]
	s_cbranch_vccz .LBB113_2331
; %bb.2324:
	v_mov_b32_e32 v11, 46
	v_cmp_eq_u16_sdwa s[0:1], v7, v11 src0_sel:BYTE_0 src1_sel:DWORD
	s_mov_b64 s[16:17], 0
	s_and_b64 vcc, exec, s[0:1]
	s_cbranch_vccz .LBB113_2332
; %bb.2325:
	global_load_dword v11, v[0:1], off
	s_mov_b64 s[0:1], 0
	s_mov_b64 s[14:15], -1
	s_waitcnt vmcnt(0)
	v_lshlrev_b32_e32 v11, 16, v11
	s_branch .LBB113_2333
.LBB113_2326:
	s_mov_b64 s[0:1], -1
	s_mov_b64 s[14:15], 0
                                        ; implicit-def: $vgpr11
	s_branch .LBB113_2399
.LBB113_2327:
	s_mov_b64 s[16:17], -1
	s_mov_b64 s[14:15], 0
	s_mov_b64 s[0:1], 0
                                        ; implicit-def: $vgpr11
	s_branch .LBB113_2362
.LBB113_2328:
	s_mov_b64 s[16:17], -1
	s_mov_b64 s[14:15], 0
	s_mov_b64 s[0:1], 0
                                        ; implicit-def: $vgpr11
	s_branch .LBB113_2343
.LBB113_2329:
	s_mov_b64 s[16:17], -1
	s_mov_b64 s[14:15], 0
	s_mov_b64 s[0:1], 0
                                        ; implicit-def: $vgpr11
	s_branch .LBB113_2338
.LBB113_2330:
	s_trap 2
	s_or_b64 s[18:19], s[18:19], exec
                                        ; implicit-def: $vgpr12
	s_cbranch_execz .LBB113_2267
	s_branch .LBB113_2268
.LBB113_2331:
	s_mov_b64 s[16:17], -1
	s_mov_b64 s[14:15], 0
	s_mov_b64 s[0:1], 0
                                        ; implicit-def: $vgpr11
	s_branch .LBB113_2333
.LBB113_2332:
	s_mov_b64 s[0:1], -1
                                        ; implicit-def: $vgpr11
	s_mov_b64 s[14:15], 0
.LBB113_2333:
	s_and_b64 vcc, exec, s[16:17]
	s_cbranch_vccz .LBB113_2337
; %bb.2334:
	v_mov_b32_e32 v11, 44
	v_cmp_eq_u16_sdwa s[0:1], v7, v11 src0_sel:BYTE_0 src1_sel:DWORD
	s_and_b64 vcc, exec, s[0:1]
	s_cbranch_vccz .LBB113_2336
; %bb.2335:
	global_load_ubyte v11, v[0:1], off
	s_movk_i32 s13, 0xff
	v_mov_b32_e32 v14, 0x7f800001
	v_mov_b32_e32 v15, 0x400000
	s_mov_b64 s[0:1], 0
	s_mov_b64 s[14:15], -1
	s_waitcnt vmcnt(0)
	v_lshlrev_b32_e32 v16, 23, v11
	v_cmp_ne_u32_e32 vcc, s13, v11
	v_cndmask_b32_e32 v14, v14, v16, vcc
	v_cmp_ne_u32_e32 vcc, 0, v11
	v_cndmask_b32_e32 v11, v15, v14, vcc
	s_branch .LBB113_2337
.LBB113_2336:
	s_mov_b64 s[0:1], -1
                                        ; implicit-def: $vgpr11
.LBB113_2337:
	s_mov_b64 s[16:17], 0
.LBB113_2338:
	s_and_b64 vcc, exec, s[16:17]
	s_cbranch_vccz .LBB113_2342
; %bb.2339:
	v_mov_b32_e32 v11, 29
	v_cmp_eq_u16_sdwa s[0:1], v7, v11 src0_sel:BYTE_0 src1_sel:DWORD
	s_and_b64 vcc, exec, s[0:1]
	s_cbranch_vccz .LBB113_2341
; %bb.2340:
	global_load_dwordx2 v[14:15], v[0:1], off
	s_mov_b64 s[0:1], 0
	s_mov_b64 s[14:15], -1
	s_mov_b64 s[16:17], 0
	s_waitcnt vmcnt(0)
	v_ffbh_u32_e32 v11, v15
	v_min_u32_e32 v11, 32, v11
	v_lshlrev_b64 v[14:15], v11, v[14:15]
	v_min_u32_e32 v14, 1, v14
	v_or_b32_e32 v14, v15, v14
	v_cvt_f32_u32_e32 v14, v14
	v_sub_u32_e32 v11, 32, v11
	v_ldexp_f32 v11, v14, v11
	s_branch .LBB113_2343
.LBB113_2341:
	s_mov_b64 s[0:1], -1
                                        ; implicit-def: $vgpr11
.LBB113_2342:
	s_mov_b64 s[16:17], 0
.LBB113_2343:
	s_and_b64 vcc, exec, s[16:17]
	s_cbranch_vccz .LBB113_2361
; %bb.2344:
	v_mov_b32_e32 v11, 27
	v_cmp_lt_i16_sdwa s[14:15], v7, v11 src0_sel:BYTE_0 src1_sel:DWORD
	s_and_b64 vcc, exec, s[14:15]
	s_cbranch_vccnz .LBB113_2347
; %bb.2345:
	v_cmp_gt_i16_sdwa s[14:15], v7, v11 src0_sel:BYTE_0 src1_sel:DWORD
	s_and_b64 vcc, exec, s[14:15]
	s_cbranch_vccz .LBB113_2348
; %bb.2346:
	global_load_dword v11, v[0:1], off
	s_mov_b64 s[14:15], 0
	s_waitcnt vmcnt(0)
	v_cvt_f32_u32_e32 v11, v11
	s_branch .LBB113_2349
.LBB113_2347:
	s_mov_b64 s[14:15], -1
                                        ; implicit-def: $vgpr11
	s_branch .LBB113_2352
.LBB113_2348:
	s_mov_b64 s[14:15], -1
                                        ; implicit-def: $vgpr11
.LBB113_2349:
	s_andn2_b64 vcc, exec, s[14:15]
	s_cbranch_vccnz .LBB113_2351
; %bb.2350:
	global_load_ushort v11, v[0:1], off
	s_waitcnt vmcnt(0)
	v_cvt_f32_u32_e32 v11, v11
.LBB113_2351:
	s_mov_b64 s[14:15], 0
.LBB113_2352:
	s_andn2_b64 vcc, exec, s[14:15]
	s_cbranch_vccnz .LBB113_2360
; %bb.2353:
	global_load_ubyte v14, v[0:1], off
	s_movk_i32 s13, 0x7f
	s_mov_b64 s[14:15], 0
	s_waitcnt vmcnt(0)
	v_cmp_lt_i16_e32 vcc, s13, v14
                                        ; implicit-def: $sgpr13
	s_and_saveexec_b64 s[16:17], vcc
	s_xor_b64 s[16:17], exec, s[16:17]
	s_cbranch_execz .LBB113_2374
; %bb.2354:
	s_movk_i32 s13, 0x80
	v_cmp_eq_u16_e32 vcc, s13, v14
	s_mov_b64 s[14:15], -1
                                        ; implicit-def: $sgpr13
	s_and_saveexec_b64 s[20:21], vcc
; %bb.2355:
	s_mov_b32 s13, 0x7f800001
	s_xor_b64 s[14:15], exec, -1
; %bb.2356:
	s_or_b64 exec, exec, s[20:21]
	s_and_b64 s[14:15], s[14:15], exec
	s_or_saveexec_b64 s[16:17], s[16:17]
	v_mov_b32_e32 v11, s13
	s_xor_b64 exec, exec, s[16:17]
	s_cbranch_execnz .LBB113_2375
.LBB113_2357:
	s_or_b64 exec, exec, s[16:17]
	s_and_saveexec_b64 s[16:17], s[14:15]
	s_cbranch_execz .LBB113_2359
.LBB113_2358:
	v_lshlrev_b32_e32 v11, 24, v14
	v_and_b32_e32 v14, 0xffff, v14
	v_and_b32_e32 v15, 7, v14
	v_ffbh_u32_e32 v17, v15
	v_min_u32_e32 v17, 32, v17
	v_subrev_u32_e32 v18, 28, v17
	v_bfe_u32 v16, v14, 3, 4
	v_lshlrev_b32_e32 v14, v18, v14
	v_sub_u32_e32 v17, 29, v17
	v_and_b32_e32 v14, 7, v14
	v_cmp_eq_u32_e32 vcc, 0, v16
	v_cndmask_b32_e32 v16, v16, v17, vcc
	v_cndmask_b32_e32 v14, v15, v14, vcc
	v_mov_b32_e32 v15, 0x3b800000
	v_lshlrev_b32_e32 v14, 20, v14
	v_and_b32_e32 v11, 0x80000000, v11
	v_lshl_add_u32 v15, v16, 23, v15
	v_or3_b32 v11, v11, v15, v14
.LBB113_2359:
	s_or_b64 exec, exec, s[16:17]
.LBB113_2360:
	s_mov_b64 s[14:15], -1
.LBB113_2361:
	s_mov_b64 s[16:17], 0
.LBB113_2362:
	s_and_b64 vcc, exec, s[16:17]
	s_cbranch_vccz .LBB113_2395
; %bb.2363:
	v_mov_b32_e32 v11, 22
	v_cmp_gt_i16_sdwa s[10:11], v7, v11 src0_sel:BYTE_0 src1_sel:DWORD
	s_and_b64 vcc, exec, s[10:11]
	s_cbranch_vccz .LBB113_2373
; %bb.2364:
	v_mov_b32_e32 v11, 24
	v_cmp_lt_i16_sdwa s[10:11], v7, v11 src0_sel:BYTE_0 src1_sel:DWORD
	s_and_b64 vcc, exec, s[10:11]
	s_cbranch_vccnz .LBB113_2376
; %bb.2365:
	v_cmp_gt_i16_sdwa s[10:11], v7, v11 src0_sel:BYTE_0 src1_sel:DWORD
	s_and_b64 vcc, exec, s[10:11]
	s_cbranch_vccz .LBB113_2377
; %bb.2366:
	global_load_ubyte v14, v[0:1], off
	s_movk_i32 s10, 0x7f
                                        ; implicit-def: $sgpr13
	s_waitcnt vmcnt(0)
	v_cmp_lt_i16_e32 vcc, s10, v14
	s_mov_b64 s[10:11], 0
	s_and_saveexec_b64 s[14:15], vcc
	s_xor_b64 s[14:15], exec, s[14:15]
	s_cbranch_execz .LBB113_2389
; %bb.2367:
	s_movk_i32 s10, 0x80
	v_cmp_eq_u16_e32 vcc, s10, v14
	s_mov_b64 s[10:11], -1
                                        ; implicit-def: $sgpr13
	s_and_saveexec_b64 s[16:17], vcc
; %bb.2368:
	s_mov_b32 s13, 0x7f800001
	s_xor_b64 s[10:11], exec, -1
; %bb.2369:
	s_or_b64 exec, exec, s[16:17]
	s_and_b64 s[10:11], s[10:11], exec
	s_or_saveexec_b64 s[14:15], s[14:15]
	v_mov_b32_e32 v11, s13
	s_xor_b64 exec, exec, s[14:15]
	s_cbranch_execnz .LBB113_2390
.LBB113_2370:
	s_or_b64 exec, exec, s[14:15]
	s_and_saveexec_b64 s[14:15], s[10:11]
	s_cbranch_execz .LBB113_2372
.LBB113_2371:
	v_lshlrev_b32_e32 v11, 24, v14
	v_and_b32_e32 v14, 0xffff, v14
	v_and_b32_e32 v15, 3, v14
	v_ffbh_u32_e32 v17, v15
	v_min_u32_e32 v17, 32, v17
	v_subrev_u32_e32 v18, 29, v17
	v_bfe_u32 v16, v14, 2, 5
	v_lshlrev_b32_e32 v14, v18, v14
	v_sub_u32_e32 v17, 30, v17
	v_and_b32_e32 v14, 3, v14
	v_cmp_eq_u32_e32 vcc, 0, v16
	v_cndmask_b32_e32 v16, v16, v17, vcc
	v_cndmask_b32_e32 v14, v15, v14, vcc
	v_mov_b32_e32 v15, 0x37800000
	v_lshlrev_b32_e32 v14, 21, v14
	v_and_b32_e32 v11, 0x80000000, v11
	v_lshl_add_u32 v15, v16, 23, v15
	v_or3_b32 v11, v11, v15, v14
.LBB113_2372:
	s_or_b64 exec, exec, s[14:15]
	s_mov_b64 s[10:11], 0
	s_branch .LBB113_2378
.LBB113_2373:
	s_mov_b64 s[10:11], -1
                                        ; implicit-def: $vgpr11
	s_branch .LBB113_2384
.LBB113_2374:
	s_or_saveexec_b64 s[16:17], s[16:17]
	v_mov_b32_e32 v11, s13
	s_xor_b64 exec, exec, s[16:17]
	s_cbranch_execz .LBB113_2357
.LBB113_2375:
	v_cmp_ne_u16_e32 vcc, 0, v14
	s_andn2_b64 s[14:15], s[14:15], exec
	s_and_b64 s[20:21], vcc, exec
	v_mov_b32_e32 v11, 0
	s_or_b64 s[14:15], s[14:15], s[20:21]
	s_or_b64 exec, exec, s[16:17]
	s_and_saveexec_b64 s[16:17], s[14:15]
	s_cbranch_execnz .LBB113_2358
	s_branch .LBB113_2359
.LBB113_2376:
	s_mov_b64 s[10:11], -1
                                        ; implicit-def: $vgpr11
	s_branch .LBB113_2381
.LBB113_2377:
	s_mov_b64 s[10:11], -1
                                        ; implicit-def: $vgpr11
.LBB113_2378:
	s_and_b64 vcc, exec, s[10:11]
	s_cbranch_vccz .LBB113_2380
; %bb.2379:
	global_load_ubyte v11, v[0:1], off
	s_mov_b32 s10, 0x7f800000
	s_waitcnt vmcnt(0)
	v_lshlrev_b32_e32 v11, 24, v11
	v_and_b32_e32 v14, 0x7f000000, v11
	v_ffbh_u32_e32 v15, v14
	v_min_u32_e32 v15, 32, v15
	v_sub_u32_e64 v15, v15, 4 clamp
	v_lshlrev_b32_e32 v17, v15, v14
	v_lshlrev_b32_e32 v15, 23, v15
	v_lshrrev_b32_e32 v17, 4, v17
	v_add_u32_e32 v16, 0x1000000, v14
	v_sub_u32_e32 v15, v17, v15
	v_ashrrev_i32_e32 v16, 8, v16
	v_add_u32_e32 v15, 0x3c000000, v15
	v_and_or_b32 v15, v16, s10, v15
	v_cmp_ne_u32_e32 vcc, 0, v14
	v_cndmask_b32_e32 v14, 0, v15, vcc
	s_brev_b32 s10, 1
	v_and_or_b32 v11, v11, s10, v14
.LBB113_2380:
	s_mov_b64 s[10:11], 0
.LBB113_2381:
	s_andn2_b64 vcc, exec, s[10:11]
	s_cbranch_vccnz .LBB113_2383
; %bb.2382:
	global_load_ubyte v11, v[0:1], off
	s_movk_i32 s10, 0x7f00
	s_brev_b32 s11, 16
	s_waitcnt vmcnt(0)
	v_lshlrev_b16_e32 v14, 8, v11
	v_lshlrev_b32_e32 v11, 25, v11
	v_lshrrev_b32_e32 v15, 4, v11
	v_and_or_b32 v16, v14, s10, 0.5
	v_or_b32_e32 v15, 0x70000000, v15
	v_add_f32_e32 v16, -0.5, v16
	v_mul_f32_e32 v15, 0x7800000, v15
	v_cmp_gt_u32_e32 vcc, s11, v11
	v_bfe_i32 v14, v14, 0, 16
	v_cndmask_b32_e32 v11, v15, v16, vcc
	s_brev_b32 s10, 1
	v_and_or_b32 v11, v14, s10, v11
.LBB113_2383:
	s_mov_b64 s[10:11], 0
	s_mov_b64 s[14:15], -1
.LBB113_2384:
	s_andn2_b64 vcc, exec, s[10:11]
	s_mov_b64 s[10:11], 0
	s_cbranch_vccnz .LBB113_2395
; %bb.2385:
	v_mov_b32_e32 v11, 14
	v_cmp_gt_i16_sdwa s[10:11], v7, v11 src0_sel:BYTE_0 src1_sel:DWORD
	s_and_b64 vcc, exec, s[10:11]
	s_cbranch_vccz .LBB113_2388
; %bb.2386:
	v_mov_b32_e32 v11, 15
	v_cmp_eq_u16_sdwa s[0:1], v7, v11 src0_sel:BYTE_0 src1_sel:DWORD
	s_and_b64 vcc, exec, s[0:1]
	s_cbranch_vccz .LBB113_2391
; %bb.2387:
	global_load_ushort v11, v[0:1], off
	s_mov_b64 s[0:1], 0
	s_mov_b64 s[14:15], -1
	s_waitcnt vmcnt(0)
	v_lshlrev_b32_e32 v11, 16, v11
	s_branch .LBB113_2392
.LBB113_2388:
	s_mov_b64 s[16:17], -1
                                        ; implicit-def: $vgpr11
	s_branch .LBB113_2393
.LBB113_2389:
	s_or_saveexec_b64 s[14:15], s[14:15]
	v_mov_b32_e32 v11, s13
	s_xor_b64 exec, exec, s[14:15]
	s_cbranch_execz .LBB113_2370
.LBB113_2390:
	v_cmp_ne_u16_e32 vcc, 0, v14
	s_andn2_b64 s[10:11], s[10:11], exec
	s_and_b64 s[16:17], vcc, exec
	v_mov_b32_e32 v11, 0
	s_or_b64 s[10:11], s[10:11], s[16:17]
	s_or_b64 exec, exec, s[14:15]
	s_and_saveexec_b64 s[14:15], s[10:11]
	s_cbranch_execnz .LBB113_2371
	s_branch .LBB113_2372
.LBB113_2391:
	s_mov_b64 s[0:1], -1
                                        ; implicit-def: $vgpr11
.LBB113_2392:
	s_mov_b64 s[16:17], 0
.LBB113_2393:
	s_mov_b64 s[10:11], 0
	s_and_b64 vcc, exec, s[16:17]
	s_cbranch_vccz .LBB113_2395
; %bb.2394:
	v_mov_b32_e32 v11, 11
	v_cmp_ne_u16_sdwa s[0:1], v7, v11 src0_sel:BYTE_0 src1_sel:DWORD
	s_mov_b64 s[10:11], -1
                                        ; implicit-def: $vgpr11
.LBB113_2395:
	s_and_b64 vcc, exec, s[0:1]
	s_cbranch_vccnz .LBB113_2460
; %bb.2396:
	s_andn2_b64 vcc, exec, s[10:11]
	s_cbranch_vccnz .LBB113_2398
.LBB113_2397:
	global_load_ubyte v11, v[0:1], off
	s_mov_b64 s[14:15], -1
	s_waitcnt vmcnt(0)
	v_cmp_ne_u16_e32 vcc, 0, v11
	v_cndmask_b32_e64 v11, 0, 1.0, vcc
.LBB113_2398:
	s_mov_b64 s[0:1], 0
.LBB113_2399:
	s_and_b64 vcc, exec, s[0:1]
	s_cbranch_vccz .LBB113_2448
; %bb.2400:
	v_mov_b32_e32 v11, 5
	v_cmp_lt_i16_sdwa s[0:1], v7, v11 src0_sel:BYTE_0 src1_sel:DWORD
	s_and_b64 vcc, exec, s[0:1]
	s_cbranch_vccnz .LBB113_2405
; %bb.2401:
	v_mov_b32_e32 v11, 8
	v_cmp_lt_i16_sdwa s[0:1], v7, v11 src0_sel:BYTE_0 src1_sel:DWORD
	s_and_b64 vcc, exec, s[0:1]
	s_cbranch_vccnz .LBB113_2406
	;; [unrolled: 5-line block ×3, first 2 shown]
; %bb.2403:
	v_cmp_gt_i16_sdwa s[0:1], v7, v11 src0_sel:BYTE_0 src1_sel:DWORD
	s_and_b64 vcc, exec, s[0:1]
	s_cbranch_vccz .LBB113_2408
; %bb.2404:
	global_load_dwordx2 v[14:15], v[0:1], off
	s_mov_b64 s[0:1], 0
	s_waitcnt vmcnt(0)
	v_cvt_f32_f64_e32 v11, v[14:15]
	s_branch .LBB113_2409
.LBB113_2405:
	s_mov_b64 s[0:1], -1
                                        ; implicit-def: $vgpr11
	s_branch .LBB113_2427
.LBB113_2406:
	s_mov_b64 s[0:1], -1
                                        ; implicit-def: $vgpr11
	s_branch .LBB113_2415
.LBB113_2407:
	s_mov_b64 s[0:1], -1
                                        ; implicit-def: $vgpr11
	s_branch .LBB113_2412
.LBB113_2408:
	s_mov_b64 s[0:1], -1
                                        ; implicit-def: $vgpr11
.LBB113_2409:
	s_andn2_b64 vcc, exec, s[0:1]
	s_cbranch_vccnz .LBB113_2411
; %bb.2410:
	global_load_dword v11, v[0:1], off
.LBB113_2411:
	s_mov_b64 s[0:1], 0
.LBB113_2412:
	s_andn2_b64 vcc, exec, s[0:1]
	s_cbranch_vccnz .LBB113_2414
; %bb.2413:
	global_load_dword v11, v[0:1], off
	s_waitcnt vmcnt(0)
	v_cvt_f32_f16_e32 v11, v11
.LBB113_2414:
	s_mov_b64 s[0:1], 0
.LBB113_2415:
	s_andn2_b64 vcc, exec, s[0:1]
	s_cbranch_vccnz .LBB113_2426
; %bb.2416:
	s_waitcnt vmcnt(0)
	v_mov_b32_e32 v11, 6
	v_cmp_lt_i16_sdwa s[0:1], v7, v11 src0_sel:BYTE_0 src1_sel:DWORD
	s_and_b64 vcc, exec, s[0:1]
	s_cbranch_vccnz .LBB113_2419
; %bb.2417:
	v_cmp_gt_i16_sdwa s[0:1], v7, v11 src0_sel:BYTE_0 src1_sel:DWORD
	s_and_b64 vcc, exec, s[0:1]
	s_cbranch_vccz .LBB113_2420
; %bb.2418:
	global_load_dwordx2 v[14:15], v[0:1], off
	s_mov_b64 s[0:1], 0
	s_waitcnt vmcnt(0)
	v_cvt_f32_f64_e32 v11, v[14:15]
	s_branch .LBB113_2421
.LBB113_2419:
	s_mov_b64 s[0:1], -1
                                        ; implicit-def: $vgpr11
	s_branch .LBB113_2424
.LBB113_2420:
	s_mov_b64 s[0:1], -1
                                        ; implicit-def: $vgpr11
.LBB113_2421:
	s_andn2_b64 vcc, exec, s[0:1]
	s_cbranch_vccnz .LBB113_2423
; %bb.2422:
	global_load_dword v11, v[0:1], off
.LBB113_2423:
	s_mov_b64 s[0:1], 0
.LBB113_2424:
	s_andn2_b64 vcc, exec, s[0:1]
	s_cbranch_vccnz .LBB113_2426
; %bb.2425:
	global_load_ushort v11, v[0:1], off
	s_waitcnt vmcnt(0)
	v_cvt_f32_f16_e32 v11, v11
.LBB113_2426:
	s_mov_b64 s[0:1], 0
.LBB113_2427:
	s_andn2_b64 vcc, exec, s[0:1]
	s_cbranch_vccnz .LBB113_2447
; %bb.2428:
	s_waitcnt vmcnt(0)
	v_mov_b32_e32 v11, 2
	v_cmp_lt_i16_sdwa s[0:1], v7, v11 src0_sel:BYTE_0 src1_sel:DWORD
	s_and_b64 vcc, exec, s[0:1]
	s_cbranch_vccnz .LBB113_2432
; %bb.2429:
	v_mov_b32_e32 v11, 3
	v_cmp_lt_i16_sdwa s[0:1], v7, v11 src0_sel:BYTE_0 src1_sel:DWORD
	s_and_b64 vcc, exec, s[0:1]
	s_cbranch_vccnz .LBB113_2433
; %bb.2430:
	v_cmp_gt_i16_sdwa s[0:1], v7, v11 src0_sel:BYTE_0 src1_sel:DWORD
	s_and_b64 vcc, exec, s[0:1]
	s_cbranch_vccz .LBB113_2434
; %bb.2431:
	global_load_dwordx2 v[14:15], v[0:1], off
	s_mov_b64 s[0:1], 0
	s_waitcnt vmcnt(0)
	v_xor_b32_e32 v16, v14, v15
	v_ffbh_i32_e32 v11, v15
	v_ashrrev_i32_e32 v16, 31, v16
	v_add_u32_e32 v11, -1, v11
	v_add_u32_e32 v16, 32, v16
	v_min_u32_e32 v11, v11, v16
	v_lshlrev_b64 v[14:15], v11, v[14:15]
	v_min_u32_e32 v14, 1, v14
	v_or_b32_e32 v14, v15, v14
	v_cvt_f32_i32_e32 v14, v14
	v_sub_u32_e32 v11, 32, v11
	v_ldexp_f32 v11, v14, v11
	s_branch .LBB113_2435
.LBB113_2432:
	s_mov_b64 s[0:1], -1
                                        ; implicit-def: $vgpr11
	s_branch .LBB113_2441
.LBB113_2433:
	s_mov_b64 s[0:1], -1
                                        ; implicit-def: $vgpr11
	s_branch .LBB113_2438
.LBB113_2434:
	s_mov_b64 s[0:1], -1
                                        ; implicit-def: $vgpr11
.LBB113_2435:
	s_andn2_b64 vcc, exec, s[0:1]
	s_cbranch_vccnz .LBB113_2437
; %bb.2436:
	global_load_dword v11, v[0:1], off
	s_waitcnt vmcnt(0)
	v_cvt_f32_i32_e32 v11, v11
.LBB113_2437:
	s_mov_b64 s[0:1], 0
.LBB113_2438:
	s_andn2_b64 vcc, exec, s[0:1]
	s_cbranch_vccnz .LBB113_2440
; %bb.2439:
	global_load_sshort v11, v[0:1], off
	s_waitcnt vmcnt(0)
	v_cvt_f32_i32_e32 v11, v11
.LBB113_2440:
	s_mov_b64 s[0:1], 0
.LBB113_2441:
	s_andn2_b64 vcc, exec, s[0:1]
	s_cbranch_vccnz .LBB113_2447
; %bb.2442:
	v_mov_b32_e32 v11, 0
	v_cmp_gt_i16_sdwa s[0:1], v7, v11 src0_sel:BYTE_0 src1_sel:DWORD
	s_and_b64 vcc, exec, s[0:1]
	s_cbranch_vccz .LBB113_2444
; %bb.2443:
	global_load_sbyte v7, v[0:1], off
	s_mov_b64 s[0:1], 0
	s_waitcnt vmcnt(0)
	v_cvt_f32_i32_e32 v11, v7
	s_branch .LBB113_2445
.LBB113_2444:
	s_mov_b64 s[0:1], -1
                                        ; implicit-def: $vgpr11
.LBB113_2445:
	s_andn2_b64 vcc, exec, s[0:1]
	s_cbranch_vccnz .LBB113_2447
; %bb.2446:
	global_load_ubyte v0, v[0:1], off
	s_waitcnt vmcnt(0)
	v_cvt_f32_ubyte0_e32 v11, v0
.LBB113_2447:
	s_mov_b64 s[14:15], -1
.LBB113_2448:
	s_andn2_b64 vcc, exec, s[14:15]
	s_cbranch_vccnz .LBB113_3032
; %bb.2449:
	v_add_u32_e32 v0, s24, v13
	v_ashrrev_i32_e32 v1, 31, v0
	v_mov_b32_e32 v7, s3
	v_add_co_u32_e32 v0, vcc, s2, v0
	v_addc_co_u32_e32 v1, vcc, v7, v1, vcc
	v_mov_b32_e32 v7, 11
	v_cmp_lt_i16_sdwa s[0:1], v6, v7 src0_sel:BYTE_0 src1_sel:DWORD
	s_and_b64 vcc, exec, s[0:1]
	s_cbranch_vccnz .LBB113_2456
; %bb.2450:
	v_mov_b32_e32 v7, 25
	v_cmp_gt_i16_sdwa s[0:1], v6, v7 src0_sel:BYTE_0 src1_sel:DWORD
	s_mov_b64 s[2:3], 0
	s_and_b64 vcc, exec, s[0:1]
	s_cbranch_vccz .LBB113_2457
; %bb.2451:
	v_mov_b32_e32 v7, 28
	v_cmp_gt_i16_sdwa s[0:1], v6, v7 src0_sel:BYTE_0 src1_sel:DWORD
	s_and_b64 vcc, exec, s[0:1]
	s_cbranch_vccz .LBB113_2458
; %bb.2452:
	v_mov_b32_e32 v7, 43
	v_cmp_gt_i16_sdwa s[0:1], v6, v7 src0_sel:BYTE_0 src1_sel:DWORD
	;; [unrolled: 5-line block ×3, first 2 shown]
	s_and_b64 vcc, exec, s[0:1]
	s_cbranch_vccz .LBB113_2461
; %bb.2454:
	v_mov_b32_e32 v7, 46
	v_cmp_eq_u16_sdwa s[0:1], v6, v7 src0_sel:BYTE_0 src1_sel:DWORD
	s_mov_b64 s[14:15], 0
	s_and_b64 vcc, exec, s[0:1]
	s_cbranch_vccz .LBB113_2462
; %bb.2455:
	global_load_dword v7, v[0:1], off
	s_mov_b64 s[0:1], 0
	s_mov_b64 s[10:11], -1
	s_waitcnt vmcnt(0)
	v_lshlrev_b32_e32 v7, 16, v7
	s_branch .LBB113_2463
.LBB113_2456:
	s_mov_b64 s[0:1], -1
	s_mov_b64 s[10:11], 0
                                        ; implicit-def: $vgpr7
	s_branch .LBB113_2529
.LBB113_2457:
	s_mov_b64 s[14:15], -1
	s_mov_b64 s[10:11], 0
	s_mov_b64 s[0:1], 0
                                        ; implicit-def: $vgpr7
	s_branch .LBB113_2492
.LBB113_2458:
	s_mov_b64 s[14:15], -1
	s_mov_b64 s[10:11], 0
	s_mov_b64 s[0:1], 0
                                        ; implicit-def: $vgpr7
	s_branch .LBB113_2473
.LBB113_2459:
	s_mov_b64 s[14:15], -1
	s_mov_b64 s[10:11], 0
	s_mov_b64 s[0:1], 0
                                        ; implicit-def: $vgpr7
	s_branch .LBB113_2468
.LBB113_2460:
	s_trap 2
	s_or_b64 s[18:19], s[18:19], exec
                                        ; implicit-def: $vgpr11
	s_cbranch_execz .LBB113_2397
	s_branch .LBB113_2398
.LBB113_2461:
	s_mov_b64 s[14:15], -1
	s_mov_b64 s[10:11], 0
	s_mov_b64 s[0:1], 0
                                        ; implicit-def: $vgpr7
	s_branch .LBB113_2463
.LBB113_2462:
	s_mov_b64 s[0:1], -1
                                        ; implicit-def: $vgpr7
	s_mov_b64 s[10:11], 0
.LBB113_2463:
	s_and_b64 vcc, exec, s[14:15]
	s_cbranch_vccz .LBB113_2467
; %bb.2464:
	v_mov_b32_e32 v7, 44
	v_cmp_eq_u16_sdwa s[0:1], v6, v7 src0_sel:BYTE_0 src1_sel:DWORD
	s_and_b64 vcc, exec, s[0:1]
	s_cbranch_vccz .LBB113_2466
; %bb.2465:
	global_load_ubyte v7, v[0:1], off
	s_movk_i32 s10, 0xff
	v_mov_b32_e32 v13, 0x7f800001
	v_mov_b32_e32 v14, 0x400000
	s_mov_b64 s[0:1], 0
	s_waitcnt vmcnt(0)
	v_lshlrev_b32_e32 v15, 23, v7
	v_cmp_ne_u32_e32 vcc, s10, v7
	v_cndmask_b32_e32 v13, v13, v15, vcc
	v_cmp_ne_u32_e32 vcc, 0, v7
	v_cndmask_b32_e32 v7, v14, v13, vcc
	s_mov_b64 s[10:11], -1
	s_branch .LBB113_2467
.LBB113_2466:
	s_mov_b64 s[0:1], -1
                                        ; implicit-def: $vgpr7
.LBB113_2467:
	s_mov_b64 s[14:15], 0
.LBB113_2468:
	s_and_b64 vcc, exec, s[14:15]
	s_cbranch_vccz .LBB113_2472
; %bb.2469:
	v_mov_b32_e32 v7, 29
	v_cmp_eq_u16_sdwa s[0:1], v6, v7 src0_sel:BYTE_0 src1_sel:DWORD
	s_and_b64 vcc, exec, s[0:1]
	s_cbranch_vccz .LBB113_2471
; %bb.2470:
	global_load_dwordx2 v[14:15], v[0:1], off
	s_mov_b64 s[0:1], 0
	s_mov_b64 s[10:11], -1
	s_mov_b64 s[14:15], 0
	s_waitcnt vmcnt(0)
	v_ffbh_u32_e32 v7, v15
	v_min_u32_e32 v7, 32, v7
	v_lshlrev_b64 v[14:15], v7, v[14:15]
	v_min_u32_e32 v13, 1, v14
	v_or_b32_e32 v13, v15, v13
	v_cvt_f32_u32_e32 v13, v13
	v_sub_u32_e32 v7, 32, v7
	v_ldexp_f32 v7, v13, v7
	s_branch .LBB113_2473
.LBB113_2471:
	s_mov_b64 s[0:1], -1
                                        ; implicit-def: $vgpr7
.LBB113_2472:
	s_mov_b64 s[14:15], 0
.LBB113_2473:
	s_and_b64 vcc, exec, s[14:15]
	s_cbranch_vccz .LBB113_2491
; %bb.2474:
	v_mov_b32_e32 v7, 27
	v_cmp_lt_i16_sdwa s[10:11], v6, v7 src0_sel:BYTE_0 src1_sel:DWORD
	s_and_b64 vcc, exec, s[10:11]
	s_cbranch_vccnz .LBB113_2477
; %bb.2475:
	v_cmp_gt_i16_sdwa s[10:11], v6, v7 src0_sel:BYTE_0 src1_sel:DWORD
	s_and_b64 vcc, exec, s[10:11]
	s_cbranch_vccz .LBB113_2478
; %bb.2476:
	global_load_dword v7, v[0:1], off
	s_mov_b64 s[10:11], 0
	s_waitcnt vmcnt(0)
	v_cvt_f32_u32_e32 v7, v7
	s_branch .LBB113_2479
.LBB113_2477:
	s_mov_b64 s[10:11], -1
                                        ; implicit-def: $vgpr7
	s_branch .LBB113_2482
.LBB113_2478:
	s_mov_b64 s[10:11], -1
                                        ; implicit-def: $vgpr7
.LBB113_2479:
	s_andn2_b64 vcc, exec, s[10:11]
	s_cbranch_vccnz .LBB113_2481
; %bb.2480:
	global_load_ushort v7, v[0:1], off
	s_waitcnt vmcnt(0)
	v_cvt_f32_u32_e32 v7, v7
.LBB113_2481:
	s_mov_b64 s[10:11], 0
.LBB113_2482:
	s_andn2_b64 vcc, exec, s[10:11]
	s_cbranch_vccnz .LBB113_2490
; %bb.2483:
	global_load_ubyte v13, v[0:1], off
	s_movk_i32 s10, 0x7f
                                        ; implicit-def: $sgpr13
	s_waitcnt vmcnt(0)
	v_cmp_lt_i16_e32 vcc, s10, v13
	s_mov_b64 s[10:11], 0
	s_and_saveexec_b64 s[14:15], vcc
	s_xor_b64 s[14:15], exec, s[14:15]
	s_cbranch_execz .LBB113_2504
; %bb.2484:
	s_movk_i32 s10, 0x80
	v_cmp_eq_u16_e32 vcc, s10, v13
	s_mov_b64 s[10:11], -1
                                        ; implicit-def: $sgpr13
	s_and_saveexec_b64 s[16:17], vcc
; %bb.2485:
	s_mov_b32 s13, 0x7f800001
	s_xor_b64 s[10:11], exec, -1
; %bb.2486:
	s_or_b64 exec, exec, s[16:17]
	s_and_b64 s[10:11], s[10:11], exec
	s_or_saveexec_b64 s[14:15], s[14:15]
	v_mov_b32_e32 v7, s13
	s_xor_b64 exec, exec, s[14:15]
	s_cbranch_execnz .LBB113_2505
.LBB113_2487:
	s_or_b64 exec, exec, s[14:15]
	s_and_saveexec_b64 s[14:15], s[10:11]
	s_cbranch_execz .LBB113_2489
.LBB113_2488:
	v_lshlrev_b32_e32 v7, 24, v13
	v_and_b32_e32 v13, 0xffff, v13
	v_and_b32_e32 v14, 7, v13
	v_ffbh_u32_e32 v16, v14
	v_min_u32_e32 v16, 32, v16
	v_subrev_u32_e32 v17, 28, v16
	v_bfe_u32 v15, v13, 3, 4
	v_lshlrev_b32_e32 v13, v17, v13
	v_sub_u32_e32 v16, 29, v16
	v_and_b32_e32 v13, 7, v13
	v_cmp_eq_u32_e32 vcc, 0, v15
	v_cndmask_b32_e32 v15, v15, v16, vcc
	v_cndmask_b32_e32 v13, v14, v13, vcc
	v_mov_b32_e32 v14, 0x3b800000
	v_lshlrev_b32_e32 v13, 20, v13
	v_and_b32_e32 v7, 0x80000000, v7
	v_lshl_add_u32 v14, v15, 23, v14
	v_or3_b32 v7, v7, v14, v13
.LBB113_2489:
	s_or_b64 exec, exec, s[14:15]
.LBB113_2490:
	s_mov_b64 s[10:11], -1
.LBB113_2491:
	s_mov_b64 s[14:15], 0
.LBB113_2492:
	s_and_b64 vcc, exec, s[14:15]
	s_cbranch_vccz .LBB113_2525
; %bb.2493:
	v_mov_b32_e32 v7, 22
	v_cmp_gt_i16_sdwa s[2:3], v6, v7 src0_sel:BYTE_0 src1_sel:DWORD
	s_and_b64 vcc, exec, s[2:3]
	s_cbranch_vccz .LBB113_2503
; %bb.2494:
	v_mov_b32_e32 v7, 24
	v_cmp_lt_i16_sdwa s[2:3], v6, v7 src0_sel:BYTE_0 src1_sel:DWORD
	s_and_b64 vcc, exec, s[2:3]
	s_cbranch_vccnz .LBB113_2506
; %bb.2495:
	v_cmp_gt_i16_sdwa s[2:3], v6, v7 src0_sel:BYTE_0 src1_sel:DWORD
	s_and_b64 vcc, exec, s[2:3]
	s_cbranch_vccz .LBB113_2507
; %bb.2496:
	global_load_ubyte v13, v[0:1], off
	s_movk_i32 s2, 0x7f
                                        ; implicit-def: $sgpr13
	s_waitcnt vmcnt(0)
	v_cmp_lt_i16_e32 vcc, s2, v13
	s_mov_b64 s[2:3], 0
	s_and_saveexec_b64 s[10:11], vcc
	s_xor_b64 s[10:11], exec, s[10:11]
	s_cbranch_execz .LBB113_2519
; %bb.2497:
	s_movk_i32 s2, 0x80
	v_cmp_eq_u16_e32 vcc, s2, v13
	s_mov_b64 s[2:3], -1
                                        ; implicit-def: $sgpr13
	s_and_saveexec_b64 s[14:15], vcc
; %bb.2498:
	s_mov_b32 s13, 0x7f800001
	s_xor_b64 s[2:3], exec, -1
; %bb.2499:
	s_or_b64 exec, exec, s[14:15]
	s_and_b64 s[2:3], s[2:3], exec
	s_or_saveexec_b64 s[10:11], s[10:11]
	v_mov_b32_e32 v7, s13
	s_xor_b64 exec, exec, s[10:11]
	s_cbranch_execnz .LBB113_2520
.LBB113_2500:
	s_or_b64 exec, exec, s[10:11]
	s_and_saveexec_b64 s[10:11], s[2:3]
	s_cbranch_execz .LBB113_2502
.LBB113_2501:
	v_lshlrev_b32_e32 v7, 24, v13
	v_and_b32_e32 v13, 0xffff, v13
	v_and_b32_e32 v14, 3, v13
	v_ffbh_u32_e32 v16, v14
	v_min_u32_e32 v16, 32, v16
	v_subrev_u32_e32 v17, 29, v16
	v_bfe_u32 v15, v13, 2, 5
	v_lshlrev_b32_e32 v13, v17, v13
	v_sub_u32_e32 v16, 30, v16
	v_and_b32_e32 v13, 3, v13
	v_cmp_eq_u32_e32 vcc, 0, v15
	v_cndmask_b32_e32 v15, v15, v16, vcc
	v_cndmask_b32_e32 v13, v14, v13, vcc
	v_mov_b32_e32 v14, 0x37800000
	v_lshlrev_b32_e32 v13, 21, v13
	v_and_b32_e32 v7, 0x80000000, v7
	v_lshl_add_u32 v14, v15, 23, v14
	v_or3_b32 v7, v7, v14, v13
.LBB113_2502:
	s_or_b64 exec, exec, s[10:11]
	s_mov_b64 s[2:3], 0
	s_branch .LBB113_2508
.LBB113_2503:
	s_mov_b64 s[2:3], -1
                                        ; implicit-def: $vgpr7
	s_branch .LBB113_2514
.LBB113_2504:
	s_or_saveexec_b64 s[14:15], s[14:15]
	v_mov_b32_e32 v7, s13
	s_xor_b64 exec, exec, s[14:15]
	s_cbranch_execz .LBB113_2487
.LBB113_2505:
	v_cmp_ne_u16_e32 vcc, 0, v13
	s_andn2_b64 s[10:11], s[10:11], exec
	s_and_b64 s[16:17], vcc, exec
	v_mov_b32_e32 v7, 0
	s_or_b64 s[10:11], s[10:11], s[16:17]
	s_or_b64 exec, exec, s[14:15]
	s_and_saveexec_b64 s[14:15], s[10:11]
	s_cbranch_execnz .LBB113_2488
	s_branch .LBB113_2489
.LBB113_2506:
	s_mov_b64 s[2:3], -1
                                        ; implicit-def: $vgpr7
	s_branch .LBB113_2511
.LBB113_2507:
	s_mov_b64 s[2:3], -1
                                        ; implicit-def: $vgpr7
.LBB113_2508:
	s_and_b64 vcc, exec, s[2:3]
	s_cbranch_vccz .LBB113_2510
; %bb.2509:
	global_load_ubyte v7, v[0:1], off
	s_mov_b32 s2, 0x7f800000
	s_waitcnt vmcnt(0)
	v_lshlrev_b32_e32 v7, 24, v7
	v_and_b32_e32 v13, 0x7f000000, v7
	v_ffbh_u32_e32 v14, v13
	v_min_u32_e32 v14, 32, v14
	v_sub_u32_e64 v14, v14, 4 clamp
	v_lshlrev_b32_e32 v16, v14, v13
	v_lshlrev_b32_e32 v14, 23, v14
	v_lshrrev_b32_e32 v16, 4, v16
	v_add_u32_e32 v15, 0x1000000, v13
	v_sub_u32_e32 v14, v16, v14
	v_ashrrev_i32_e32 v15, 8, v15
	v_add_u32_e32 v14, 0x3c000000, v14
	v_and_or_b32 v14, v15, s2, v14
	v_cmp_ne_u32_e32 vcc, 0, v13
	v_cndmask_b32_e32 v13, 0, v14, vcc
	s_brev_b32 s2, 1
	v_and_or_b32 v7, v7, s2, v13
.LBB113_2510:
	s_mov_b64 s[2:3], 0
.LBB113_2511:
	s_andn2_b64 vcc, exec, s[2:3]
	s_cbranch_vccnz .LBB113_2513
; %bb.2512:
	global_load_ubyte v7, v[0:1], off
	s_movk_i32 s2, 0x7f00
	s_brev_b32 s3, 16
	s_waitcnt vmcnt(0)
	v_lshlrev_b16_e32 v13, 8, v7
	v_lshlrev_b32_e32 v7, 25, v7
	v_lshrrev_b32_e32 v14, 4, v7
	v_and_or_b32 v15, v13, s2, 0.5
	v_or_b32_e32 v14, 0x70000000, v14
	v_add_f32_e32 v15, -0.5, v15
	v_mul_f32_e32 v14, 0x7800000, v14
	v_cmp_gt_u32_e32 vcc, s3, v7
	v_bfe_i32 v13, v13, 0, 16
	v_cndmask_b32_e32 v7, v14, v15, vcc
	s_brev_b32 s2, 1
	v_and_or_b32 v7, v13, s2, v7
.LBB113_2513:
	s_mov_b64 s[2:3], 0
	s_mov_b64 s[10:11], -1
.LBB113_2514:
	s_andn2_b64 vcc, exec, s[2:3]
	s_mov_b64 s[2:3], 0
	s_cbranch_vccnz .LBB113_2525
; %bb.2515:
	v_mov_b32_e32 v7, 14
	v_cmp_gt_i16_sdwa s[2:3], v6, v7 src0_sel:BYTE_0 src1_sel:DWORD
	s_and_b64 vcc, exec, s[2:3]
	s_cbranch_vccz .LBB113_2518
; %bb.2516:
	v_mov_b32_e32 v7, 15
	v_cmp_eq_u16_sdwa s[0:1], v6, v7 src0_sel:BYTE_0 src1_sel:DWORD
	s_and_b64 vcc, exec, s[0:1]
	s_cbranch_vccz .LBB113_2521
; %bb.2517:
	global_load_ushort v7, v[0:1], off
	s_mov_b64 s[0:1], 0
	s_mov_b64 s[10:11], -1
	s_waitcnt vmcnt(0)
	v_lshlrev_b32_e32 v7, 16, v7
	s_branch .LBB113_2522
.LBB113_2518:
	s_mov_b64 s[14:15], -1
                                        ; implicit-def: $vgpr7
	s_branch .LBB113_2523
.LBB113_2519:
	s_or_saveexec_b64 s[10:11], s[10:11]
	v_mov_b32_e32 v7, s13
	s_xor_b64 exec, exec, s[10:11]
	s_cbranch_execz .LBB113_2500
.LBB113_2520:
	v_cmp_ne_u16_e32 vcc, 0, v13
	s_andn2_b64 s[2:3], s[2:3], exec
	s_and_b64 s[14:15], vcc, exec
	v_mov_b32_e32 v7, 0
	s_or_b64 s[2:3], s[2:3], s[14:15]
	s_or_b64 exec, exec, s[10:11]
	s_and_saveexec_b64 s[10:11], s[2:3]
	s_cbranch_execnz .LBB113_2501
	s_branch .LBB113_2502
.LBB113_2521:
	s_mov_b64 s[0:1], -1
                                        ; implicit-def: $vgpr7
.LBB113_2522:
	s_mov_b64 s[14:15], 0
.LBB113_2523:
	s_mov_b64 s[2:3], 0
	s_and_b64 vcc, exec, s[14:15]
	s_cbranch_vccz .LBB113_2525
; %bb.2524:
	v_mov_b32_e32 v7, 11
	v_cmp_ne_u16_sdwa s[0:1], v6, v7 src0_sel:BYTE_0 src1_sel:DWORD
	s_mov_b64 s[2:3], -1
                                        ; implicit-def: $vgpr7
.LBB113_2525:
	s_and_b64 vcc, exec, s[0:1]
	s_cbranch_vccnz .LBB113_2589
; %bb.2526:
	s_andn2_b64 vcc, exec, s[2:3]
	s_cbranch_vccnz .LBB113_2528
.LBB113_2527:
	global_load_ubyte v7, v[0:1], off
	s_mov_b64 s[10:11], -1
	s_waitcnt vmcnt(0)
	v_cmp_ne_u16_e32 vcc, 0, v7
	v_cndmask_b32_e64 v7, 0, 1.0, vcc
.LBB113_2528:
	s_mov_b64 s[0:1], 0
.LBB113_2529:
	s_and_b64 vcc, exec, s[0:1]
	s_cbranch_vccz .LBB113_2578
; %bb.2530:
	v_mov_b32_e32 v7, 5
	v_cmp_lt_i16_sdwa s[0:1], v6, v7 src0_sel:BYTE_0 src1_sel:DWORD
	s_and_b64 vcc, exec, s[0:1]
	s_cbranch_vccnz .LBB113_2535
; %bb.2531:
	v_mov_b32_e32 v7, 8
	v_cmp_lt_i16_sdwa s[0:1], v6, v7 src0_sel:BYTE_0 src1_sel:DWORD
	s_and_b64 vcc, exec, s[0:1]
	s_cbranch_vccnz .LBB113_2536
	;; [unrolled: 5-line block ×3, first 2 shown]
; %bb.2533:
	v_cmp_gt_i16_sdwa s[0:1], v6, v7 src0_sel:BYTE_0 src1_sel:DWORD
	s_and_b64 vcc, exec, s[0:1]
	s_cbranch_vccz .LBB113_2538
; %bb.2534:
	global_load_dwordx2 v[14:15], v[0:1], off
	s_mov_b64 s[0:1], 0
	s_waitcnt vmcnt(0)
	v_cvt_f32_f64_e32 v7, v[14:15]
	s_branch .LBB113_2539
.LBB113_2535:
	s_mov_b64 s[0:1], -1
                                        ; implicit-def: $vgpr7
	s_branch .LBB113_2557
.LBB113_2536:
	s_mov_b64 s[0:1], -1
                                        ; implicit-def: $vgpr7
	s_branch .LBB113_2545
.LBB113_2537:
	s_mov_b64 s[0:1], -1
                                        ; implicit-def: $vgpr7
	s_branch .LBB113_2542
.LBB113_2538:
	s_mov_b64 s[0:1], -1
                                        ; implicit-def: $vgpr7
.LBB113_2539:
	s_andn2_b64 vcc, exec, s[0:1]
	s_cbranch_vccnz .LBB113_2541
; %bb.2540:
	global_load_dword v7, v[0:1], off
.LBB113_2541:
	s_mov_b64 s[0:1], 0
.LBB113_2542:
	s_andn2_b64 vcc, exec, s[0:1]
	s_cbranch_vccnz .LBB113_2544
; %bb.2543:
	global_load_dword v7, v[0:1], off
	s_waitcnt vmcnt(0)
	v_cvt_f32_f16_e32 v7, v7
.LBB113_2544:
	s_mov_b64 s[0:1], 0
.LBB113_2545:
	s_andn2_b64 vcc, exec, s[0:1]
	s_cbranch_vccnz .LBB113_2556
; %bb.2546:
	s_waitcnt vmcnt(0)
	v_mov_b32_e32 v7, 6
	v_cmp_lt_i16_sdwa s[0:1], v6, v7 src0_sel:BYTE_0 src1_sel:DWORD
	s_and_b64 vcc, exec, s[0:1]
	s_cbranch_vccnz .LBB113_2549
; %bb.2547:
	v_cmp_gt_i16_sdwa s[0:1], v6, v7 src0_sel:BYTE_0 src1_sel:DWORD
	s_and_b64 vcc, exec, s[0:1]
	s_cbranch_vccz .LBB113_2550
; %bb.2548:
	global_load_dwordx2 v[14:15], v[0:1], off
	s_mov_b64 s[0:1], 0
	s_waitcnt vmcnt(0)
	v_cvt_f32_f64_e32 v7, v[14:15]
	s_branch .LBB113_2551
.LBB113_2549:
	s_mov_b64 s[0:1], -1
                                        ; implicit-def: $vgpr7
	s_branch .LBB113_2554
.LBB113_2550:
	s_mov_b64 s[0:1], -1
                                        ; implicit-def: $vgpr7
.LBB113_2551:
	s_andn2_b64 vcc, exec, s[0:1]
	s_cbranch_vccnz .LBB113_2553
; %bb.2552:
	global_load_dword v7, v[0:1], off
.LBB113_2553:
	s_mov_b64 s[0:1], 0
.LBB113_2554:
	s_andn2_b64 vcc, exec, s[0:1]
	s_cbranch_vccnz .LBB113_2556
; %bb.2555:
	global_load_ushort v7, v[0:1], off
	s_waitcnt vmcnt(0)
	v_cvt_f32_f16_e32 v7, v7
.LBB113_2556:
	s_mov_b64 s[0:1], 0
.LBB113_2557:
	s_andn2_b64 vcc, exec, s[0:1]
	s_cbranch_vccnz .LBB113_2577
; %bb.2558:
	s_waitcnt vmcnt(0)
	v_mov_b32_e32 v7, 2
	v_cmp_lt_i16_sdwa s[0:1], v6, v7 src0_sel:BYTE_0 src1_sel:DWORD
	s_and_b64 vcc, exec, s[0:1]
	s_cbranch_vccnz .LBB113_2562
; %bb.2559:
	v_mov_b32_e32 v7, 3
	v_cmp_lt_i16_sdwa s[0:1], v6, v7 src0_sel:BYTE_0 src1_sel:DWORD
	s_and_b64 vcc, exec, s[0:1]
	s_cbranch_vccnz .LBB113_2563
; %bb.2560:
	v_cmp_gt_i16_sdwa s[0:1], v6, v7 src0_sel:BYTE_0 src1_sel:DWORD
	s_and_b64 vcc, exec, s[0:1]
	s_cbranch_vccz .LBB113_2564
; %bb.2561:
	global_load_dwordx2 v[14:15], v[0:1], off
	s_mov_b64 s[0:1], 0
	s_waitcnt vmcnt(0)
	v_xor_b32_e32 v13, v14, v15
	v_ffbh_i32_e32 v7, v15
	v_ashrrev_i32_e32 v13, 31, v13
	v_add_u32_e32 v7, -1, v7
	v_add_u32_e32 v13, 32, v13
	v_min_u32_e32 v7, v7, v13
	v_lshlrev_b64 v[14:15], v7, v[14:15]
	v_min_u32_e32 v13, 1, v14
	v_or_b32_e32 v13, v15, v13
	v_cvt_f32_i32_e32 v13, v13
	v_sub_u32_e32 v7, 32, v7
	v_ldexp_f32 v7, v13, v7
	s_branch .LBB113_2565
.LBB113_2562:
	s_mov_b64 s[0:1], -1
                                        ; implicit-def: $vgpr7
	s_branch .LBB113_2571
.LBB113_2563:
	s_mov_b64 s[0:1], -1
                                        ; implicit-def: $vgpr7
	s_branch .LBB113_2568
.LBB113_2564:
	s_mov_b64 s[0:1], -1
                                        ; implicit-def: $vgpr7
.LBB113_2565:
	s_andn2_b64 vcc, exec, s[0:1]
	s_cbranch_vccnz .LBB113_2567
; %bb.2566:
	global_load_dword v7, v[0:1], off
	s_waitcnt vmcnt(0)
	v_cvt_f32_i32_e32 v7, v7
.LBB113_2567:
	s_mov_b64 s[0:1], 0
.LBB113_2568:
	s_andn2_b64 vcc, exec, s[0:1]
	s_cbranch_vccnz .LBB113_2570
; %bb.2569:
	global_load_sshort v7, v[0:1], off
	s_waitcnt vmcnt(0)
	v_cvt_f32_i32_e32 v7, v7
.LBB113_2570:
	s_mov_b64 s[0:1], 0
.LBB113_2571:
	s_andn2_b64 vcc, exec, s[0:1]
	s_cbranch_vccnz .LBB113_2577
; %bb.2572:
	v_mov_b32_e32 v7, 0
	v_cmp_gt_i16_sdwa s[0:1], v6, v7 src0_sel:BYTE_0 src1_sel:DWORD
	s_and_b64 vcc, exec, s[0:1]
	s_cbranch_vccz .LBB113_2574
; %bb.2573:
	global_load_sbyte v6, v[0:1], off
	s_mov_b64 s[0:1], 0
	s_waitcnt vmcnt(0)
	v_cvt_f32_i32_e32 v7, v6
	s_branch .LBB113_2575
.LBB113_2574:
	s_mov_b64 s[0:1], -1
                                        ; implicit-def: $vgpr7
.LBB113_2575:
	s_andn2_b64 vcc, exec, s[0:1]
	s_cbranch_vccnz .LBB113_2577
; %bb.2576:
	global_load_ubyte v0, v[0:1], off
	s_waitcnt vmcnt(0)
	v_cvt_f32_ubyte0_e32 v7, v0
.LBB113_2577:
	s_mov_b64 s[10:11], -1
.LBB113_2578:
	s_andn2_b64 vcc, exec, s[10:11]
	s_cbranch_vccnz .LBB113_3032
; %bb.2579:
	v_mul_lo_u32 v5, s12, v5
	v_ashrrev_i32_e32 v1, 31, v5
	v_mov_b32_e32 v6, s9
	v_add_co_u32_e32 v0, vcc, s8, v5
	s_brev_b32 s0, -2
	v_addc_co_u32_e32 v1, vcc, v6, v1, vcc
	v_mov_b32_e32 v6, 11
	s_waitcnt vmcnt(0)
	v_bfi_b32 v2, s0, v3, v2
	v_cmp_lt_i16_sdwa s[0:1], v4, v6 src0_sel:BYTE_0 src1_sel:DWORD
	s_and_b64 vcc, exec, s[0:1]
	s_cbranch_vccnz .LBB113_2586
; %bb.2580:
	v_mov_b32_e32 v6, 25
	v_cmp_gt_i16_sdwa s[0:1], v4, v6 src0_sel:BYTE_0 src1_sel:DWORD
	s_mov_b64 s[14:15], -1
	s_mov_b64 s[2:3], 0
	s_and_b64 vcc, exec, s[0:1]
	s_mov_b64 s[10:11], 0
	s_mov_b64 s[0:1], 0
	s_cbranch_vccz .LBB113_2618
; %bb.2581:
	v_mov_b32_e32 v6, 28
	v_cmp_gt_i16_sdwa s[0:1], v4, v6 src0_sel:BYTE_0 src1_sel:DWORD
	s_and_b64 vcc, exec, s[0:1]
	s_cbranch_vccz .LBB113_2587
; %bb.2582:
	v_mov_b32_e32 v6, 43
	v_cmp_gt_i16_sdwa s[0:1], v4, v6 src0_sel:BYTE_0 src1_sel:DWORD
	s_and_b64 vcc, exec, s[0:1]
	;; [unrolled: 5-line block ×3, first 2 shown]
	s_cbranch_vccz .LBB113_2590
; %bb.2584:
	v_mov_b32_e32 v6, 46
	v_cmp_eq_u16_sdwa s[10:11], v4, v6 src0_sel:BYTE_0 src1_sel:DWORD
	s_mov_b64 s[0:1], -1
	s_mov_b64 s[14:15], 0
	s_and_b64 vcc, exec, s[10:11]
	s_mov_b64 s[10:11], 0
	s_cbranch_vccz .LBB113_2591
; %bb.2585:
	v_bfe_u32 v6, v2, 16, 1
	s_movk_i32 s0, 0x7fff
	v_add3_u32 v6, v2, v6, s0
	v_lshrrev_b32_e32 v6, 16, v6
	v_mov_b32_e32 v13, 0x7fc0
	v_cmp_o_f32_e32 vcc, v2, v2
	v_cndmask_b32_e32 v6, v13, v6, vcc
	global_store_dword v[0:1], v6, off
	s_mov_b64 s[0:1], 0
	s_mov_b64 s[10:11], -1
	s_branch .LBB113_2591
.LBB113_2586:
	s_mov_b64 s[0:1], -1
	s_mov_b64 s[10:11], 0
	s_branch .LBB113_2662
.LBB113_2587:
	s_mov_b64 s[0:1], 0
	s_branch .LBB113_2601
.LBB113_2588:
	s_mov_b64 s[0:1], 0
	s_branch .LBB113_2597
.LBB113_2589:
	s_trap 2
	s_or_b64 s[18:19], s[18:19], exec
                                        ; implicit-def: $vgpr7
	s_cbranch_execz .LBB113_2527
	s_branch .LBB113_2528
.LBB113_2590:
	s_mov_b64 s[0:1], 0
.LBB113_2591:
	s_and_b64 vcc, exec, s[14:15]
	s_cbranch_vccz .LBB113_2596
; %bb.2592:
	v_mov_b32_e32 v6, 44
	v_cmp_eq_u16_sdwa s[14:15], v4, v6 src0_sel:BYTE_0 src1_sel:DWORD
	s_mov_b64 s[0:1], -1
	s_and_b64 vcc, exec, s[14:15]
	s_cbranch_vccz .LBB113_2596
; %bb.2593:
	v_bfe_u32 v6, v2, 23, 8
	s_movk_i32 s0, 0xff
	v_cmp_ne_u32_e32 vcc, s0, v6
	v_mov_b32_e32 v13, 0xff
	s_and_saveexec_b64 s[10:11], vcc
; %bb.2594:
	s_mov_b32 s0, 0x3fffff
	v_and_b32_e32 v14, 0x400000, v2
	v_and_or_b32 v6, v2, s0, v6
	v_cmp_ne_u32_e32 vcc, 0, v14
	v_cmp_ne_u32_e64 s[0:1], 0, v6
	s_and_b64 s[0:1], vcc, s[0:1]
	v_lshrrev_b32_e32 v13, 23, v2
	v_cndmask_b32_e64 v6, 0, 1, s[0:1]
	v_add_u32_e32 v13, v13, v6
; %bb.2595:
	s_or_b64 exec, exec, s[10:11]
	s_mov_b64 s[0:1], 0
	s_mov_b64 s[10:11], -1
	global_store_byte v[0:1], v13, off
.LBB113_2596:
	s_mov_b64 s[14:15], 0
.LBB113_2597:
	s_and_b64 vcc, exec, s[14:15]
	s_cbranch_vccz .LBB113_2600
; %bb.2598:
	v_mov_b32_e32 v6, 29
	v_cmp_eq_u16_sdwa s[14:15], v4, v6 src0_sel:BYTE_0 src1_sel:DWORD
	s_mov_b64 s[0:1], -1
	s_and_b64 vcc, exec, s[14:15]
	s_cbranch_vccz .LBB113_2600
; %bb.2599:
	v_trunc_f32_e32 v6, v2
	v_mul_f32_e32 v13, 0x2f800000, v6
	v_floor_f32_e32 v13, v13
	v_fmac_f32_e32 v6, 0xcf800000, v13
	v_cvt_u32_f32_e32 v15, v13
	v_cvt_u32_f32_e32 v14, v6
	s_mov_b64 s[0:1], 0
	s_mov_b64 s[10:11], -1
	s_mov_b64 s[14:15], 0
	global_store_dwordx2 v[0:1], v[14:15], off
	s_branch .LBB113_2601
.LBB113_2600:
	s_mov_b64 s[14:15], 0
.LBB113_2601:
	s_and_b64 vcc, exec, s[14:15]
	s_cbranch_vccz .LBB113_2617
; %bb.2602:
	v_mov_b32_e32 v6, 27
	v_cmp_lt_i16_sdwa s[14:15], v4, v6 src0_sel:BYTE_0 src1_sel:DWORD
	s_mov_b64 s[10:11], -1
	s_and_b64 vcc, exec, s[14:15]
	s_cbranch_vccnz .LBB113_2608
; %bb.2603:
	v_cmp_gt_i16_sdwa s[14:15], v4, v6 src0_sel:BYTE_0 src1_sel:DWORD
	v_cvt_u32_f32_e32 v6, v2
	s_and_b64 vcc, exec, s[14:15]
	s_cbranch_vccz .LBB113_2605
; %bb.2604:
	s_mov_b64 s[10:11], 0
	global_store_dword v[0:1], v6, off
.LBB113_2605:
	s_andn2_b64 vcc, exec, s[10:11]
	s_cbranch_vccnz .LBB113_2607
; %bb.2606:
	global_store_short v[0:1], v6, off
.LBB113_2607:
	s_mov_b64 s[10:11], 0
.LBB113_2608:
	s_andn2_b64 vcc, exec, s[10:11]
	s_cbranch_vccnz .LBB113_2616
; %bb.2609:
	v_and_b32_e32 v6, 0x7fffffff, v3
	s_mov_b32 s10, 0x43800000
	v_cmp_gt_u32_e32 vcc, s10, v6
	v_mov_b32_e32 v13, 0x80
	s_and_saveexec_b64 s[10:11], vcc
	s_cbranch_execz .LBB113_2615
; %bb.2610:
	s_mov_b32 s13, 0x3bffffff
	v_cmp_lt_u32_e32 vcc, s13, v6
	s_mov_b64 s[14:15], 0
                                        ; implicit-def: $vgpr6
	s_and_saveexec_b64 s[16:17], vcc
	s_xor_b64 s[16:17], exec, s[16:17]
	s_cbranch_execz .LBB113_2711
; %bb.2611:
	v_bfe_u32 v6, v2, 20, 1
	s_mov_b32 s13, 0x487ffff
	v_add3_u32 v6, v2, v6, s13
	s_mov_b64 s[14:15], exec
	v_lshrrev_b32_e32 v6, 20, v6
	s_or_saveexec_b64 s[16:17], s[16:17]
                                        ; implicit-def: $sgpr13
	s_xor_b64 exec, exec, s[16:17]
	s_cbranch_execnz .LBB113_2712
.LBB113_2612:
	s_or_b64 exec, exec, s[16:17]
	v_mov_b32_e32 v13, s13
	s_and_saveexec_b64 s[16:17], s[14:15]
.LBB113_2613:
	v_lshrrev_b32_e32 v13, 24, v2
	s_movk_i32 s13, 0x80
	v_and_or_b32 v13, v13, s13, v6
.LBB113_2614:
	s_or_b64 exec, exec, s[16:17]
.LBB113_2615:
	s_or_b64 exec, exec, s[10:11]
	global_store_byte v[0:1], v13, off
.LBB113_2616:
	s_mov_b64 s[10:11], -1
.LBB113_2617:
	s_mov_b64 s[14:15], 0
.LBB113_2618:
	s_and_b64 vcc, exec, s[14:15]
	s_cbranch_vccz .LBB113_2658
; %bb.2619:
	v_mov_b32_e32 v6, 22
	v_cmp_gt_i16_sdwa s[14:15], v4, v6 src0_sel:BYTE_0 src1_sel:DWORD
	s_mov_b64 s[2:3], -1
	s_and_b64 vcc, exec, s[14:15]
	s_cbranch_vccz .LBB113_2651
; %bb.2620:
	v_mov_b32_e32 v6, 24
	v_cmp_lt_i16_sdwa s[10:11], v4, v6 src0_sel:BYTE_0 src1_sel:DWORD
	s_and_b64 vcc, exec, s[10:11]
	s_cbranch_vccnz .LBB113_2640
; %bb.2621:
	v_cmp_gt_i16_sdwa s[10:11], v4, v6 src0_sel:BYTE_0 src1_sel:DWORD
	s_and_b64 vcc, exec, s[10:11]
	s_cbranch_vccz .LBB113_2629
; %bb.2622:
	v_and_b32_e32 v6, 0x7fffffff, v3
	s_mov_b32 s2, 0x47800000
	v_cmp_gt_u32_e32 vcc, s2, v6
	v_mov_b32_e32 v13, 0x80
	s_and_saveexec_b64 s[2:3], vcc
	s_cbranch_execz .LBB113_2628
; %bb.2623:
	s_mov_b32 s10, 0x37ffffff
	v_cmp_lt_u32_e32 vcc, s10, v6
	s_mov_b64 s[10:11], 0
                                        ; implicit-def: $vgpr6
	s_and_saveexec_b64 s[14:15], vcc
	s_xor_b64 s[14:15], exec, s[14:15]
	s_cbranch_execz .LBB113_2715
; %bb.2624:
	v_bfe_u32 v6, v2, 21, 1
	s_mov_b32 s13, 0x88fffff
	v_add3_u32 v6, v2, v6, s13
	s_mov_b64 s[10:11], exec
	v_lshrrev_b32_e32 v6, 21, v6
	s_or_saveexec_b64 s[14:15], s[14:15]
                                        ; implicit-def: $sgpr13
	s_xor_b64 exec, exec, s[14:15]
	s_cbranch_execnz .LBB113_2716
.LBB113_2625:
	s_or_b64 exec, exec, s[14:15]
	v_mov_b32_e32 v13, s13
	s_and_saveexec_b64 s[14:15], s[10:11]
.LBB113_2626:
	v_lshrrev_b32_e32 v13, 24, v2
	s_movk_i32 s10, 0x80
	v_and_or_b32 v13, v13, s10, v6
.LBB113_2627:
	s_or_b64 exec, exec, s[14:15]
.LBB113_2628:
	s_or_b64 exec, exec, s[2:3]
	s_mov_b64 s[2:3], 0
	global_store_byte v[0:1], v13, off
.LBB113_2629:
	s_and_b64 vcc, exec, s[2:3]
	s_cbranch_vccz .LBB113_2639
; %bb.2630:
	v_and_b32_e32 v13, 0x7fffffff, v3
	s_mov_b32 s2, 0x43f00000
	v_cmp_gt_u32_e32 vcc, s2, v13
                                        ; implicit-def: $vgpr6
	s_and_saveexec_b64 s[2:3], vcc
	s_xor_b64 s[2:3], exec, s[2:3]
	s_cbranch_execz .LBB113_2636
; %bb.2631:
	s_mov_b32 s10, 0x3c7fffff
	v_cmp_lt_u32_e32 vcc, s10, v13
                                        ; implicit-def: $vgpr6
	s_and_saveexec_b64 s[10:11], vcc
	s_xor_b64 s[10:11], exec, s[10:11]
; %bb.2632:
	v_bfe_u32 v6, v2, 20, 1
	s_mov_b32 s13, 0x407ffff
	v_add3_u32 v6, v2, v6, s13
	v_lshrrev_b32_e32 v13, 20, v6
	v_and_b32_e32 v6, 0xff00000, v6
	s_mov_b32 s13, 0x7f00000
	v_mov_b32_e32 v14, 0x7e
	v_cmp_ne_u32_e32 vcc, s13, v6
	v_cndmask_b32_e32 v6, v14, v13, vcc
; %bb.2633:
	s_andn2_saveexec_b64 s[10:11], s[10:11]
; %bb.2634:
	s_mov_b32 s13, 0x46800000
	v_add_f32_e64 v6, |v3|, s13
; %bb.2635:
	s_or_b64 exec, exec, s[10:11]
                                        ; implicit-def: $vgpr13
.LBB113_2636:
	s_andn2_saveexec_b64 s[2:3], s[2:3]
; %bb.2637:
	s_mov_b32 s10, 0x7f800000
	v_mov_b32_e32 v6, 0x7e
	v_mov_b32_e32 v14, 0x7f
	v_cmp_lt_u32_e32 vcc, s10, v13
	v_cndmask_b32_e32 v6, v6, v14, vcc
; %bb.2638:
	s_or_b64 exec, exec, s[2:3]
	v_lshrrev_b32_e32 v13, 24, v2
	s_movk_i32 s2, 0x80
	v_and_or_b32 v6, v13, s2, v6
	global_store_byte v[0:1], v6, off
.LBB113_2639:
	s_mov_b64 s[2:3], 0
.LBB113_2640:
	s_andn2_b64 vcc, exec, s[2:3]
	s_cbranch_vccnz .LBB113_2650
; %bb.2641:
	v_and_b32_e32 v13, 0x7fffffff, v3
	s_mov_b32 s2, 0x47800000
	v_cmp_gt_u32_e32 vcc, s2, v13
                                        ; implicit-def: $vgpr6
	s_and_saveexec_b64 s[2:3], vcc
	s_xor_b64 s[2:3], exec, s[2:3]
	s_cbranch_execz .LBB113_2647
; %bb.2642:
	s_mov_b32 s10, 0x387fffff
	v_cmp_lt_u32_e32 vcc, s10, v13
                                        ; implicit-def: $vgpr6
	s_and_saveexec_b64 s[10:11], vcc
	s_xor_b64 s[10:11], exec, s[10:11]
; %bb.2643:
	v_bfe_u32 v3, v2, 21, 1
	s_mov_b32 s13, 0x80fffff
	v_add3_u32 v3, v2, v3, s13
	v_lshrrev_b32_e32 v6, 21, v3
                                        ; implicit-def: $vgpr3
; %bb.2644:
	s_andn2_saveexec_b64 s[10:11], s[10:11]
; %bb.2645:
	s_mov_b32 s13, 0x43000000
	v_add_f32_e64 v6, |v3|, s13
; %bb.2646:
	s_or_b64 exec, exec, s[10:11]
                                        ; implicit-def: $vgpr13
.LBB113_2647:
	s_andn2_saveexec_b64 s[2:3], s[2:3]
; %bb.2648:
	s_mov_b32 s10, 0x7f800000
	v_mov_b32_e32 v3, 0x7c
	v_mov_b32_e32 v6, 0x7f
	v_cmp_lt_u32_e32 vcc, s10, v13
	v_cndmask_b32_e32 v6, v3, v6, vcc
; %bb.2649:
	s_or_b64 exec, exec, s[2:3]
	v_lshrrev_b32_e32 v3, 24, v2
	s_movk_i32 s2, 0x80
	v_and_or_b32 v3, v3, s2, v6
	global_store_byte v[0:1], v3, off
.LBB113_2650:
	s_mov_b64 s[2:3], 0
	s_mov_b64 s[10:11], -1
.LBB113_2651:
	s_andn2_b64 vcc, exec, s[2:3]
	s_mov_b64 s[2:3], 0
	s_cbranch_vccnz .LBB113_2658
; %bb.2652:
	v_mov_b32_e32 v3, 14
	v_cmp_gt_i16_sdwa s[2:3], v4, v3 src0_sel:BYTE_0 src1_sel:DWORD
	s_mov_b64 s[14:15], -1
	s_and_b64 vcc, exec, s[2:3]
	s_cbranch_vccz .LBB113_2656
; %bb.2653:
	v_mov_b32_e32 v3, 15
	v_cmp_eq_u16_sdwa s[2:3], v4, v3 src0_sel:BYTE_0 src1_sel:DWORD
	s_mov_b64 s[0:1], -1
	s_and_b64 vcc, exec, s[2:3]
	s_cbranch_vccz .LBB113_2655
; %bb.2654:
	v_bfe_u32 v3, v2, 16, 1
	s_movk_i32 s0, 0x7fff
	v_add3_u32 v3, v2, v3, s0
	v_lshrrev_b32_e32 v3, 16, v3
	v_mov_b32_e32 v6, 0x7fc0
	v_cmp_o_f32_e32 vcc, v2, v2
	v_cndmask_b32_e32 v3, v6, v3, vcc
	global_store_short v[0:1], v3, off
	s_mov_b64 s[0:1], 0
	s_mov_b64 s[10:11], -1
.LBB113_2655:
	s_mov_b64 s[14:15], 0
.LBB113_2656:
	s_mov_b64 s[2:3], 0
	s_and_b64 vcc, exec, s[14:15]
	s_cbranch_vccz .LBB113_2658
; %bb.2657:
	v_mov_b32_e32 v3, 11
	v_cmp_ne_u16_sdwa s[0:1], v4, v3 src0_sel:BYTE_0 src1_sel:DWORD
	s_mov_b64 s[2:3], -1
.LBB113_2658:
	s_and_b64 vcc, exec, s[0:1]
	s_cbranch_vccnz .LBB113_2714
; %bb.2659:
	s_andn2_b64 vcc, exec, s[2:3]
	s_cbranch_vccnz .LBB113_2661
.LBB113_2660:
	v_cmp_neq_f32_e32 vcc, 0, v2
	v_cndmask_b32_e64 v3, 0, 1, vcc
	s_mov_b64 s[10:11], -1
	global_store_byte v[0:1], v3, off
.LBB113_2661:
	s_mov_b64 s[0:1], 0
.LBB113_2662:
	s_and_b64 vcc, exec, s[0:1]
	s_cbranch_vccz .LBB113_2701
; %bb.2663:
	v_mov_b32_e32 v3, 5
	v_cmp_lt_i16_sdwa s[2:3], v4, v3 src0_sel:BYTE_0 src1_sel:DWORD
	s_mov_b64 s[0:1], -1
	s_and_b64 vcc, exec, s[2:3]
	s_cbranch_vccnz .LBB113_2684
; %bb.2664:
	v_mov_b32_e32 v3, 8
	v_cmp_lt_i16_sdwa s[2:3], v4, v3 src0_sel:BYTE_0 src1_sel:DWORD
	s_and_b64 vcc, exec, s[2:3]
	s_cbranch_vccnz .LBB113_2674
; %bb.2665:
	v_mov_b32_e32 v3, 9
	v_cmp_lt_i16_sdwa s[2:3], v4, v3 src0_sel:BYTE_0 src1_sel:DWORD
	s_and_b64 vcc, exec, s[2:3]
	s_cbranch_vccnz .LBB113_2671
; %bb.2666:
	v_cmp_gt_i16_sdwa s[2:3], v4, v3 src0_sel:BYTE_0 src1_sel:DWORD
	s_and_b64 vcc, exec, s[2:3]
	s_cbranch_vccz .LBB113_2668
; %bb.2667:
	v_mov_b32_e32 v16, 0
	v_cvt_f64_f32_e32 v[14:15], v2
	v_mov_b32_e32 v17, v16
	global_store_dwordx4 v[0:1], v[14:17], off
	s_mov_b64 s[0:1], 0
.LBB113_2668:
	s_andn2_b64 vcc, exec, s[0:1]
	s_cbranch_vccnz .LBB113_2670
; %bb.2669:
	v_mov_b32_e32 v3, 0
	global_store_dwordx2 v[0:1], v[2:3], off
.LBB113_2670:
	s_mov_b64 s[0:1], 0
.LBB113_2671:
	s_andn2_b64 vcc, exec, s[0:1]
	s_cbranch_vccnz .LBB113_2673
; %bb.2672:
	v_cvt_f16_f32_e32 v3, v2
	global_store_dword v[0:1], v3, off
.LBB113_2673:
	s_mov_b64 s[0:1], 0
.LBB113_2674:
	s_andn2_b64 vcc, exec, s[0:1]
	s_cbranch_vccnz .LBB113_2683
; %bb.2675:
	v_mov_b32_e32 v3, 6
	v_cmp_lt_i16_sdwa s[2:3], v4, v3 src0_sel:BYTE_0 src1_sel:DWORD
	s_mov_b64 s[0:1], -1
	s_and_b64 vcc, exec, s[2:3]
	s_cbranch_vccnz .LBB113_2681
; %bb.2676:
	v_cmp_gt_i16_sdwa s[2:3], v4, v3 src0_sel:BYTE_0 src1_sel:DWORD
	s_and_b64 vcc, exec, s[2:3]
	s_cbranch_vccz .LBB113_2678
; %bb.2677:
	v_cvt_f64_f32_e32 v[14:15], v2
	global_store_dwordx2 v[0:1], v[14:15], off
	s_mov_b64 s[0:1], 0
.LBB113_2678:
	s_andn2_b64 vcc, exec, s[0:1]
	s_cbranch_vccnz .LBB113_2680
; %bb.2679:
	global_store_dword v[0:1], v2, off
.LBB113_2680:
	s_mov_b64 s[0:1], 0
.LBB113_2681:
	s_andn2_b64 vcc, exec, s[0:1]
	s_cbranch_vccnz .LBB113_2683
; %bb.2682:
	v_cvt_f16_f32_e32 v3, v2
	global_store_short v[0:1], v3, off
.LBB113_2683:
	s_mov_b64 s[0:1], 0
.LBB113_2684:
	s_andn2_b64 vcc, exec, s[0:1]
	s_cbranch_vccnz .LBB113_2700
; %bb.2685:
	v_mov_b32_e32 v3, 2
	v_cmp_lt_i16_sdwa s[2:3], v4, v3 src0_sel:BYTE_0 src1_sel:DWORD
	s_mov_b64 s[0:1], -1
	s_and_b64 vcc, exec, s[2:3]
	s_cbranch_vccnz .LBB113_2695
; %bb.2686:
	v_mov_b32_e32 v3, 3
	v_cmp_lt_i16_sdwa s[2:3], v4, v3 src0_sel:BYTE_0 src1_sel:DWORD
	s_and_b64 vcc, exec, s[2:3]
	s_cbranch_vccnz .LBB113_2692
; %bb.2687:
	v_cmp_gt_i16_sdwa s[2:3], v4, v3 src0_sel:BYTE_0 src1_sel:DWORD
	s_and_b64 vcc, exec, s[2:3]
	s_cbranch_vccz .LBB113_2689
; %bb.2688:
	v_trunc_f32_e32 v3, v2
	s_mov_b32 s0, 0x2f800000
	v_mul_f32_e64 v6, |v3|, s0
	v_floor_f32_e32 v6, v6
	s_mov_b32 s0, 0xcf800000
	v_cvt_u32_f32_e32 v13, v6
	v_fma_f32 v6, v6, s0, |v3|
	v_cvt_u32_f32_e32 v6, v6
	v_ashrrev_i32_e32 v3, 31, v3
	v_xor_b32_e32 v13, v13, v3
	s_mov_b64 s[0:1], 0
	v_xor_b32_e32 v6, v6, v3
	v_sub_co_u32_e32 v14, vcc, v6, v3
	v_subb_co_u32_e32 v15, vcc, v13, v3, vcc
	global_store_dwordx2 v[0:1], v[14:15], off
.LBB113_2689:
	s_andn2_b64 vcc, exec, s[0:1]
	s_cbranch_vccnz .LBB113_2691
; %bb.2690:
	v_cvt_i32_f32_e32 v3, v2
	global_store_dword v[0:1], v3, off
.LBB113_2691:
	s_mov_b64 s[0:1], 0
.LBB113_2692:
	s_andn2_b64 vcc, exec, s[0:1]
	s_cbranch_vccnz .LBB113_2694
; %bb.2693:
	v_cvt_i32_f32_e32 v3, v2
	global_store_short v[0:1], v3, off
.LBB113_2694:
	s_mov_b64 s[0:1], 0
.LBB113_2695:
	s_andn2_b64 vcc, exec, s[0:1]
	s_cbranch_vccnz .LBB113_2700
; %bb.2696:
	v_mov_b32_e32 v3, 0
	v_cmp_gt_i16_sdwa s[2:3], v4, v3 src0_sel:BYTE_0 src1_sel:DWORD
	s_mov_b64 s[0:1], -1
	s_and_b64 vcc, exec, s[2:3]
	s_cbranch_vccz .LBB113_2698
; %bb.2697:
	v_cvt_i32_f32_e32 v3, v2
	s_mov_b64 s[0:1], 0
	global_store_byte v[0:1], v3, off
.LBB113_2698:
	s_andn2_b64 vcc, exec, s[0:1]
	s_cbranch_vccnz .LBB113_2700
; %bb.2699:
	v_trunc_f32_e32 v2, v2
	s_mov_b32 s0, 0x2f800000
	v_mul_f32_e64 v3, |v2|, s0
	v_floor_f32_e32 v3, v3
	s_mov_b32 s0, 0xcf800000
	v_fma_f32 v3, v3, s0, |v2|
	v_cvt_u32_f32_e32 v3, v3
	v_ashrrev_i32_e32 v2, 31, v2
	v_xor_b32_e32 v3, v3, v2
	v_sub_u32_e32 v2, v3, v2
	global_store_byte v[0:1], v2, off
.LBB113_2700:
	s_mov_b64 s[10:11], -1
.LBB113_2701:
	s_andn2_b64 vcc, exec, s[10:11]
	s_cbranch_vccnz .LBB113_3032
; %bb.2702:
	s_lshl_b32 s16, s12, 7
	v_add_u32_e32 v5, s16, v5
	v_ashrrev_i32_e32 v1, 31, v5
	v_mov_b32_e32 v3, s9
	v_add_co_u32_e32 v0, vcc, s8, v5
	s_brev_b32 s0, -2
	v_addc_co_u32_e32 v1, vcc, v3, v1, vcc
	v_mov_b32_e32 v3, 11
	v_bfi_b32 v2, s0, v8, v10
	v_cmp_lt_i16_sdwa s[0:1], v4, v3 src0_sel:BYTE_0 src1_sel:DWORD
	s_and_b64 vcc, exec, s[0:1]
	s_cbranch_vccnz .LBB113_2709
; %bb.2703:
	v_mov_b32_e32 v3, 25
	v_cmp_gt_i16_sdwa s[0:1], v4, v3 src0_sel:BYTE_0 src1_sel:DWORD
	s_mov_b64 s[12:13], -1
	s_mov_b64 s[2:3], 0
	s_and_b64 vcc, exec, s[0:1]
	s_mov_b64 s[10:11], 0
	s_mov_b64 s[0:1], 0
	s_cbranch_vccz .LBB113_2745
; %bb.2704:
	v_mov_b32_e32 v3, 28
	v_cmp_gt_i16_sdwa s[0:1], v4, v3 src0_sel:BYTE_0 src1_sel:DWORD
	s_and_b64 vcc, exec, s[0:1]
	s_cbranch_vccz .LBB113_2710
; %bb.2705:
	v_mov_b32_e32 v3, 43
	v_cmp_gt_i16_sdwa s[0:1], v4, v3 src0_sel:BYTE_0 src1_sel:DWORD
	s_and_b64 vcc, exec, s[0:1]
	;; [unrolled: 5-line block ×3, first 2 shown]
	s_cbranch_vccz .LBB113_2717
; %bb.2707:
	v_mov_b32_e32 v3, 46
	v_cmp_eq_u16_sdwa s[10:11], v4, v3 src0_sel:BYTE_0 src1_sel:DWORD
	s_mov_b64 s[0:1], -1
	s_mov_b64 s[12:13], 0
	s_and_b64 vcc, exec, s[10:11]
	s_mov_b64 s[10:11], 0
	s_cbranch_vccz .LBB113_2718
; %bb.2708:
	v_bfe_u32 v3, v2, 16, 1
	s_movk_i32 s0, 0x7fff
	v_add3_u32 v3, v2, v3, s0
	v_lshrrev_b32_e32 v3, 16, v3
	v_mov_b32_e32 v6, 0x7fc0
	v_cmp_o_f32_e32 vcc, v2, v2
	v_cndmask_b32_e32 v3, v6, v3, vcc
	global_store_dword v[0:1], v3, off
	s_mov_b64 s[0:1], 0
	s_mov_b64 s[10:11], -1
	s_branch .LBB113_2718
.LBB113_2709:
	s_mov_b64 s[0:1], -1
	s_mov_b64 s[10:11], 0
	s_branch .LBB113_2789
.LBB113_2710:
	s_mov_b64 s[0:1], 0
	s_branch .LBB113_2728
.LBB113_2711:
	s_or_saveexec_b64 s[16:17], s[16:17]
                                        ; implicit-def: $sgpr13
	s_xor_b64 exec, exec, s[16:17]
	s_cbranch_execz .LBB113_2612
.LBB113_2712:
	s_mov_b32 s13, 0x46000000
	v_add_f32_e64 v6, |v3|, s13
	v_and_b32_e32 v6, 0xff, v6
	v_cmp_ne_u32_e32 vcc, 0, v6
	s_andn2_b64 s[14:15], s[14:15], exec
	s_and_b64 s[20:21], vcc, exec
	s_mov_b32 s13, 0
	s_or_b64 s[14:15], s[14:15], s[20:21]
	s_or_b64 exec, exec, s[16:17]
	v_mov_b32_e32 v13, s13
	s_and_saveexec_b64 s[16:17], s[14:15]
	s_cbranch_execnz .LBB113_2613
	s_branch .LBB113_2614
.LBB113_2713:
	s_mov_b64 s[0:1], 0
	s_branch .LBB113_2724
.LBB113_2714:
	s_trap 2
	s_or_b64 s[18:19], s[18:19], exec
	s_cbranch_execz .LBB113_2660
	s_branch .LBB113_2661
.LBB113_2715:
	s_or_saveexec_b64 s[14:15], s[14:15]
                                        ; implicit-def: $sgpr13
	s_xor_b64 exec, exec, s[14:15]
	s_cbranch_execz .LBB113_2625
.LBB113_2716:
	s_mov_b32 s13, 0x42800000
	v_add_f32_e64 v6, |v3|, s13
	v_and_b32_e32 v6, 0xff, v6
	v_cmp_ne_u32_e32 vcc, 0, v6
	s_andn2_b64 s[10:11], s[10:11], exec
	s_and_b64 s[16:17], vcc, exec
	s_mov_b32 s13, 0
	s_or_b64 s[10:11], s[10:11], s[16:17]
	s_or_b64 exec, exec, s[14:15]
	v_mov_b32_e32 v13, s13
	s_and_saveexec_b64 s[14:15], s[10:11]
	s_cbranch_execnz .LBB113_2626
	s_branch .LBB113_2627
.LBB113_2717:
	s_mov_b64 s[0:1], 0
.LBB113_2718:
	s_and_b64 vcc, exec, s[12:13]
	s_cbranch_vccz .LBB113_2723
; %bb.2719:
	v_mov_b32_e32 v3, 44
	v_cmp_eq_u16_sdwa s[12:13], v4, v3 src0_sel:BYTE_0 src1_sel:DWORD
	s_mov_b64 s[0:1], -1
	s_and_b64 vcc, exec, s[12:13]
	s_cbranch_vccz .LBB113_2723
; %bb.2720:
	v_bfe_u32 v3, v2, 23, 8
	s_movk_i32 s0, 0xff
	v_cmp_ne_u32_e32 vcc, s0, v3
	v_mov_b32_e32 v6, 0xff
	s_and_saveexec_b64 s[10:11], vcc
; %bb.2721:
	s_mov_b32 s0, 0x3fffff
	v_and_b32_e32 v10, 0x400000, v2
	v_and_or_b32 v3, v2, s0, v3
	v_cmp_ne_u32_e32 vcc, 0, v10
	v_cmp_ne_u32_e64 s[0:1], 0, v3
	s_and_b64 s[0:1], vcc, s[0:1]
	v_lshrrev_b32_e32 v6, 23, v2
	v_cndmask_b32_e64 v3, 0, 1, s[0:1]
	v_add_u32_e32 v6, v6, v3
; %bb.2722:
	s_or_b64 exec, exec, s[10:11]
	s_mov_b64 s[0:1], 0
	s_mov_b64 s[10:11], -1
	global_store_byte v[0:1], v6, off
.LBB113_2723:
	s_mov_b64 s[12:13], 0
.LBB113_2724:
	s_and_b64 vcc, exec, s[12:13]
	s_cbranch_vccz .LBB113_2727
; %bb.2725:
	v_mov_b32_e32 v3, 29
	v_cmp_eq_u16_sdwa s[12:13], v4, v3 src0_sel:BYTE_0 src1_sel:DWORD
	s_mov_b64 s[0:1], -1
	s_and_b64 vcc, exec, s[12:13]
	s_cbranch_vccz .LBB113_2727
; %bb.2726:
	v_trunc_f32_e32 v3, v2
	v_mul_f32_e32 v6, 0x2f800000, v3
	v_floor_f32_e32 v6, v6
	v_fmac_f32_e32 v3, 0xcf800000, v6
	v_cvt_u32_f32_e32 v15, v6
	v_cvt_u32_f32_e32 v14, v3
	s_mov_b64 s[0:1], 0
	s_mov_b64 s[10:11], -1
	s_mov_b64 s[12:13], 0
	global_store_dwordx2 v[0:1], v[14:15], off
	s_branch .LBB113_2728
.LBB113_2727:
	s_mov_b64 s[12:13], 0
.LBB113_2728:
	s_and_b64 vcc, exec, s[12:13]
	s_cbranch_vccz .LBB113_2744
; %bb.2729:
	v_mov_b32_e32 v3, 27
	v_cmp_lt_i16_sdwa s[12:13], v4, v3 src0_sel:BYTE_0 src1_sel:DWORD
	s_mov_b64 s[10:11], -1
	s_and_b64 vcc, exec, s[12:13]
	s_cbranch_vccnz .LBB113_2735
; %bb.2730:
	v_cmp_gt_i16_sdwa s[12:13], v4, v3 src0_sel:BYTE_0 src1_sel:DWORD
	v_cvt_u32_f32_e32 v3, v2
	s_and_b64 vcc, exec, s[12:13]
	s_cbranch_vccz .LBB113_2732
; %bb.2731:
	s_mov_b64 s[10:11], 0
	global_store_dword v[0:1], v3, off
.LBB113_2732:
	s_andn2_b64 vcc, exec, s[10:11]
	s_cbranch_vccnz .LBB113_2734
; %bb.2733:
	global_store_short v[0:1], v3, off
.LBB113_2734:
	s_mov_b64 s[10:11], 0
.LBB113_2735:
	s_andn2_b64 vcc, exec, s[10:11]
	s_cbranch_vccnz .LBB113_2743
; %bb.2736:
	v_and_b32_e32 v3, 0x7fffffff, v8
	s_mov_b32 s10, 0x43800000
	v_cmp_gt_u32_e32 vcc, s10, v3
	v_mov_b32_e32 v6, 0x80
	s_and_saveexec_b64 s[10:11], vcc
	s_cbranch_execz .LBB113_2742
; %bb.2737:
	s_mov_b32 s12, 0x3bffffff
	v_cmp_lt_u32_e32 vcc, s12, v3
	s_mov_b64 s[12:13], 0
                                        ; implicit-def: $vgpr3
	s_and_saveexec_b64 s[14:15], vcc
	s_xor_b64 s[14:15], exec, s[14:15]
	s_cbranch_execz .LBB113_2838
; %bb.2738:
	v_bfe_u32 v3, v2, 20, 1
	s_mov_b32 s17, 0x487ffff
	v_add3_u32 v3, v2, v3, s17
	s_mov_b64 s[12:13], exec
	v_lshrrev_b32_e32 v3, 20, v3
	s_or_saveexec_b64 s[14:15], s[14:15]
                                        ; implicit-def: $sgpr17
	s_xor_b64 exec, exec, s[14:15]
	s_cbranch_execnz .LBB113_2839
.LBB113_2739:
	s_or_b64 exec, exec, s[14:15]
	v_mov_b32_e32 v6, s17
	s_and_saveexec_b64 s[14:15], s[12:13]
.LBB113_2740:
	v_lshrrev_b32_e32 v6, 24, v2
	s_movk_i32 s12, 0x80
	v_and_or_b32 v6, v6, s12, v3
.LBB113_2741:
	s_or_b64 exec, exec, s[14:15]
.LBB113_2742:
	s_or_b64 exec, exec, s[10:11]
	global_store_byte v[0:1], v6, off
.LBB113_2743:
	s_mov_b64 s[10:11], -1
.LBB113_2744:
	s_mov_b64 s[12:13], 0
.LBB113_2745:
	s_and_b64 vcc, exec, s[12:13]
	s_cbranch_vccz .LBB113_2785
; %bb.2746:
	v_mov_b32_e32 v3, 22
	v_cmp_gt_i16_sdwa s[12:13], v4, v3 src0_sel:BYTE_0 src1_sel:DWORD
	s_mov_b64 s[2:3], -1
	s_and_b64 vcc, exec, s[12:13]
	s_cbranch_vccz .LBB113_2778
; %bb.2747:
	v_mov_b32_e32 v3, 24
	v_cmp_lt_i16_sdwa s[10:11], v4, v3 src0_sel:BYTE_0 src1_sel:DWORD
	s_and_b64 vcc, exec, s[10:11]
	s_cbranch_vccnz .LBB113_2767
; %bb.2748:
	v_cmp_gt_i16_sdwa s[10:11], v4, v3 src0_sel:BYTE_0 src1_sel:DWORD
	s_and_b64 vcc, exec, s[10:11]
	s_cbranch_vccz .LBB113_2756
; %bb.2749:
	v_and_b32_e32 v3, 0x7fffffff, v8
	s_mov_b32 s2, 0x47800000
	v_cmp_gt_u32_e32 vcc, s2, v3
	v_mov_b32_e32 v6, 0x80
	s_and_saveexec_b64 s[2:3], vcc
	s_cbranch_execz .LBB113_2755
; %bb.2750:
	s_mov_b32 s10, 0x37ffffff
	v_cmp_lt_u32_e32 vcc, s10, v3
	s_mov_b64 s[10:11], 0
                                        ; implicit-def: $vgpr3
	s_and_saveexec_b64 s[12:13], vcc
	s_xor_b64 s[12:13], exec, s[12:13]
	s_cbranch_execz .LBB113_2842
; %bb.2751:
	v_bfe_u32 v3, v2, 21, 1
	s_mov_b32 s14, 0x88fffff
	v_add3_u32 v3, v2, v3, s14
	s_mov_b64 s[10:11], exec
	v_lshrrev_b32_e32 v3, 21, v3
	s_or_saveexec_b64 s[12:13], s[12:13]
                                        ; implicit-def: $sgpr14
	s_xor_b64 exec, exec, s[12:13]
	s_cbranch_execnz .LBB113_2843
.LBB113_2752:
	s_or_b64 exec, exec, s[12:13]
	v_mov_b32_e32 v6, s14
	s_and_saveexec_b64 s[12:13], s[10:11]
.LBB113_2753:
	v_lshrrev_b32_e32 v6, 24, v2
	s_movk_i32 s10, 0x80
	v_and_or_b32 v6, v6, s10, v3
.LBB113_2754:
	s_or_b64 exec, exec, s[12:13]
.LBB113_2755:
	s_or_b64 exec, exec, s[2:3]
	s_mov_b64 s[2:3], 0
	global_store_byte v[0:1], v6, off
.LBB113_2756:
	s_and_b64 vcc, exec, s[2:3]
	s_cbranch_vccz .LBB113_2766
; %bb.2757:
	v_and_b32_e32 v6, 0x7fffffff, v8
	s_mov_b32 s2, 0x43f00000
	v_cmp_gt_u32_e32 vcc, s2, v6
                                        ; implicit-def: $vgpr3
	s_and_saveexec_b64 s[2:3], vcc
	s_xor_b64 s[2:3], exec, s[2:3]
	s_cbranch_execz .LBB113_2763
; %bb.2758:
	s_mov_b32 s10, 0x3c7fffff
	v_cmp_lt_u32_e32 vcc, s10, v6
                                        ; implicit-def: $vgpr3
	s_and_saveexec_b64 s[10:11], vcc
	s_xor_b64 s[10:11], exec, s[10:11]
; %bb.2759:
	v_bfe_u32 v3, v2, 20, 1
	s_mov_b32 s12, 0x407ffff
	v_add3_u32 v3, v2, v3, s12
	v_lshrrev_b32_e32 v6, 20, v3
	v_and_b32_e32 v3, 0xff00000, v3
	s_mov_b32 s12, 0x7f00000
	v_mov_b32_e32 v10, 0x7e
	v_cmp_ne_u32_e32 vcc, s12, v3
	v_cndmask_b32_e32 v3, v10, v6, vcc
; %bb.2760:
	s_andn2_saveexec_b64 s[10:11], s[10:11]
; %bb.2761:
	s_mov_b32 s12, 0x46800000
	v_add_f32_e64 v3, |v8|, s12
; %bb.2762:
	s_or_b64 exec, exec, s[10:11]
                                        ; implicit-def: $vgpr6
.LBB113_2763:
	s_andn2_saveexec_b64 s[2:3], s[2:3]
; %bb.2764:
	s_mov_b32 s10, 0x7f800000
	v_mov_b32_e32 v3, 0x7e
	v_mov_b32_e32 v10, 0x7f
	v_cmp_lt_u32_e32 vcc, s10, v6
	v_cndmask_b32_e32 v3, v3, v10, vcc
; %bb.2765:
	s_or_b64 exec, exec, s[2:3]
	v_lshrrev_b32_e32 v6, 24, v2
	s_movk_i32 s2, 0x80
	v_and_or_b32 v3, v6, s2, v3
	global_store_byte v[0:1], v3, off
.LBB113_2766:
	s_mov_b64 s[2:3], 0
.LBB113_2767:
	s_andn2_b64 vcc, exec, s[2:3]
	s_cbranch_vccnz .LBB113_2777
; %bb.2768:
	v_and_b32_e32 v6, 0x7fffffff, v8
	s_mov_b32 s2, 0x47800000
	v_cmp_gt_u32_e32 vcc, s2, v6
                                        ; implicit-def: $vgpr3
	s_and_saveexec_b64 s[2:3], vcc
	s_xor_b64 s[2:3], exec, s[2:3]
	s_cbranch_execz .LBB113_2774
; %bb.2769:
	s_mov_b32 s10, 0x387fffff
	v_cmp_lt_u32_e32 vcc, s10, v6
                                        ; implicit-def: $vgpr3
	s_and_saveexec_b64 s[10:11], vcc
	s_xor_b64 s[10:11], exec, s[10:11]
; %bb.2770:
	v_bfe_u32 v3, v2, 21, 1
	s_mov_b32 s12, 0x80fffff
	v_add3_u32 v3, v2, v3, s12
	v_lshrrev_b32_e32 v3, 21, v3
                                        ; implicit-def: $vgpr8
; %bb.2771:
	s_andn2_saveexec_b64 s[10:11], s[10:11]
; %bb.2772:
	s_mov_b32 s12, 0x43000000
	v_add_f32_e64 v3, |v8|, s12
; %bb.2773:
	s_or_b64 exec, exec, s[10:11]
                                        ; implicit-def: $vgpr6
.LBB113_2774:
	s_andn2_saveexec_b64 s[2:3], s[2:3]
; %bb.2775:
	s_mov_b32 s10, 0x7f800000
	v_mov_b32_e32 v3, 0x7c
	v_mov_b32_e32 v8, 0x7f
	v_cmp_lt_u32_e32 vcc, s10, v6
	v_cndmask_b32_e32 v3, v3, v8, vcc
; %bb.2776:
	s_or_b64 exec, exec, s[2:3]
	v_lshrrev_b32_e32 v6, 24, v2
	s_movk_i32 s2, 0x80
	v_and_or_b32 v3, v6, s2, v3
	global_store_byte v[0:1], v3, off
.LBB113_2777:
	s_mov_b64 s[2:3], 0
	s_mov_b64 s[10:11], -1
.LBB113_2778:
	s_andn2_b64 vcc, exec, s[2:3]
	s_mov_b64 s[2:3], 0
	s_cbranch_vccnz .LBB113_2785
; %bb.2779:
	v_mov_b32_e32 v3, 14
	v_cmp_gt_i16_sdwa s[2:3], v4, v3 src0_sel:BYTE_0 src1_sel:DWORD
	s_mov_b64 s[12:13], -1
	s_and_b64 vcc, exec, s[2:3]
	s_cbranch_vccz .LBB113_2783
; %bb.2780:
	v_mov_b32_e32 v3, 15
	v_cmp_eq_u16_sdwa s[2:3], v4, v3 src0_sel:BYTE_0 src1_sel:DWORD
	s_mov_b64 s[0:1], -1
	s_and_b64 vcc, exec, s[2:3]
	s_cbranch_vccz .LBB113_2782
; %bb.2781:
	v_bfe_u32 v3, v2, 16, 1
	s_movk_i32 s0, 0x7fff
	v_add3_u32 v3, v2, v3, s0
	v_lshrrev_b32_e32 v3, 16, v3
	v_mov_b32_e32 v6, 0x7fc0
	v_cmp_o_f32_e32 vcc, v2, v2
	v_cndmask_b32_e32 v3, v6, v3, vcc
	global_store_short v[0:1], v3, off
	s_mov_b64 s[0:1], 0
	s_mov_b64 s[10:11], -1
.LBB113_2782:
	s_mov_b64 s[12:13], 0
.LBB113_2783:
	s_mov_b64 s[2:3], 0
	s_and_b64 vcc, exec, s[12:13]
	s_cbranch_vccz .LBB113_2785
; %bb.2784:
	v_mov_b32_e32 v3, 11
	v_cmp_ne_u16_sdwa s[0:1], v4, v3 src0_sel:BYTE_0 src1_sel:DWORD
	s_mov_b64 s[2:3], -1
.LBB113_2785:
	s_and_b64 vcc, exec, s[0:1]
	s_cbranch_vccnz .LBB113_2841
; %bb.2786:
	s_andn2_b64 vcc, exec, s[2:3]
	s_cbranch_vccnz .LBB113_2788
.LBB113_2787:
	v_cmp_neq_f32_e32 vcc, 0, v2
	v_cndmask_b32_e64 v3, 0, 1, vcc
	s_mov_b64 s[10:11], -1
	global_store_byte v[0:1], v3, off
.LBB113_2788:
	s_mov_b64 s[0:1], 0
.LBB113_2789:
	s_and_b64 vcc, exec, s[0:1]
	s_cbranch_vccz .LBB113_2828
; %bb.2790:
	v_mov_b32_e32 v3, 5
	v_cmp_lt_i16_sdwa s[2:3], v4, v3 src0_sel:BYTE_0 src1_sel:DWORD
	s_mov_b64 s[0:1], -1
	s_and_b64 vcc, exec, s[2:3]
	s_cbranch_vccnz .LBB113_2811
; %bb.2791:
	v_mov_b32_e32 v3, 8
	v_cmp_lt_i16_sdwa s[2:3], v4, v3 src0_sel:BYTE_0 src1_sel:DWORD
	s_and_b64 vcc, exec, s[2:3]
	s_cbranch_vccnz .LBB113_2801
; %bb.2792:
	v_mov_b32_e32 v3, 9
	v_cmp_lt_i16_sdwa s[2:3], v4, v3 src0_sel:BYTE_0 src1_sel:DWORD
	s_and_b64 vcc, exec, s[2:3]
	s_cbranch_vccnz .LBB113_2798
; %bb.2793:
	v_cmp_gt_i16_sdwa s[2:3], v4, v3 src0_sel:BYTE_0 src1_sel:DWORD
	s_and_b64 vcc, exec, s[2:3]
	s_cbranch_vccz .LBB113_2795
; %bb.2794:
	v_mov_b32_e32 v16, 0
	v_cvt_f64_f32_e32 v[14:15], v2
	v_mov_b32_e32 v17, v16
	global_store_dwordx4 v[0:1], v[14:17], off
	s_mov_b64 s[0:1], 0
.LBB113_2795:
	s_andn2_b64 vcc, exec, s[0:1]
	s_cbranch_vccnz .LBB113_2797
; %bb.2796:
	v_mov_b32_e32 v3, 0
	global_store_dwordx2 v[0:1], v[2:3], off
.LBB113_2797:
	s_mov_b64 s[0:1], 0
.LBB113_2798:
	s_andn2_b64 vcc, exec, s[0:1]
	s_cbranch_vccnz .LBB113_2800
; %bb.2799:
	v_cvt_f16_f32_e32 v3, v2
	global_store_dword v[0:1], v3, off
.LBB113_2800:
	s_mov_b64 s[0:1], 0
.LBB113_2801:
	s_andn2_b64 vcc, exec, s[0:1]
	s_cbranch_vccnz .LBB113_2810
; %bb.2802:
	v_mov_b32_e32 v3, 6
	v_cmp_lt_i16_sdwa s[2:3], v4, v3 src0_sel:BYTE_0 src1_sel:DWORD
	s_mov_b64 s[0:1], -1
	s_and_b64 vcc, exec, s[2:3]
	s_cbranch_vccnz .LBB113_2808
; %bb.2803:
	v_cmp_gt_i16_sdwa s[2:3], v4, v3 src0_sel:BYTE_0 src1_sel:DWORD
	s_and_b64 vcc, exec, s[2:3]
	s_cbranch_vccz .LBB113_2805
; %bb.2804:
	v_cvt_f64_f32_e32 v[14:15], v2
	global_store_dwordx2 v[0:1], v[14:15], off
	s_mov_b64 s[0:1], 0
.LBB113_2805:
	s_andn2_b64 vcc, exec, s[0:1]
	s_cbranch_vccnz .LBB113_2807
; %bb.2806:
	global_store_dword v[0:1], v2, off
.LBB113_2807:
	s_mov_b64 s[0:1], 0
.LBB113_2808:
	s_andn2_b64 vcc, exec, s[0:1]
	s_cbranch_vccnz .LBB113_2810
; %bb.2809:
	v_cvt_f16_f32_e32 v3, v2
	global_store_short v[0:1], v3, off
.LBB113_2810:
	s_mov_b64 s[0:1], 0
.LBB113_2811:
	s_andn2_b64 vcc, exec, s[0:1]
	s_cbranch_vccnz .LBB113_2827
; %bb.2812:
	v_mov_b32_e32 v3, 2
	v_cmp_lt_i16_sdwa s[2:3], v4, v3 src0_sel:BYTE_0 src1_sel:DWORD
	s_mov_b64 s[0:1], -1
	s_and_b64 vcc, exec, s[2:3]
	s_cbranch_vccnz .LBB113_2822
; %bb.2813:
	v_mov_b32_e32 v3, 3
	v_cmp_lt_i16_sdwa s[2:3], v4, v3 src0_sel:BYTE_0 src1_sel:DWORD
	s_and_b64 vcc, exec, s[2:3]
	s_cbranch_vccnz .LBB113_2819
; %bb.2814:
	v_cmp_gt_i16_sdwa s[2:3], v4, v3 src0_sel:BYTE_0 src1_sel:DWORD
	s_and_b64 vcc, exec, s[2:3]
	s_cbranch_vccz .LBB113_2816
; %bb.2815:
	v_trunc_f32_e32 v3, v2
	s_mov_b32 s0, 0x2f800000
	v_mul_f32_e64 v6, |v3|, s0
	v_floor_f32_e32 v6, v6
	s_mov_b32 s0, 0xcf800000
	v_cvt_u32_f32_e32 v8, v6
	v_fma_f32 v6, v6, s0, |v3|
	v_cvt_u32_f32_e32 v6, v6
	v_ashrrev_i32_e32 v3, 31, v3
	v_xor_b32_e32 v8, v8, v3
	s_mov_b64 s[0:1], 0
	v_xor_b32_e32 v6, v6, v3
	v_sub_co_u32_e32 v14, vcc, v6, v3
	v_subb_co_u32_e32 v15, vcc, v8, v3, vcc
	global_store_dwordx2 v[0:1], v[14:15], off
.LBB113_2816:
	s_andn2_b64 vcc, exec, s[0:1]
	s_cbranch_vccnz .LBB113_2818
; %bb.2817:
	v_cvt_i32_f32_e32 v3, v2
	global_store_dword v[0:1], v3, off
.LBB113_2818:
	s_mov_b64 s[0:1], 0
.LBB113_2819:
	s_andn2_b64 vcc, exec, s[0:1]
	s_cbranch_vccnz .LBB113_2821
; %bb.2820:
	v_cvt_i32_f32_e32 v3, v2
	global_store_short v[0:1], v3, off
.LBB113_2821:
	s_mov_b64 s[0:1], 0
.LBB113_2822:
	s_andn2_b64 vcc, exec, s[0:1]
	s_cbranch_vccnz .LBB113_2827
; %bb.2823:
	v_mov_b32_e32 v3, 0
	v_cmp_gt_i16_sdwa s[2:3], v4, v3 src0_sel:BYTE_0 src1_sel:DWORD
	s_mov_b64 s[0:1], -1
	s_and_b64 vcc, exec, s[2:3]
	s_cbranch_vccz .LBB113_2825
; %bb.2824:
	v_cvt_i32_f32_e32 v3, v2
	s_mov_b64 s[0:1], 0
	global_store_byte v[0:1], v3, off
.LBB113_2825:
	s_andn2_b64 vcc, exec, s[0:1]
	s_cbranch_vccnz .LBB113_2827
; %bb.2826:
	v_trunc_f32_e32 v2, v2
	s_mov_b32 s0, 0x2f800000
	v_mul_f32_e64 v3, |v2|, s0
	v_floor_f32_e32 v3, v3
	s_mov_b32 s0, 0xcf800000
	v_fma_f32 v3, v3, s0, |v2|
	v_cvt_u32_f32_e32 v3, v3
	v_ashrrev_i32_e32 v2, 31, v2
	v_xor_b32_e32 v3, v3, v2
	v_sub_u32_e32 v2, v3, v2
	global_store_byte v[0:1], v2, off
.LBB113_2827:
	s_mov_b64 s[10:11], -1
.LBB113_2828:
	s_andn2_b64 vcc, exec, s[10:11]
	s_cbranch_vccnz .LBB113_3032
; %bb.2829:
	v_add_u32_e32 v5, s16, v5
	v_ashrrev_i32_e32 v1, 31, v5
	v_mov_b32_e32 v3, s9
	v_add_co_u32_e32 v0, vcc, s8, v5
	s_brev_b32 s0, -2
	v_addc_co_u32_e32 v1, vcc, v3, v1, vcc
	v_mov_b32_e32 v3, 11
	v_bfi_b32 v2, s0, v9, v12
	v_cmp_lt_i16_sdwa s[0:1], v4, v3 src0_sel:BYTE_0 src1_sel:DWORD
	s_and_b64 vcc, exec, s[0:1]
	s_cbranch_vccnz .LBB113_2836
; %bb.2830:
	v_mov_b32_e32 v3, 25
	v_cmp_gt_i16_sdwa s[0:1], v4, v3 src0_sel:BYTE_0 src1_sel:DWORD
	s_mov_b64 s[12:13], -1
	s_mov_b64 s[2:3], 0
	s_and_b64 vcc, exec, s[0:1]
	s_mov_b64 s[10:11], 0
	s_mov_b64 s[0:1], 0
	s_cbranch_vccz .LBB113_2872
; %bb.2831:
	v_mov_b32_e32 v3, 28
	v_cmp_gt_i16_sdwa s[0:1], v4, v3 src0_sel:BYTE_0 src1_sel:DWORD
	s_and_b64 vcc, exec, s[0:1]
	s_cbranch_vccz .LBB113_2837
; %bb.2832:
	v_mov_b32_e32 v3, 43
	v_cmp_gt_i16_sdwa s[0:1], v4, v3 src0_sel:BYTE_0 src1_sel:DWORD
	s_and_b64 vcc, exec, s[0:1]
	;; [unrolled: 5-line block ×3, first 2 shown]
	s_cbranch_vccz .LBB113_2844
; %bb.2834:
	v_mov_b32_e32 v3, 46
	v_cmp_eq_u16_sdwa s[10:11], v4, v3 src0_sel:BYTE_0 src1_sel:DWORD
	s_mov_b64 s[0:1], -1
	s_mov_b64 s[12:13], 0
	s_and_b64 vcc, exec, s[10:11]
	s_mov_b64 s[10:11], 0
	s_cbranch_vccz .LBB113_2845
; %bb.2835:
	v_bfe_u32 v3, v2, 16, 1
	s_movk_i32 s0, 0x7fff
	v_add3_u32 v3, v2, v3, s0
	v_lshrrev_b32_e32 v3, 16, v3
	v_mov_b32_e32 v6, 0x7fc0
	v_cmp_o_f32_e32 vcc, v2, v2
	v_cndmask_b32_e32 v3, v6, v3, vcc
	global_store_dword v[0:1], v3, off
	s_mov_b64 s[0:1], 0
	s_mov_b64 s[10:11], -1
	s_branch .LBB113_2845
.LBB113_2836:
	s_mov_b64 s[0:1], -1
	s_mov_b64 s[10:11], 0
	s_branch .LBB113_2916
.LBB113_2837:
	s_mov_b64 s[0:1], 0
	s_branch .LBB113_2855
.LBB113_2838:
	s_or_saveexec_b64 s[14:15], s[14:15]
                                        ; implicit-def: $sgpr17
	s_xor_b64 exec, exec, s[14:15]
	s_cbranch_execz .LBB113_2739
.LBB113_2839:
	s_mov_b32 s17, 0x46000000
	v_add_f32_e64 v3, |v8|, s17
	v_and_b32_e32 v3, 0xff, v3
	v_cmp_ne_u32_e32 vcc, 0, v3
	s_andn2_b64 s[12:13], s[12:13], exec
	s_and_b64 s[20:21], vcc, exec
	s_mov_b32 s17, 0
	s_or_b64 s[12:13], s[12:13], s[20:21]
	s_or_b64 exec, exec, s[14:15]
	v_mov_b32_e32 v6, s17
	s_and_saveexec_b64 s[14:15], s[12:13]
	s_cbranch_execnz .LBB113_2740
	s_branch .LBB113_2741
.LBB113_2840:
	s_mov_b64 s[0:1], 0
	s_branch .LBB113_2851
.LBB113_2841:
	s_trap 2
	s_or_b64 s[18:19], s[18:19], exec
	s_cbranch_execz .LBB113_2787
	s_branch .LBB113_2788
.LBB113_2842:
	s_or_saveexec_b64 s[12:13], s[12:13]
                                        ; implicit-def: $sgpr14
	s_xor_b64 exec, exec, s[12:13]
	s_cbranch_execz .LBB113_2752
.LBB113_2843:
	s_mov_b32 s14, 0x42800000
	v_add_f32_e64 v3, |v8|, s14
	v_and_b32_e32 v3, 0xff, v3
	v_cmp_ne_u32_e32 vcc, 0, v3
	s_andn2_b64 s[10:11], s[10:11], exec
	s_and_b64 s[20:21], vcc, exec
	s_mov_b32 s14, 0
	s_or_b64 s[10:11], s[10:11], s[20:21]
	s_or_b64 exec, exec, s[12:13]
	v_mov_b32_e32 v6, s14
	s_and_saveexec_b64 s[12:13], s[10:11]
	s_cbranch_execnz .LBB113_2753
	s_branch .LBB113_2754
.LBB113_2844:
	s_mov_b64 s[0:1], 0
.LBB113_2845:
	s_and_b64 vcc, exec, s[12:13]
	s_cbranch_vccz .LBB113_2850
; %bb.2846:
	v_mov_b32_e32 v3, 44
	v_cmp_eq_u16_sdwa s[12:13], v4, v3 src0_sel:BYTE_0 src1_sel:DWORD
	s_mov_b64 s[0:1], -1
	s_and_b64 vcc, exec, s[12:13]
	s_cbranch_vccz .LBB113_2850
; %bb.2847:
	v_bfe_u32 v3, v2, 23, 8
	s_movk_i32 s0, 0xff
	v_cmp_ne_u32_e32 vcc, s0, v3
	v_mov_b32_e32 v6, 0xff
	s_and_saveexec_b64 s[10:11], vcc
; %bb.2848:
	s_mov_b32 s0, 0x3fffff
	v_and_b32_e32 v8, 0x400000, v2
	v_and_or_b32 v3, v2, s0, v3
	v_cmp_ne_u32_e32 vcc, 0, v8
	v_cmp_ne_u32_e64 s[0:1], 0, v3
	s_and_b64 s[0:1], vcc, s[0:1]
	v_lshrrev_b32_e32 v6, 23, v2
	v_cndmask_b32_e64 v3, 0, 1, s[0:1]
	v_add_u32_e32 v6, v6, v3
; %bb.2849:
	s_or_b64 exec, exec, s[10:11]
	s_mov_b64 s[0:1], 0
	s_mov_b64 s[10:11], -1
	global_store_byte v[0:1], v6, off
.LBB113_2850:
	s_mov_b64 s[12:13], 0
.LBB113_2851:
	s_and_b64 vcc, exec, s[12:13]
	s_cbranch_vccz .LBB113_2854
; %bb.2852:
	v_mov_b32_e32 v3, 29
	v_cmp_eq_u16_sdwa s[12:13], v4, v3 src0_sel:BYTE_0 src1_sel:DWORD
	s_mov_b64 s[0:1], -1
	s_and_b64 vcc, exec, s[12:13]
	s_cbranch_vccz .LBB113_2854
; %bb.2853:
	v_trunc_f32_e32 v3, v2
	v_mul_f32_e32 v6, 0x2f800000, v3
	v_floor_f32_e32 v6, v6
	v_fmac_f32_e32 v3, 0xcf800000, v6
	v_cvt_u32_f32_e32 v13, v6
	v_cvt_u32_f32_e32 v12, v3
	s_mov_b64 s[0:1], 0
	s_mov_b64 s[10:11], -1
	s_mov_b64 s[12:13], 0
	global_store_dwordx2 v[0:1], v[12:13], off
	s_branch .LBB113_2855
.LBB113_2854:
	s_mov_b64 s[12:13], 0
.LBB113_2855:
	s_and_b64 vcc, exec, s[12:13]
	s_cbranch_vccz .LBB113_2871
; %bb.2856:
	v_mov_b32_e32 v3, 27
	v_cmp_lt_i16_sdwa s[12:13], v4, v3 src0_sel:BYTE_0 src1_sel:DWORD
	s_mov_b64 s[10:11], -1
	s_and_b64 vcc, exec, s[12:13]
	s_cbranch_vccnz .LBB113_2862
; %bb.2857:
	v_cmp_gt_i16_sdwa s[12:13], v4, v3 src0_sel:BYTE_0 src1_sel:DWORD
	v_cvt_u32_f32_e32 v3, v2
	s_and_b64 vcc, exec, s[12:13]
	s_cbranch_vccz .LBB113_2859
; %bb.2858:
	s_mov_b64 s[10:11], 0
	global_store_dword v[0:1], v3, off
.LBB113_2859:
	s_andn2_b64 vcc, exec, s[10:11]
	s_cbranch_vccnz .LBB113_2861
; %bb.2860:
	global_store_short v[0:1], v3, off
.LBB113_2861:
	s_mov_b64 s[10:11], 0
.LBB113_2862:
	s_andn2_b64 vcc, exec, s[10:11]
	s_cbranch_vccnz .LBB113_2870
; %bb.2863:
	v_and_b32_e32 v3, 0x7fffffff, v9
	s_mov_b32 s10, 0x43800000
	v_cmp_gt_u32_e32 vcc, s10, v3
	v_mov_b32_e32 v6, 0x80
	s_and_saveexec_b64 s[10:11], vcc
	s_cbranch_execz .LBB113_2869
; %bb.2864:
	s_mov_b32 s12, 0x3bffffff
	v_cmp_lt_u32_e32 vcc, s12, v3
	s_mov_b64 s[12:13], 0
                                        ; implicit-def: $vgpr3
	s_and_saveexec_b64 s[14:15], vcc
	s_xor_b64 s[14:15], exec, s[14:15]
	s_cbranch_execz .LBB113_3078
; %bb.2865:
	v_bfe_u32 v3, v2, 20, 1
	s_mov_b32 s17, 0x487ffff
	v_add3_u32 v3, v2, v3, s17
	s_mov_b64 s[12:13], exec
	v_lshrrev_b32_e32 v3, 20, v3
	s_or_saveexec_b64 s[14:15], s[14:15]
                                        ; implicit-def: $sgpr17
	s_xor_b64 exec, exec, s[14:15]
	s_cbranch_execnz .LBB113_3079
.LBB113_2866:
	s_or_b64 exec, exec, s[14:15]
	v_mov_b32_e32 v6, s17
	s_and_saveexec_b64 s[14:15], s[12:13]
.LBB113_2867:
	v_lshrrev_b32_e32 v6, 24, v2
	s_movk_i32 s12, 0x80
	v_and_or_b32 v6, v6, s12, v3
.LBB113_2868:
	s_or_b64 exec, exec, s[14:15]
.LBB113_2869:
	s_or_b64 exec, exec, s[10:11]
	global_store_byte v[0:1], v6, off
.LBB113_2870:
	s_mov_b64 s[10:11], -1
.LBB113_2871:
	s_mov_b64 s[12:13], 0
.LBB113_2872:
	s_and_b64 vcc, exec, s[12:13]
	s_cbranch_vccz .LBB113_2912
; %bb.2873:
	v_mov_b32_e32 v3, 22
	v_cmp_gt_i16_sdwa s[12:13], v4, v3 src0_sel:BYTE_0 src1_sel:DWORD
	s_mov_b64 s[2:3], -1
	s_and_b64 vcc, exec, s[12:13]
	s_cbranch_vccz .LBB113_2905
; %bb.2874:
	v_mov_b32_e32 v3, 24
	v_cmp_lt_i16_sdwa s[10:11], v4, v3 src0_sel:BYTE_0 src1_sel:DWORD
	s_and_b64 vcc, exec, s[10:11]
	s_cbranch_vccnz .LBB113_2894
; %bb.2875:
	v_cmp_gt_i16_sdwa s[10:11], v4, v3 src0_sel:BYTE_0 src1_sel:DWORD
	s_and_b64 vcc, exec, s[10:11]
	s_cbranch_vccz .LBB113_2883
; %bb.2876:
	v_and_b32_e32 v3, 0x7fffffff, v9
	s_mov_b32 s2, 0x47800000
	v_cmp_gt_u32_e32 vcc, s2, v3
	v_mov_b32_e32 v6, 0x80
	s_and_saveexec_b64 s[2:3], vcc
	s_cbranch_execz .LBB113_2882
; %bb.2877:
	s_mov_b32 s10, 0x37ffffff
	v_cmp_lt_u32_e32 vcc, s10, v3
	s_mov_b64 s[10:11], 0
                                        ; implicit-def: $vgpr3
	s_and_saveexec_b64 s[12:13], vcc
	s_xor_b64 s[12:13], exec, s[12:13]
	s_cbranch_execz .LBB113_3081
; %bb.2878:
	v_bfe_u32 v3, v2, 21, 1
	s_mov_b32 s14, 0x88fffff
	v_add3_u32 v3, v2, v3, s14
	s_mov_b64 s[10:11], exec
	v_lshrrev_b32_e32 v3, 21, v3
	s_or_saveexec_b64 s[12:13], s[12:13]
                                        ; implicit-def: $sgpr14
	s_xor_b64 exec, exec, s[12:13]
	s_cbranch_execnz .LBB113_3082
.LBB113_2879:
	s_or_b64 exec, exec, s[12:13]
	v_mov_b32_e32 v6, s14
	s_and_saveexec_b64 s[12:13], s[10:11]
.LBB113_2880:
	v_lshrrev_b32_e32 v6, 24, v2
	s_movk_i32 s10, 0x80
	v_and_or_b32 v6, v6, s10, v3
.LBB113_2881:
	s_or_b64 exec, exec, s[12:13]
.LBB113_2882:
	s_or_b64 exec, exec, s[2:3]
	s_mov_b64 s[2:3], 0
	global_store_byte v[0:1], v6, off
.LBB113_2883:
	s_and_b64 vcc, exec, s[2:3]
	s_cbranch_vccz .LBB113_2893
; %bb.2884:
	v_and_b32_e32 v6, 0x7fffffff, v9
	s_mov_b32 s2, 0x43f00000
	v_cmp_gt_u32_e32 vcc, s2, v6
                                        ; implicit-def: $vgpr3
	s_and_saveexec_b64 s[2:3], vcc
	s_xor_b64 s[2:3], exec, s[2:3]
	s_cbranch_execz .LBB113_2890
; %bb.2885:
	s_mov_b32 s10, 0x3c7fffff
	v_cmp_lt_u32_e32 vcc, s10, v6
                                        ; implicit-def: $vgpr3
	s_and_saveexec_b64 s[10:11], vcc
	s_xor_b64 s[10:11], exec, s[10:11]
; %bb.2886:
	v_bfe_u32 v3, v2, 20, 1
	s_mov_b32 s12, 0x407ffff
	v_add3_u32 v3, v2, v3, s12
	v_lshrrev_b32_e32 v6, 20, v3
	v_and_b32_e32 v3, 0xff00000, v3
	s_mov_b32 s12, 0x7f00000
	v_mov_b32_e32 v8, 0x7e
	v_cmp_ne_u32_e32 vcc, s12, v3
	v_cndmask_b32_e32 v3, v8, v6, vcc
; %bb.2887:
	s_andn2_saveexec_b64 s[10:11], s[10:11]
; %bb.2888:
	s_mov_b32 s12, 0x46800000
	v_add_f32_e64 v3, |v9|, s12
; %bb.2889:
	s_or_b64 exec, exec, s[10:11]
                                        ; implicit-def: $vgpr6
.LBB113_2890:
	s_andn2_saveexec_b64 s[2:3], s[2:3]
; %bb.2891:
	s_mov_b32 s10, 0x7f800000
	v_mov_b32_e32 v3, 0x7e
	v_mov_b32_e32 v8, 0x7f
	v_cmp_lt_u32_e32 vcc, s10, v6
	v_cndmask_b32_e32 v3, v3, v8, vcc
; %bb.2892:
	s_or_b64 exec, exec, s[2:3]
	v_lshrrev_b32_e32 v6, 24, v2
	s_movk_i32 s2, 0x80
	v_and_or_b32 v3, v6, s2, v3
	global_store_byte v[0:1], v3, off
.LBB113_2893:
	s_mov_b64 s[2:3], 0
.LBB113_2894:
	s_andn2_b64 vcc, exec, s[2:3]
	s_cbranch_vccnz .LBB113_2904
; %bb.2895:
	v_and_b32_e32 v6, 0x7fffffff, v9
	s_mov_b32 s2, 0x47800000
	v_cmp_gt_u32_e32 vcc, s2, v6
                                        ; implicit-def: $vgpr3
	s_and_saveexec_b64 s[2:3], vcc
	s_xor_b64 s[2:3], exec, s[2:3]
	s_cbranch_execz .LBB113_2901
; %bb.2896:
	s_mov_b32 s10, 0x387fffff
	v_cmp_lt_u32_e32 vcc, s10, v6
                                        ; implicit-def: $vgpr3
	s_and_saveexec_b64 s[10:11], vcc
	s_xor_b64 s[10:11], exec, s[10:11]
; %bb.2897:
	v_bfe_u32 v3, v2, 21, 1
	s_mov_b32 s12, 0x80fffff
	v_add3_u32 v3, v2, v3, s12
	v_lshrrev_b32_e32 v3, 21, v3
                                        ; implicit-def: $vgpr9
; %bb.2898:
	s_andn2_saveexec_b64 s[10:11], s[10:11]
; %bb.2899:
	s_mov_b32 s12, 0x43000000
	v_add_f32_e64 v3, |v9|, s12
; %bb.2900:
	s_or_b64 exec, exec, s[10:11]
                                        ; implicit-def: $vgpr6
.LBB113_2901:
	s_andn2_saveexec_b64 s[2:3], s[2:3]
; %bb.2902:
	s_mov_b32 s10, 0x7f800000
	v_mov_b32_e32 v3, 0x7c
	v_mov_b32_e32 v8, 0x7f
	v_cmp_lt_u32_e32 vcc, s10, v6
	v_cndmask_b32_e32 v3, v3, v8, vcc
; %bb.2903:
	s_or_b64 exec, exec, s[2:3]
	v_lshrrev_b32_e32 v6, 24, v2
	s_movk_i32 s2, 0x80
	v_and_or_b32 v3, v6, s2, v3
	global_store_byte v[0:1], v3, off
.LBB113_2904:
	s_mov_b64 s[2:3], 0
	s_mov_b64 s[10:11], -1
.LBB113_2905:
	s_andn2_b64 vcc, exec, s[2:3]
	s_mov_b64 s[2:3], 0
	s_cbranch_vccnz .LBB113_2912
; %bb.2906:
	v_mov_b32_e32 v3, 14
	v_cmp_gt_i16_sdwa s[2:3], v4, v3 src0_sel:BYTE_0 src1_sel:DWORD
	s_mov_b64 s[12:13], -1
	s_and_b64 vcc, exec, s[2:3]
	s_cbranch_vccz .LBB113_2910
; %bb.2907:
	v_mov_b32_e32 v3, 15
	v_cmp_eq_u16_sdwa s[2:3], v4, v3 src0_sel:BYTE_0 src1_sel:DWORD
	s_mov_b64 s[0:1], -1
	s_and_b64 vcc, exec, s[2:3]
	s_cbranch_vccz .LBB113_2909
; %bb.2908:
	v_bfe_u32 v3, v2, 16, 1
	s_movk_i32 s0, 0x7fff
	v_add3_u32 v3, v2, v3, s0
	v_lshrrev_b32_e32 v3, 16, v3
	v_mov_b32_e32 v6, 0x7fc0
	v_cmp_o_f32_e32 vcc, v2, v2
	v_cndmask_b32_e32 v3, v6, v3, vcc
	global_store_short v[0:1], v3, off
	s_mov_b64 s[0:1], 0
	s_mov_b64 s[10:11], -1
.LBB113_2909:
	s_mov_b64 s[12:13], 0
.LBB113_2910:
	s_mov_b64 s[2:3], 0
	s_and_b64 vcc, exec, s[12:13]
	s_cbranch_vccz .LBB113_2912
; %bb.2911:
	v_mov_b32_e32 v3, 11
	v_cmp_ne_u16_sdwa s[0:1], v4, v3 src0_sel:BYTE_0 src1_sel:DWORD
	s_mov_b64 s[2:3], -1
.LBB113_2912:
	s_and_b64 vcc, exec, s[0:1]
	s_cbranch_vccnz .LBB113_3080
; %bb.2913:
	s_andn2_b64 vcc, exec, s[2:3]
	s_cbranch_vccnz .LBB113_2915
.LBB113_2914:
	v_cmp_neq_f32_e32 vcc, 0, v2
	v_cndmask_b32_e64 v3, 0, 1, vcc
	s_mov_b64 s[10:11], -1
	global_store_byte v[0:1], v3, off
.LBB113_2915:
	s_mov_b64 s[0:1], 0
.LBB113_2916:
	s_and_b64 vcc, exec, s[0:1]
	s_cbranch_vccz .LBB113_2955
; %bb.2917:
	v_mov_b32_e32 v3, 5
	v_cmp_lt_i16_sdwa s[2:3], v4, v3 src0_sel:BYTE_0 src1_sel:DWORD
	s_mov_b64 s[0:1], -1
	s_and_b64 vcc, exec, s[2:3]
	s_cbranch_vccnz .LBB113_2938
; %bb.2918:
	v_mov_b32_e32 v3, 8
	v_cmp_lt_i16_sdwa s[2:3], v4, v3 src0_sel:BYTE_0 src1_sel:DWORD
	s_and_b64 vcc, exec, s[2:3]
	s_cbranch_vccnz .LBB113_2928
; %bb.2919:
	v_mov_b32_e32 v3, 9
	v_cmp_lt_i16_sdwa s[2:3], v4, v3 src0_sel:BYTE_0 src1_sel:DWORD
	s_and_b64 vcc, exec, s[2:3]
	s_cbranch_vccnz .LBB113_2925
; %bb.2920:
	v_cmp_gt_i16_sdwa s[2:3], v4, v3 src0_sel:BYTE_0 src1_sel:DWORD
	s_and_b64 vcc, exec, s[2:3]
	s_cbranch_vccz .LBB113_2922
; %bb.2921:
	v_mov_b32_e32 v14, 0
	v_cvt_f64_f32_e32 v[12:13], v2
	v_mov_b32_e32 v15, v14
	global_store_dwordx4 v[0:1], v[12:15], off
	s_mov_b64 s[0:1], 0
.LBB113_2922:
	s_andn2_b64 vcc, exec, s[0:1]
	s_cbranch_vccnz .LBB113_2924
; %bb.2923:
	v_mov_b32_e32 v3, 0
	global_store_dwordx2 v[0:1], v[2:3], off
.LBB113_2924:
	s_mov_b64 s[0:1], 0
.LBB113_2925:
	s_andn2_b64 vcc, exec, s[0:1]
	s_cbranch_vccnz .LBB113_2927
; %bb.2926:
	v_cvt_f16_f32_e32 v3, v2
	global_store_dword v[0:1], v3, off
.LBB113_2927:
	s_mov_b64 s[0:1], 0
.LBB113_2928:
	s_andn2_b64 vcc, exec, s[0:1]
	s_cbranch_vccnz .LBB113_2937
; %bb.2929:
	v_mov_b32_e32 v3, 6
	v_cmp_lt_i16_sdwa s[2:3], v4, v3 src0_sel:BYTE_0 src1_sel:DWORD
	s_mov_b64 s[0:1], -1
	s_and_b64 vcc, exec, s[2:3]
	s_cbranch_vccnz .LBB113_2935
; %bb.2930:
	v_cmp_gt_i16_sdwa s[2:3], v4, v3 src0_sel:BYTE_0 src1_sel:DWORD
	s_and_b64 vcc, exec, s[2:3]
	s_cbranch_vccz .LBB113_2932
; %bb.2931:
	v_cvt_f64_f32_e32 v[8:9], v2
	global_store_dwordx2 v[0:1], v[8:9], off
	s_mov_b64 s[0:1], 0
.LBB113_2932:
	s_andn2_b64 vcc, exec, s[0:1]
	s_cbranch_vccnz .LBB113_2934
; %bb.2933:
	global_store_dword v[0:1], v2, off
.LBB113_2934:
	s_mov_b64 s[0:1], 0
.LBB113_2935:
	s_andn2_b64 vcc, exec, s[0:1]
	s_cbranch_vccnz .LBB113_2937
; %bb.2936:
	v_cvt_f16_f32_e32 v3, v2
	global_store_short v[0:1], v3, off
.LBB113_2937:
	s_mov_b64 s[0:1], 0
.LBB113_2938:
	s_andn2_b64 vcc, exec, s[0:1]
	s_cbranch_vccnz .LBB113_2954
; %bb.2939:
	v_mov_b32_e32 v3, 2
	v_cmp_lt_i16_sdwa s[2:3], v4, v3 src0_sel:BYTE_0 src1_sel:DWORD
	s_mov_b64 s[0:1], -1
	s_and_b64 vcc, exec, s[2:3]
	s_cbranch_vccnz .LBB113_2949
; %bb.2940:
	v_mov_b32_e32 v3, 3
	v_cmp_lt_i16_sdwa s[2:3], v4, v3 src0_sel:BYTE_0 src1_sel:DWORD
	s_and_b64 vcc, exec, s[2:3]
	s_cbranch_vccnz .LBB113_2946
; %bb.2941:
	v_cmp_gt_i16_sdwa s[2:3], v4, v3 src0_sel:BYTE_0 src1_sel:DWORD
	s_and_b64 vcc, exec, s[2:3]
	s_cbranch_vccz .LBB113_2943
; %bb.2942:
	v_trunc_f32_e32 v3, v2
	s_mov_b32 s0, 0x2f800000
	v_mul_f32_e64 v6, |v3|, s0
	v_floor_f32_e32 v6, v6
	s_mov_b32 s0, 0xcf800000
	v_cvt_u32_f32_e32 v8, v6
	v_fma_f32 v6, v6, s0, |v3|
	v_cvt_u32_f32_e32 v6, v6
	v_ashrrev_i32_e32 v3, 31, v3
	v_xor_b32_e32 v9, v8, v3
	s_mov_b64 s[0:1], 0
	v_xor_b32_e32 v6, v6, v3
	v_sub_co_u32_e32 v8, vcc, v6, v3
	v_subb_co_u32_e32 v9, vcc, v9, v3, vcc
	global_store_dwordx2 v[0:1], v[8:9], off
.LBB113_2943:
	s_andn2_b64 vcc, exec, s[0:1]
	s_cbranch_vccnz .LBB113_2945
; %bb.2944:
	v_cvt_i32_f32_e32 v3, v2
	global_store_dword v[0:1], v3, off
.LBB113_2945:
	s_mov_b64 s[0:1], 0
.LBB113_2946:
	s_andn2_b64 vcc, exec, s[0:1]
	s_cbranch_vccnz .LBB113_2948
; %bb.2947:
	v_cvt_i32_f32_e32 v3, v2
	global_store_short v[0:1], v3, off
.LBB113_2948:
	s_mov_b64 s[0:1], 0
.LBB113_2949:
	s_andn2_b64 vcc, exec, s[0:1]
	s_cbranch_vccnz .LBB113_2954
; %bb.2950:
	v_mov_b32_e32 v3, 0
	v_cmp_gt_i16_sdwa s[2:3], v4, v3 src0_sel:BYTE_0 src1_sel:DWORD
	s_mov_b64 s[0:1], -1
	s_and_b64 vcc, exec, s[2:3]
	s_cbranch_vccz .LBB113_2952
; %bb.2951:
	v_cvt_i32_f32_e32 v3, v2
	s_mov_b64 s[0:1], 0
	global_store_byte v[0:1], v3, off
.LBB113_2952:
	s_andn2_b64 vcc, exec, s[0:1]
	s_cbranch_vccnz .LBB113_2954
; %bb.2953:
	v_trunc_f32_e32 v2, v2
	s_mov_b32 s0, 0x2f800000
	v_mul_f32_e64 v3, |v2|, s0
	v_floor_f32_e32 v3, v3
	s_mov_b32 s0, 0xcf800000
	v_fma_f32 v3, v3, s0, |v2|
	v_cvt_u32_f32_e32 v3, v3
	v_ashrrev_i32_e32 v2, 31, v2
	v_xor_b32_e32 v3, v3, v2
	v_sub_u32_e32 v2, v3, v2
	global_store_byte v[0:1], v2, off
.LBB113_2954:
	s_mov_b64 s[10:11], -1
.LBB113_2955:
	s_andn2_b64 vcc, exec, s[10:11]
	s_cbranch_vccnz .LBB113_3032
; %bb.2956:
	v_add_u32_e32 v0, s16, v5
	v_ashrrev_i32_e32 v1, 31, v0
	v_mov_b32_e32 v3, s9
	v_add_co_u32_e32 v0, vcc, s8, v0
	v_addc_co_u32_e32 v1, vcc, v3, v1, vcc
	v_and_b32_e32 v8, 0xff, v4
	s_brev_b32 s0, -2
	v_cmp_gt_i16_e32 vcc, 11, v8
	v_bfi_b32 v2, s0, v11, v7
	s_cbranch_vccnz .LBB113_3077
; %bb.2957:
	v_cmp_lt_i16_e32 vcc, 25, v8
	s_mov_b64 s[8:9], -1
	s_mov_b64 s[2:3], 0
	s_mov_b64 s[0:1], 0
	s_cbranch_vccz .LBB113_2990
; %bb.2958:
	v_cmp_lt_i16_e32 vcc, 28, v8
	s_cbranch_vccz .LBB113_2974
; %bb.2959:
	v_cmp_lt_i16_e32 vcc, 43, v8
	;; [unrolled: 3-line block ×3, first 2 shown]
	s_cbranch_vccz .LBB113_2964
; %bb.2961:
	v_cmp_eq_u16_e32 vcc, 46, v8
	s_mov_b64 s[0:1], -1
	s_cbranch_vccz .LBB113_2963
; %bb.2962:
	v_bfe_u32 v3, v2, 16, 1
	s_movk_i32 s0, 0x7fff
	v_add3_u32 v3, v2, v3, s0
	v_lshrrev_b32_e32 v3, 16, v3
	v_mov_b32_e32 v4, 0x7fc0
	v_cmp_o_f32_e32 vcc, v2, v2
	v_cndmask_b32_e32 v3, v4, v3, vcc
	global_store_dword v[0:1], v3, off
	s_mov_b64 s[0:1], 0
.LBB113_2963:
	s_mov_b64 s[8:9], 0
.LBB113_2964:
	s_and_b64 vcc, exec, s[8:9]
	s_cbranch_vccz .LBB113_2969
; %bb.2965:
	v_cmp_eq_u16_e32 vcc, 44, v8
	s_mov_b64 s[0:1], -1
	s_cbranch_vccz .LBB113_2969
; %bb.2966:
	v_bfe_u32 v3, v2, 23, 8
	s_movk_i32 s0, 0xff
	v_cmp_ne_u32_e32 vcc, s0, v3
	v_mov_b32_e32 v4, 0xff
	s_and_saveexec_b64 s[8:9], vcc
; %bb.2967:
	s_mov_b32 s0, 0x3fffff
	v_and_b32_e32 v5, 0x400000, v2
	v_and_or_b32 v3, v2, s0, v3
	v_cmp_ne_u32_e32 vcc, 0, v5
	v_cmp_ne_u32_e64 s[0:1], 0, v3
	s_and_b64 s[0:1], vcc, s[0:1]
	v_lshrrev_b32_e32 v4, 23, v2
	v_cndmask_b32_e64 v3, 0, 1, s[0:1]
	v_add_u32_e32 v4, v4, v3
; %bb.2968:
	s_or_b64 exec, exec, s[8:9]
	s_mov_b64 s[0:1], 0
	global_store_byte v[0:1], v4, off
.LBB113_2969:
	s_mov_b64 s[8:9], 0
.LBB113_2970:
	s_and_b64 vcc, exec, s[8:9]
	s_cbranch_vccz .LBB113_2973
; %bb.2971:
	v_cmp_eq_u16_e32 vcc, 29, v8
	s_mov_b64 s[0:1], -1
	s_cbranch_vccz .LBB113_2973
; %bb.2972:
	v_trunc_f32_e32 v3, v2
	v_mul_f32_e32 v4, 0x2f800000, v3
	v_floor_f32_e32 v4, v4
	v_fmac_f32_e32 v3, 0xcf800000, v4
	v_cvt_u32_f32_e32 v5, v4
	v_cvt_u32_f32_e32 v4, v3
	s_mov_b64 s[0:1], 0
	global_store_dwordx2 v[0:1], v[4:5], off
.LBB113_2973:
	s_mov_b64 s[8:9], 0
.LBB113_2974:
	s_and_b64 vcc, exec, s[8:9]
	s_cbranch_vccz .LBB113_2989
; %bb.2975:
	v_cmp_gt_i16_e32 vcc, 27, v8
	s_mov_b64 s[8:9], -1
	s_cbranch_vccnz .LBB113_2981
; %bb.2976:
	v_cvt_u32_f32_e32 v3, v2
	v_cmp_lt_i16_e32 vcc, 27, v8
	s_cbranch_vccz .LBB113_2978
; %bb.2977:
	global_store_dword v[0:1], v3, off
	s_mov_b64 s[8:9], 0
.LBB113_2978:
	s_andn2_b64 vcc, exec, s[8:9]
	s_cbranch_vccnz .LBB113_2980
; %bb.2979:
	global_store_short v[0:1], v3, off
.LBB113_2980:
	s_mov_b64 s[8:9], 0
.LBB113_2981:
	s_andn2_b64 vcc, exec, s[8:9]
	s_cbranch_vccnz .LBB113_2989
; %bb.2982:
	v_and_b32_e32 v3, 0x7fffffff, v11
	s_mov_b32 s8, 0x43800000
	v_cmp_gt_u32_e32 vcc, s8, v3
	v_mov_b32_e32 v4, 0x80
	s_and_saveexec_b64 s[8:9], vcc
	s_cbranch_execz .LBB113_2988
; %bb.2983:
	s_mov_b32 s10, 0x3bffffff
	v_cmp_lt_u32_e32 vcc, s10, v3
	s_mov_b64 s[10:11], 0
                                        ; implicit-def: $vgpr3
	s_and_saveexec_b64 s[12:13], vcc
	s_xor_b64 s[12:13], exec, s[12:13]
	s_cbranch_execz .LBB113_3083
; %bb.2984:
	v_bfe_u32 v3, v2, 20, 1
	s_mov_b32 s14, 0x487ffff
	v_add3_u32 v3, v2, v3, s14
	s_mov_b64 s[10:11], exec
	v_lshrrev_b32_e32 v3, 20, v3
	s_or_saveexec_b64 s[12:13], s[12:13]
                                        ; implicit-def: $sgpr14
	s_xor_b64 exec, exec, s[12:13]
	s_cbranch_execnz .LBB113_3084
.LBB113_2985:
	s_or_b64 exec, exec, s[12:13]
	v_mov_b32_e32 v4, s14
	s_and_saveexec_b64 s[12:13], s[10:11]
.LBB113_2986:
	v_lshrrev_b32_e32 v4, 24, v2
	s_movk_i32 s10, 0x80
	v_and_or_b32 v4, v4, s10, v3
.LBB113_2987:
	s_or_b64 exec, exec, s[12:13]
.LBB113_2988:
	s_or_b64 exec, exec, s[8:9]
	global_store_byte v[0:1], v4, off
.LBB113_2989:
	s_mov_b64 s[8:9], 0
.LBB113_2990:
	s_and_b64 vcc, exec, s[8:9]
	s_cbranch_vccz .LBB113_3030
; %bb.2991:
	v_cmp_lt_i16_e32 vcc, 22, v8
	s_mov_b64 s[2:3], -1
	s_cbranch_vccz .LBB113_3023
; %bb.2992:
	v_cmp_gt_i16_e32 vcc, 24, v8
	s_cbranch_vccnz .LBB113_3012
; %bb.2993:
	v_cmp_lt_i16_e32 vcc, 24, v8
	s_cbranch_vccz .LBB113_3001
; %bb.2994:
	v_and_b32_e32 v3, 0x7fffffff, v11
	s_mov_b32 s2, 0x47800000
	v_cmp_gt_u32_e32 vcc, s2, v3
	v_mov_b32_e32 v4, 0x80
	s_and_saveexec_b64 s[2:3], vcc
	s_cbranch_execz .LBB113_3000
; %bb.2995:
	s_mov_b32 s8, 0x37ffffff
	v_cmp_lt_u32_e32 vcc, s8, v3
	s_mov_b64 s[8:9], 0
                                        ; implicit-def: $vgpr3
	s_and_saveexec_b64 s[10:11], vcc
	s_xor_b64 s[10:11], exec, s[10:11]
	s_cbranch_execz .LBB113_3086
; %bb.2996:
	v_bfe_u32 v3, v2, 21, 1
	s_mov_b32 s12, 0x88fffff
	v_add3_u32 v3, v2, v3, s12
	s_mov_b64 s[8:9], exec
	v_lshrrev_b32_e32 v3, 21, v3
	s_or_saveexec_b64 s[10:11], s[10:11]
                                        ; implicit-def: $sgpr12
	s_xor_b64 exec, exec, s[10:11]
	s_cbranch_execnz .LBB113_3087
.LBB113_2997:
	s_or_b64 exec, exec, s[10:11]
	v_mov_b32_e32 v4, s12
	s_and_saveexec_b64 s[10:11], s[8:9]
.LBB113_2998:
	v_lshrrev_b32_e32 v4, 24, v2
	s_movk_i32 s8, 0x80
	v_and_or_b32 v4, v4, s8, v3
.LBB113_2999:
	s_or_b64 exec, exec, s[10:11]
.LBB113_3000:
	s_or_b64 exec, exec, s[2:3]
	s_mov_b64 s[2:3], 0
	global_store_byte v[0:1], v4, off
.LBB113_3001:
	s_and_b64 vcc, exec, s[2:3]
	s_cbranch_vccz .LBB113_3011
; %bb.3002:
	v_and_b32_e32 v4, 0x7fffffff, v11
	s_mov_b32 s2, 0x43f00000
	v_cmp_gt_u32_e32 vcc, s2, v4
                                        ; implicit-def: $vgpr3
	s_and_saveexec_b64 s[2:3], vcc
	s_xor_b64 s[2:3], exec, s[2:3]
	s_cbranch_execz .LBB113_3008
; %bb.3003:
	s_mov_b32 s8, 0x3c7fffff
	v_cmp_lt_u32_e32 vcc, s8, v4
                                        ; implicit-def: $vgpr3
	s_and_saveexec_b64 s[8:9], vcc
	s_xor_b64 s[8:9], exec, s[8:9]
; %bb.3004:
	v_bfe_u32 v3, v2, 20, 1
	s_mov_b32 s10, 0x407ffff
	v_add3_u32 v3, v2, v3, s10
	v_lshrrev_b32_e32 v4, 20, v3
	v_and_b32_e32 v3, 0xff00000, v3
	s_mov_b32 s10, 0x7f00000
	v_mov_b32_e32 v5, 0x7e
	v_cmp_ne_u32_e32 vcc, s10, v3
	v_cndmask_b32_e32 v3, v5, v4, vcc
; %bb.3005:
	s_andn2_saveexec_b64 s[8:9], s[8:9]
; %bb.3006:
	s_mov_b32 s10, 0x46800000
	v_add_f32_e64 v3, |v11|, s10
; %bb.3007:
	s_or_b64 exec, exec, s[8:9]
                                        ; implicit-def: $vgpr4
.LBB113_3008:
	s_andn2_saveexec_b64 s[2:3], s[2:3]
; %bb.3009:
	s_mov_b32 s8, 0x7f800000
	v_mov_b32_e32 v3, 0x7e
	v_mov_b32_e32 v5, 0x7f
	v_cmp_lt_u32_e32 vcc, s8, v4
	v_cndmask_b32_e32 v3, v3, v5, vcc
; %bb.3010:
	s_or_b64 exec, exec, s[2:3]
	v_lshrrev_b32_e32 v4, 24, v2
	s_movk_i32 s2, 0x80
	v_and_or_b32 v3, v4, s2, v3
	global_store_byte v[0:1], v3, off
.LBB113_3011:
	s_mov_b64 s[2:3], 0
.LBB113_3012:
	s_andn2_b64 vcc, exec, s[2:3]
	s_cbranch_vccnz .LBB113_3022
; %bb.3013:
	v_and_b32_e32 v4, 0x7fffffff, v11
	s_mov_b32 s2, 0x47800000
	v_cmp_gt_u32_e32 vcc, s2, v4
                                        ; implicit-def: $vgpr3
	s_and_saveexec_b64 s[2:3], vcc
	s_xor_b64 s[2:3], exec, s[2:3]
	s_cbranch_execz .LBB113_3019
; %bb.3014:
	s_mov_b32 s8, 0x387fffff
	v_cmp_lt_u32_e32 vcc, s8, v4
                                        ; implicit-def: $vgpr3
	s_and_saveexec_b64 s[8:9], vcc
	s_xor_b64 s[8:9], exec, s[8:9]
; %bb.3015:
	v_bfe_u32 v3, v2, 21, 1
	s_mov_b32 s10, 0x80fffff
	v_add3_u32 v3, v2, v3, s10
	v_lshrrev_b32_e32 v3, 21, v3
                                        ; implicit-def: $vgpr11
; %bb.3016:
	s_andn2_saveexec_b64 s[8:9], s[8:9]
; %bb.3017:
	s_mov_b32 s10, 0x43000000
	v_add_f32_e64 v3, |v11|, s10
; %bb.3018:
	s_or_b64 exec, exec, s[8:9]
                                        ; implicit-def: $vgpr4
.LBB113_3019:
	s_andn2_saveexec_b64 s[2:3], s[2:3]
; %bb.3020:
	s_mov_b32 s8, 0x7f800000
	v_mov_b32_e32 v3, 0x7c
	v_mov_b32_e32 v5, 0x7f
	v_cmp_lt_u32_e32 vcc, s8, v4
	v_cndmask_b32_e32 v3, v3, v5, vcc
; %bb.3021:
	s_or_b64 exec, exec, s[2:3]
	v_lshrrev_b32_e32 v4, 24, v2
	s_movk_i32 s2, 0x80
	v_and_or_b32 v3, v4, s2, v3
	global_store_byte v[0:1], v3, off
.LBB113_3022:
	s_mov_b64 s[2:3], 0
.LBB113_3023:
	s_andn2_b64 vcc, exec, s[2:3]
	s_mov_b64 s[2:3], 0
	s_cbranch_vccnz .LBB113_3030
; %bb.3024:
	v_cmp_lt_i16_e32 vcc, 14, v8
	s_mov_b64 s[8:9], -1
	s_cbranch_vccz .LBB113_3028
; %bb.3025:
	v_cmp_eq_u16_e32 vcc, 15, v8
	s_mov_b64 s[0:1], -1
	s_cbranch_vccz .LBB113_3027
; %bb.3026:
	v_bfe_u32 v3, v2, 16, 1
	s_movk_i32 s0, 0x7fff
	v_add3_u32 v3, v2, v3, s0
	v_lshrrev_b32_e32 v3, 16, v3
	v_mov_b32_e32 v4, 0x7fc0
	v_cmp_o_f32_e32 vcc, v2, v2
	v_cndmask_b32_e32 v3, v4, v3, vcc
	global_store_short v[0:1], v3, off
	s_mov_b64 s[0:1], 0
.LBB113_3027:
	s_mov_b64 s[8:9], 0
.LBB113_3028:
	s_and_b64 vcc, exec, s[8:9]
	s_cbranch_vccz .LBB113_3030
; %bb.3029:
	v_cmp_ne_u16_e64 s[0:1], 11, v8
	s_mov_b64 s[2:3], -1
.LBB113_3030:
	s_and_b64 vcc, exec, s[0:1]
	s_cbranch_vccnz .LBB113_3085
.LBB113_3031:
	s_mov_b64 s[0:1], 0
	s_branch .LBB113_3033
.LBB113_3032:
	s_mov_b64 s[0:1], 0
	s_mov_b64 s[2:3], 0
                                        ; implicit-def: $vgpr8
                                        ; implicit-def: $vgpr0_vgpr1
                                        ; implicit-def: $vgpr2
.LBB113_3033:
	s_and_b64 s[16:17], s[2:3], exec
	s_andn2_b64 s[2:3], s[6:7], exec
	s_and_b64 s[6:7], s[18:19], exec
	s_and_b64 s[0:1], s[0:1], exec
	s_or_b64 s[6:7], s[2:3], s[6:7]
.LBB113_3034:
	s_or_b64 exec, exec, s[4:5]
	s_and_saveexec_b64 s[2:3], s[6:7]
	s_cbranch_execz .LBB113_3037
; %bb.3035:
	; divergent unreachable
	s_or_b64 exec, exec, s[2:3]
	s_and_saveexec_b64 s[2:3], s[16:17]
	s_xor_b64 s[2:3], exec, s[2:3]
	s_cbranch_execnz .LBB113_3038
.LBB113_3036:
	s_or_b64 exec, exec, s[2:3]
	s_and_saveexec_b64 s[2:3], s[0:1]
	s_cbranch_execnz .LBB113_3039
	s_branch .LBB113_3076
.LBB113_3037:
	s_or_b64 exec, exec, s[2:3]
	s_and_saveexec_b64 s[2:3], s[16:17]
	s_xor_b64 s[2:3], exec, s[2:3]
	s_cbranch_execz .LBB113_3036
.LBB113_3038:
	s_waitcnt vmcnt(0)
	v_cmp_neq_f32_e32 vcc, 0, v2
	v_cndmask_b32_e64 v3, 0, 1, vcc
	global_store_byte v[0:1], v3, off
	s_or_b64 exec, exec, s[2:3]
	s_and_saveexec_b64 s[2:3], s[0:1]
	s_cbranch_execz .LBB113_3076
.LBB113_3039:
	s_waitcnt vmcnt(0)
	v_cmp_gt_i16_e32 vcc, 5, v8
	s_mov_b64 s[0:1], -1
	s_cbranch_vccnz .LBB113_3060
; %bb.3040:
	v_cmp_gt_i16_e32 vcc, 8, v8
	s_cbranch_vccnz .LBB113_3050
; %bb.3041:
	v_cmp_gt_i16_e32 vcc, 9, v8
	s_cbranch_vccnz .LBB113_3047
; %bb.3042:
	v_cmp_lt_i16_e32 vcc, 9, v8
	s_cbranch_vccz .LBB113_3044
; %bb.3043:
	v_mov_b32_e32 v6, 0
	v_cvt_f64_f32_e32 v[4:5], v2
	v_mov_b32_e32 v7, v6
	global_store_dwordx4 v[0:1], v[4:7], off
	s_mov_b64 s[0:1], 0
.LBB113_3044:
	s_andn2_b64 vcc, exec, s[0:1]
	s_cbranch_vccnz .LBB113_3046
; %bb.3045:
	v_mov_b32_e32 v3, 0
	global_store_dwordx2 v[0:1], v[2:3], off
.LBB113_3046:
	s_mov_b64 s[0:1], 0
.LBB113_3047:
	s_andn2_b64 vcc, exec, s[0:1]
	s_cbranch_vccnz .LBB113_3049
; %bb.3048:
	v_cvt_f16_f32_e32 v3, v2
	global_store_dword v[0:1], v3, off
.LBB113_3049:
	s_mov_b64 s[0:1], 0
.LBB113_3050:
	s_andn2_b64 vcc, exec, s[0:1]
	s_cbranch_vccnz .LBB113_3059
; %bb.3051:
	v_cmp_gt_i16_e32 vcc, 6, v8
	s_mov_b64 s[0:1], -1
	s_cbranch_vccnz .LBB113_3057
; %bb.3052:
	v_cmp_lt_i16_e32 vcc, 6, v8
	s_cbranch_vccz .LBB113_3054
; %bb.3053:
	v_cvt_f64_f32_e32 v[4:5], v2
	global_store_dwordx2 v[0:1], v[4:5], off
	s_mov_b64 s[0:1], 0
.LBB113_3054:
	s_andn2_b64 vcc, exec, s[0:1]
	s_cbranch_vccnz .LBB113_3056
; %bb.3055:
	global_store_dword v[0:1], v2, off
.LBB113_3056:
	s_mov_b64 s[0:1], 0
.LBB113_3057:
	s_andn2_b64 vcc, exec, s[0:1]
	s_cbranch_vccnz .LBB113_3059
; %bb.3058:
	v_cvt_f16_f32_e32 v3, v2
	global_store_short v[0:1], v3, off
.LBB113_3059:
	s_mov_b64 s[0:1], 0
.LBB113_3060:
	s_andn2_b64 vcc, exec, s[0:1]
	s_cbranch_vccnz .LBB113_3076
; %bb.3061:
	v_cmp_gt_i16_e32 vcc, 2, v8
	s_mov_b64 s[0:1], -1
	s_cbranch_vccnz .LBB113_3071
; %bb.3062:
	v_cmp_gt_i16_e32 vcc, 3, v8
	s_cbranch_vccnz .LBB113_3068
; %bb.3063:
	v_cmp_lt_i16_e32 vcc, 3, v8
	s_cbranch_vccz .LBB113_3065
; %bb.3064:
	v_trunc_f32_e32 v3, v2
	s_mov_b32 s0, 0x2f800000
	v_mul_f32_e64 v4, |v3|, s0
	v_floor_f32_e32 v4, v4
	s_mov_b32 s0, 0xcf800000
	v_cvt_u32_f32_e32 v5, v4
	v_fma_f32 v4, v4, s0, |v3|
	v_cvt_u32_f32_e32 v4, v4
	v_ashrrev_i32_e32 v3, 31, v3
	v_xor_b32_e32 v5, v5, v3
	s_mov_b64 s[0:1], 0
	v_xor_b32_e32 v4, v4, v3
	v_sub_co_u32_e32 v4, vcc, v4, v3
	v_subb_co_u32_e32 v5, vcc, v5, v3, vcc
	global_store_dwordx2 v[0:1], v[4:5], off
.LBB113_3065:
	s_andn2_b64 vcc, exec, s[0:1]
	s_cbranch_vccnz .LBB113_3067
; %bb.3066:
	v_cvt_i32_f32_e32 v3, v2
	global_store_dword v[0:1], v3, off
.LBB113_3067:
	s_mov_b64 s[0:1], 0
.LBB113_3068:
	s_andn2_b64 vcc, exec, s[0:1]
	s_cbranch_vccnz .LBB113_3070
; %bb.3069:
	v_cvt_i32_f32_e32 v3, v2
	global_store_short v[0:1], v3, off
.LBB113_3070:
	s_mov_b64 s[0:1], 0
.LBB113_3071:
	s_andn2_b64 vcc, exec, s[0:1]
	s_cbranch_vccnz .LBB113_3076
; %bb.3072:
	v_cmp_lt_i16_e32 vcc, 0, v8
	s_mov_b64 s[0:1], -1
	s_cbranch_vccz .LBB113_3074
; %bb.3073:
	v_cvt_i32_f32_e32 v3, v2
	s_mov_b64 s[0:1], 0
	global_store_byte v[0:1], v3, off
.LBB113_3074:
	s_andn2_b64 vcc, exec, s[0:1]
	s_cbranch_vccnz .LBB113_3076
; %bb.3075:
	v_trunc_f32_e32 v2, v2
	s_mov_b32 s0, 0x2f800000
	v_mul_f32_e64 v3, |v2|, s0
	v_floor_f32_e32 v3, v3
	s_mov_b32 s0, 0xcf800000
	v_fma_f32 v3, v3, s0, |v2|
	v_cvt_u32_f32_e32 v3, v3
	v_ashrrev_i32_e32 v2, 31, v2
	v_xor_b32_e32 v3, v3, v2
	v_sub_u32_e32 v2, v3, v2
	global_store_byte v[0:1], v2, off
	s_endpgm
.LBB113_3076:
	s_endpgm
.LBB113_3077:
	s_mov_b64 s[2:3], 0
	s_mov_b64 s[0:1], -1
	s_branch .LBB113_3033
.LBB113_3078:
	s_or_saveexec_b64 s[14:15], s[14:15]
                                        ; implicit-def: $sgpr17
	s_xor_b64 exec, exec, s[14:15]
	s_cbranch_execz .LBB113_2866
.LBB113_3079:
	s_mov_b32 s17, 0x46000000
	v_add_f32_e64 v3, |v9|, s17
	v_and_b32_e32 v3, 0xff, v3
	v_cmp_ne_u32_e32 vcc, 0, v3
	s_andn2_b64 s[12:13], s[12:13], exec
	s_and_b64 s[20:21], vcc, exec
	s_mov_b32 s17, 0
	s_or_b64 s[12:13], s[12:13], s[20:21]
	s_or_b64 exec, exec, s[14:15]
	v_mov_b32_e32 v6, s17
	s_and_saveexec_b64 s[14:15], s[12:13]
	s_cbranch_execnz .LBB113_2867
	s_branch .LBB113_2868
.LBB113_3080:
	s_trap 2
	s_or_b64 s[18:19], s[18:19], exec
	s_cbranch_execz .LBB113_2914
	s_branch .LBB113_2915
.LBB113_3081:
	s_or_saveexec_b64 s[12:13], s[12:13]
                                        ; implicit-def: $sgpr14
	s_xor_b64 exec, exec, s[12:13]
	s_cbranch_execz .LBB113_2879
.LBB113_3082:
	s_mov_b32 s14, 0x42800000
	v_add_f32_e64 v3, |v9|, s14
	v_and_b32_e32 v3, 0xff, v3
	v_cmp_ne_u32_e32 vcc, 0, v3
	s_andn2_b64 s[10:11], s[10:11], exec
	s_and_b64 s[20:21], vcc, exec
	s_mov_b32 s14, 0
	s_or_b64 s[10:11], s[10:11], s[20:21]
	s_or_b64 exec, exec, s[12:13]
	v_mov_b32_e32 v6, s14
	s_and_saveexec_b64 s[12:13], s[10:11]
	s_cbranch_execnz .LBB113_2880
	s_branch .LBB113_2881
.LBB113_3083:
	s_or_saveexec_b64 s[12:13], s[12:13]
                                        ; implicit-def: $sgpr14
	s_xor_b64 exec, exec, s[12:13]
	s_cbranch_execz .LBB113_2985
.LBB113_3084:
	s_mov_b32 s14, 0x46000000
	v_add_f32_e64 v3, |v11|, s14
	v_and_b32_e32 v3, 0xff, v3
	v_cmp_ne_u32_e32 vcc, 0, v3
	s_andn2_b64 s[10:11], s[10:11], exec
	s_and_b64 s[16:17], vcc, exec
	s_mov_b32 s14, 0
	s_or_b64 s[10:11], s[10:11], s[16:17]
	s_or_b64 exec, exec, s[12:13]
	v_mov_b32_e32 v4, s14
	s_and_saveexec_b64 s[12:13], s[10:11]
	s_cbranch_execnz .LBB113_2986
	s_branch .LBB113_2987
.LBB113_3085:
	s_mov_b64 s[2:3], 0
	s_or_b64 s[18:19], s[18:19], exec
	s_trap 2
	s_branch .LBB113_3031
.LBB113_3086:
	s_or_saveexec_b64 s[10:11], s[10:11]
                                        ; implicit-def: $sgpr12
	s_xor_b64 exec, exec, s[10:11]
	s_cbranch_execz .LBB113_2997
.LBB113_3087:
	s_mov_b32 s12, 0x42800000
	v_add_f32_e64 v3, |v11|, s12
	v_and_b32_e32 v3, 0xff, v3
	v_cmp_ne_u32_e32 vcc, 0, v3
	s_andn2_b64 s[8:9], s[8:9], exec
	s_and_b64 s[14:15], vcc, exec
	s_mov_b32 s12, 0
	s_or_b64 s[8:9], s[8:9], s[14:15]
	s_or_b64 exec, exec, s[10:11]
	v_mov_b32_e32 v4, s12
	s_and_saveexec_b64 s[10:11], s[8:9]
	s_cbranch_execnz .LBB113_2998
	s_branch .LBB113_2999
	.section	.rodata,"a",@progbits
	.p2align	6, 0x0
	.amdhsa_kernel _ZN2at6native32elementwise_kernel_manual_unrollILi128ELi4EZNS0_15gpu_kernel_implINS0_13BinaryFunctorIfffZZZNS0_20copysign_kernel_cudaERNS_18TensorIteratorBaseEENKUlvE_clEvENKUlvE0_clEvEUlffE_EEEEvS5_RKT_EUlibE_EEviT1_
		.amdhsa_group_segment_fixed_size 0
		.amdhsa_private_segment_fixed_size 0
		.amdhsa_kernarg_size 48
		.amdhsa_user_sgpr_count 6
		.amdhsa_user_sgpr_private_segment_buffer 1
		.amdhsa_user_sgpr_dispatch_ptr 0
		.amdhsa_user_sgpr_queue_ptr 0
		.amdhsa_user_sgpr_kernarg_segment_ptr 1
		.amdhsa_user_sgpr_dispatch_id 0
		.amdhsa_user_sgpr_flat_scratch_init 0
		.amdhsa_user_sgpr_kernarg_preload_length 0
		.amdhsa_user_sgpr_kernarg_preload_offset 0
		.amdhsa_user_sgpr_private_segment_size 0
		.amdhsa_uses_dynamic_stack 0
		.amdhsa_system_sgpr_private_segment_wavefront_offset 0
		.amdhsa_system_sgpr_workgroup_id_x 1
		.amdhsa_system_sgpr_workgroup_id_y 0
		.amdhsa_system_sgpr_workgroup_id_z 0
		.amdhsa_system_sgpr_workgroup_info 0
		.amdhsa_system_vgpr_workitem_id 0
		.amdhsa_next_free_vgpr 19
		.amdhsa_next_free_sgpr 54
		.amdhsa_accum_offset 20
		.amdhsa_reserve_vcc 1
		.amdhsa_reserve_flat_scratch 0
		.amdhsa_float_round_mode_32 0
		.amdhsa_float_round_mode_16_64 0
		.amdhsa_float_denorm_mode_32 3
		.amdhsa_float_denorm_mode_16_64 3
		.amdhsa_dx10_clamp 1
		.amdhsa_ieee_mode 1
		.amdhsa_fp16_overflow 0
		.amdhsa_tg_split 0
		.amdhsa_exception_fp_ieee_invalid_op 0
		.amdhsa_exception_fp_denorm_src 0
		.amdhsa_exception_fp_ieee_div_zero 0
		.amdhsa_exception_fp_ieee_overflow 0
		.amdhsa_exception_fp_ieee_underflow 0
		.amdhsa_exception_fp_ieee_inexact 0
		.amdhsa_exception_int_div_zero 0
	.end_amdhsa_kernel
	.section	.text._ZN2at6native32elementwise_kernel_manual_unrollILi128ELi4EZNS0_15gpu_kernel_implINS0_13BinaryFunctorIfffZZZNS0_20copysign_kernel_cudaERNS_18TensorIteratorBaseEENKUlvE_clEvENKUlvE0_clEvEUlffE_EEEEvS5_RKT_EUlibE_EEviT1_,"axG",@progbits,_ZN2at6native32elementwise_kernel_manual_unrollILi128ELi4EZNS0_15gpu_kernel_implINS0_13BinaryFunctorIfffZZZNS0_20copysign_kernel_cudaERNS_18TensorIteratorBaseEENKUlvE_clEvENKUlvE0_clEvEUlffE_EEEEvS5_RKT_EUlibE_EEviT1_,comdat
.Lfunc_end113:
	.size	_ZN2at6native32elementwise_kernel_manual_unrollILi128ELi4EZNS0_15gpu_kernel_implINS0_13BinaryFunctorIfffZZZNS0_20copysign_kernel_cudaERNS_18TensorIteratorBaseEENKUlvE_clEvENKUlvE0_clEvEUlffE_EEEEvS5_RKT_EUlibE_EEviT1_, .Lfunc_end113-_ZN2at6native32elementwise_kernel_manual_unrollILi128ELi4EZNS0_15gpu_kernel_implINS0_13BinaryFunctorIfffZZZNS0_20copysign_kernel_cudaERNS_18TensorIteratorBaseEENKUlvE_clEvENKUlvE0_clEvEUlffE_EEEEvS5_RKT_EUlibE_EEviT1_
                                        ; -- End function
	.section	.AMDGPU.csdata,"",@progbits
; Kernel info:
; codeLenInByte = 53732
; NumSgprs: 58
; NumVgprs: 19
; NumAgprs: 0
; TotalNumVgprs: 19
; ScratchSize: 0
; MemoryBound: 1
; FloatMode: 240
; IeeeMode: 1
; LDSByteSize: 0 bytes/workgroup (compile time only)
; SGPRBlocks: 7
; VGPRBlocks: 2
; NumSGPRsForWavesPerEU: 58
; NumVGPRsForWavesPerEU: 19
; AccumOffset: 20
; Occupancy: 8
; WaveLimiterHint : 0
; COMPUTE_PGM_RSRC2:SCRATCH_EN: 0
; COMPUTE_PGM_RSRC2:USER_SGPR: 6
; COMPUTE_PGM_RSRC2:TRAP_HANDLER: 0
; COMPUTE_PGM_RSRC2:TGID_X_EN: 1
; COMPUTE_PGM_RSRC2:TGID_Y_EN: 0
; COMPUTE_PGM_RSRC2:TGID_Z_EN: 0
; COMPUTE_PGM_RSRC2:TIDIG_COMP_CNT: 0
; COMPUTE_PGM_RSRC3_GFX90A:ACCUM_OFFSET: 4
; COMPUTE_PGM_RSRC3_GFX90A:TG_SPLIT: 0
	.section	.text._ZN2at6native32elementwise_kernel_manual_unrollILi128ELi4EZNS0_12_GLOBAL__N_142type_specialized_broadcast_kernel_launcherILi0EE5applyINS0_13BinaryFunctorIfffZZZNS0_20copysign_kernel_cudaERNS_18TensorIteratorBaseEENKUlvE_clEvENKUlvE0_clEvEUlffE_EESt5arrayIPcLm3EESD_IN3c1010ScalarTypeELm3EE16OffsetCalculatorILi3EjLb0EEEEvlT_T0_T1_T2_EUlibE_EEviSN_,"axG",@progbits,_ZN2at6native32elementwise_kernel_manual_unrollILi128ELi4EZNS0_12_GLOBAL__N_142type_specialized_broadcast_kernel_launcherILi0EE5applyINS0_13BinaryFunctorIfffZZZNS0_20copysign_kernel_cudaERNS_18TensorIteratorBaseEENKUlvE_clEvENKUlvE0_clEvEUlffE_EESt5arrayIPcLm3EESD_IN3c1010ScalarTypeELm3EE16OffsetCalculatorILi3EjLb0EEEEvlT_T0_T1_T2_EUlibE_EEviSN_,comdat
	.globl	_ZN2at6native32elementwise_kernel_manual_unrollILi128ELi4EZNS0_12_GLOBAL__N_142type_specialized_broadcast_kernel_launcherILi0EE5applyINS0_13BinaryFunctorIfffZZZNS0_20copysign_kernel_cudaERNS_18TensorIteratorBaseEENKUlvE_clEvENKUlvE0_clEvEUlffE_EESt5arrayIPcLm3EESD_IN3c1010ScalarTypeELm3EE16OffsetCalculatorILi3EjLb0EEEEvlT_T0_T1_T2_EUlibE_EEviSN_ ; -- Begin function _ZN2at6native32elementwise_kernel_manual_unrollILi128ELi4EZNS0_12_GLOBAL__N_142type_specialized_broadcast_kernel_launcherILi0EE5applyINS0_13BinaryFunctorIfffZZZNS0_20copysign_kernel_cudaERNS_18TensorIteratorBaseEENKUlvE_clEvENKUlvE0_clEvEUlffE_EESt5arrayIPcLm3EESD_IN3c1010ScalarTypeELm3EE16OffsetCalculatorILi3EjLb0EEEEvlT_T0_T1_T2_EUlibE_EEviSN_
	.p2align	8
	.type	_ZN2at6native32elementwise_kernel_manual_unrollILi128ELi4EZNS0_12_GLOBAL__N_142type_specialized_broadcast_kernel_launcherILi0EE5applyINS0_13BinaryFunctorIfffZZZNS0_20copysign_kernel_cudaERNS_18TensorIteratorBaseEENKUlvE_clEvENKUlvE0_clEvEUlffE_EESt5arrayIPcLm3EESD_IN3c1010ScalarTypeELm3EE16OffsetCalculatorILi3EjLb0EEEEvlT_T0_T1_T2_EUlibE_EEviSN_,@function
_ZN2at6native32elementwise_kernel_manual_unrollILi128ELi4EZNS0_12_GLOBAL__N_142type_specialized_broadcast_kernel_launcherILi0EE5applyINS0_13BinaryFunctorIfffZZZNS0_20copysign_kernel_cudaERNS_18TensorIteratorBaseEENKUlvE_clEvENKUlvE0_clEvEUlffE_EESt5arrayIPcLm3EESD_IN3c1010ScalarTypeELm3EE16OffsetCalculatorILi3EjLb0EEEEvlT_T0_T1_T2_EUlibE_EEviSN_: ; @_ZN2at6native32elementwise_kernel_manual_unrollILi128ELi4EZNS0_12_GLOBAL__N_142type_specialized_broadcast_kernel_launcherILi0EE5applyINS0_13BinaryFunctorIfffZZZNS0_20copysign_kernel_cudaERNS_18TensorIteratorBaseEENKUlvE_clEvENKUlvE0_clEvEUlffE_EESt5arrayIPcLm3EESD_IN3c1010ScalarTypeELm3EE16OffsetCalculatorILi3EjLb0EEEEvlT_T0_T1_T2_EUlibE_EEviSN_
; %bb.0:
	s_load_dword s36, s[4:5], 0x0
	s_load_dword s33, s[4:5], 0x8
	s_or_b32 s4, s4, 8
	v_lshl_or_b32 v12, s6, 9, v0
	v_or_b32_e32 v24, 0x180, v12
	s_waitcnt lgkmcnt(0)
	v_cmp_le_i32_e32 vcc, s36, v24
	s_add_i32 s34, s33, -1
	s_cmp_gt_u32 s34, 1
	s_cselect_b64 s[6:7], -1, 0
	s_and_saveexec_b64 s[0:1], vcc
	s_xor_b64 s[16:17], exec, s[0:1]
	s_cbranch_execz .LBB114_50
; %bb.1:
	s_load_dwordx4 s[12:15], s[4:5], 0x4
	s_load_dwordx2 s[22:23], s[4:5], 0x14
	s_load_dwordx4 s[8:11], s[4:5], 0xc4
	s_load_dwordx2 s[20:21], s[4:5], 0xd4
	s_load_dwordx2 s[18:19], s[4:5], 0x198
	s_load_dwordx4 s[0:3], s[4:5], 0x188
	s_cmp_lg_u32 s33, 0
	s_cselect_b64 s[26:27], -1, 0
	s_min_u32 s35, s34, 15
	s_cmp_gt_u32 s33, 1
	s_cselect_b64 s[24:25], -1, 0
	v_cmp_gt_i32_e32 vcc, s36, v12
	s_and_saveexec_b64 s[28:29], vcc
	s_cbranch_execnz .LBB114_5
; %bb.2:
	s_or_b64 exec, exec, s[28:29]
	v_cmp_gt_i32_e32 vcc, s36, v12
	s_and_saveexec_b64 s[28:29], vcc
	s_cbranch_execnz .LBB114_16
.LBB114_3:
	s_or_b64 exec, exec, s[28:29]
	v_cmp_gt_i32_e32 vcc, s36, v12
	s_and_saveexec_b64 s[28:29], vcc
	s_cbranch_execnz .LBB114_27
.LBB114_4:
	s_or_b64 exec, exec, s[28:29]
	v_cmp_gt_i32_e32 vcc, s36, v12
	s_and_saveexec_b64 s[28:29], vcc
	s_cbranch_execnz .LBB114_38
	s_branch .LBB114_49
.LBB114_5:
	s_andn2_b64 vcc, exec, s[6:7]
	s_cbranch_vccnz .LBB114_12
; %bb.6:
	s_andn2_b64 vcc, exec, s[26:27]
	v_mov_b32_e32 v2, 0
	v_mov_b32_e32 v4, 0
	;; [unrolled: 1-line block ×3, first 2 shown]
	s_cbranch_vccnz .LBB114_11
; %bb.7:
	s_add_i32 s30, s35, 1
	s_and_b32 s37, s30, 30
	s_add_u32 s30, s4, 0xffffffec
	s_addc_u32 s31, s5, -1
	v_mov_b32_e32 v0, 0
	v_mov_b32_e32 v1, v12
	;; [unrolled: 1-line block ×4, first 2 shown]
.LBB114_8:                              ; =>This Inner Loop Header: Depth=1
	s_mov_b64 s[38:39], s[30:31]
	s_load_dwordx4 s[40:43], s[38:39], 0x18
	s_load_dwordx2 s[48:49], s[38:39], 0x28
	s_load_dwordx2 s[50:51], s[38:39], 0xe8
	s_load_dwordx4 s[44:47], s[38:39], 0xd8
	s_add_u32 s30, s38, 24
	s_waitcnt lgkmcnt(0)
	v_mul_hi_u32 v3, s41, v1
	v_add_u32_e32 v3, v1, v3
	v_lshrrev_b32_e32 v3, s42, v3
	v_mul_lo_u32 v5, v3, s40
	v_mul_hi_u32 v6, s48, v3
	v_sub_u32_e32 v1, v1, v5
	v_add_u32_e32 v5, v3, v6
	v_mul_lo_u32 v6, v1, s44
	v_mul_lo_u32 v7, v1, s45
	;; [unrolled: 1-line block ×3, first 2 shown]
	v_lshrrev_b32_e32 v1, s49, v5
	v_mul_lo_u32 v5, v1, s43
	v_sub_u32_e32 v3, v3, v5
	s_addc_u32 s31, s39, 0
	s_add_i32 s37, s37, -2
	v_mul_lo_u32 v5, v3, s47
	v_mul_lo_u32 v9, v3, s50
	;; [unrolled: 1-line block ×3, first 2 shown]
	s_cmp_lg_u32 s37, 0
	v_add3_u32 v0, v6, v0, v5
	v_add3_u32 v2, v8, v2, v3
	;; [unrolled: 1-line block ×3, first 2 shown]
	s_cbranch_scc1 .LBB114_8
; %bb.9:
	s_bitcmp1_b32 s35, 0
	s_cselect_b64 s[38:39], -1, 0
	s_and_b64 vcc, exec, s[38:39]
	s_cbranch_vccnz .LBB114_11
; %bb.10:
	s_load_dwordx2 s[38:39], s[30:31], 0x18
	s_load_dword s37, s[30:31], 0x20
	s_load_dword s42, s[30:31], 0xe0
	s_load_dwordx2 s[40:41], s[30:31], 0xd8
	s_waitcnt lgkmcnt(0)
	v_mul_hi_u32 v3, s39, v1
	v_add_u32_e32 v3, v1, v3
	v_lshrrev_b32_e32 v3, s37, v3
	v_mul_lo_u32 v3, v3, s38
	v_sub_u32_e32 v3, v1, v3
	v_mad_u64_u32 v[0:1], s[30:31], v3, s40, v[0:1]
	v_mad_u64_u32 v[4:5], s[30:31], v3, s41, v[4:5]
	;; [unrolled: 1-line block ×3, first 2 shown]
.LBB114_11:
	s_cbranch_execz .LBB114_13
	s_branch .LBB114_15
.LBB114_12:
                                        ; implicit-def: $vgpr2
                                        ; implicit-def: $vgpr4
                                        ; implicit-def: $vgpr0
.LBB114_13:
	s_waitcnt lgkmcnt(0)
	v_mul_hi_u32 v0, s13, v12
	v_add_u32_e32 v0, v12, v0
	v_lshrrev_b32_e32 v1, s14, v0
	v_mul_lo_u32 v0, v1, s12
	v_sub_u32_e32 v3, v12, v0
	v_mul_lo_u32 v0, v3, s8
	v_mul_lo_u32 v2, v3, s10
	s_andn2_b64 vcc, exec, s[24:25]
	v_mul_lo_u32 v4, v3, s9
	s_cbranch_vccnz .LBB114_15
; %bb.14:
	v_mul_hi_u32 v3, s22, v1
	v_add_u32_e32 v3, v1, v3
	v_lshrrev_b32_e32 v3, s23, v3
	v_mul_lo_u32 v3, v3, s15
	v_sub_u32_e32 v3, v1, v3
	v_mad_u64_u32 v[0:1], s[30:31], v3, s11, v[0:1]
	v_mad_u64_u32 v[4:5], s[30:31], v3, s20, v[4:5]
	;; [unrolled: 1-line block ×3, first 2 shown]
.LBB114_15:
	s_waitcnt lgkmcnt(0)
	global_load_ushort v1, v2, s[18:19]
	global_load_dword v3, v4, s[2:3]
	s_brev_b32 s30, -2
	v_add_u32_e32 v12, 0x80, v12
	s_waitcnt vmcnt(1)
	v_lshlrev_b32_e32 v1, 16, v1
	s_waitcnt vmcnt(0)
	v_bfi_b32 v1, s30, v3, v1
	global_store_dword v0, v1, s[0:1]
	s_or_b64 exec, exec, s[28:29]
	v_cmp_gt_i32_e32 vcc, s36, v12
	s_and_saveexec_b64 s[28:29], vcc
	s_cbranch_execz .LBB114_3
.LBB114_16:
	s_andn2_b64 vcc, exec, s[6:7]
	s_cbranch_vccnz .LBB114_23
; %bb.17:
	s_andn2_b64 vcc, exec, s[26:27]
	v_mov_b32_e32 v2, 0
	v_mov_b32_e32 v4, 0
	;; [unrolled: 1-line block ×3, first 2 shown]
	s_cbranch_vccnz .LBB114_22
; %bb.18:
	s_add_i32 s30, s35, 1
	s_and_b32 s37, s30, 30
	s_add_u32 s30, s4, 0xffffffec
	s_addc_u32 s31, s5, -1
	v_mov_b32_e32 v0, 0
	v_mov_b32_e32 v1, v12
	;; [unrolled: 1-line block ×4, first 2 shown]
.LBB114_19:                             ; =>This Inner Loop Header: Depth=1
	s_mov_b64 s[38:39], s[30:31]
	s_load_dwordx4 s[40:43], s[38:39], 0x18
	s_load_dwordx2 s[48:49], s[38:39], 0x28
	s_load_dwordx2 s[50:51], s[38:39], 0xe8
	s_load_dwordx4 s[44:47], s[38:39], 0xd8
	s_add_u32 s30, s38, 24
	s_waitcnt lgkmcnt(0)
	v_mul_hi_u32 v3, s41, v1
	v_add_u32_e32 v3, v1, v3
	v_lshrrev_b32_e32 v3, s42, v3
	v_mul_lo_u32 v5, v3, s40
	v_mul_hi_u32 v6, s48, v3
	v_sub_u32_e32 v1, v1, v5
	v_add_u32_e32 v5, v3, v6
	v_mul_lo_u32 v6, v1, s44
	v_mul_lo_u32 v7, v1, s45
	;; [unrolled: 1-line block ×3, first 2 shown]
	v_lshrrev_b32_e32 v1, s49, v5
	v_mul_lo_u32 v5, v1, s43
	v_sub_u32_e32 v3, v3, v5
	s_addc_u32 s31, s39, 0
	s_add_i32 s37, s37, -2
	v_mul_lo_u32 v5, v3, s47
	v_mul_lo_u32 v9, v3, s50
	;; [unrolled: 1-line block ×3, first 2 shown]
	s_cmp_eq_u32 s37, 0
	v_add3_u32 v0, v6, v0, v5
	v_add3_u32 v2, v8, v2, v3
	;; [unrolled: 1-line block ×3, first 2 shown]
	s_cbranch_scc0 .LBB114_19
; %bb.20:
	s_bitcmp1_b32 s35, 0
	s_cselect_b64 s[38:39], -1, 0
	s_and_b64 vcc, exec, s[38:39]
	s_cbranch_vccnz .LBB114_22
; %bb.21:
	s_load_dwordx2 s[38:39], s[30:31], 0x18
	s_load_dword s37, s[30:31], 0x20
	s_load_dword s42, s[30:31], 0xe0
	s_load_dwordx2 s[40:41], s[30:31], 0xd8
	s_waitcnt lgkmcnt(0)
	v_mul_hi_u32 v3, s39, v1
	v_add_u32_e32 v3, v1, v3
	v_lshrrev_b32_e32 v3, s37, v3
	v_mul_lo_u32 v3, v3, s38
	v_sub_u32_e32 v3, v1, v3
	v_mad_u64_u32 v[0:1], s[30:31], v3, s40, v[0:1]
	v_mad_u64_u32 v[4:5], s[30:31], v3, s41, v[4:5]
	;; [unrolled: 1-line block ×3, first 2 shown]
.LBB114_22:
	s_cbranch_execz .LBB114_24
	s_branch .LBB114_26
.LBB114_23:
                                        ; implicit-def: $vgpr2
                                        ; implicit-def: $vgpr4
                                        ; implicit-def: $vgpr0
.LBB114_24:
	s_waitcnt lgkmcnt(0)
	v_mul_hi_u32 v0, s13, v12
	v_add_u32_e32 v0, v12, v0
	v_lshrrev_b32_e32 v1, s14, v0
	v_mul_lo_u32 v0, v1, s12
	v_sub_u32_e32 v3, v12, v0
	v_mul_lo_u32 v0, v3, s8
	v_mul_lo_u32 v2, v3, s10
	s_andn2_b64 vcc, exec, s[24:25]
	v_mul_lo_u32 v4, v3, s9
	s_cbranch_vccnz .LBB114_26
; %bb.25:
	v_mul_hi_u32 v3, s22, v1
	v_add_u32_e32 v3, v1, v3
	v_lshrrev_b32_e32 v3, s23, v3
	v_mul_lo_u32 v3, v3, s15
	v_sub_u32_e32 v3, v1, v3
	v_mad_u64_u32 v[0:1], s[30:31], v3, s11, v[0:1]
	v_mad_u64_u32 v[4:5], s[30:31], v3, s20, v[4:5]
	v_mad_u64_u32 v[2:3], s[30:31], v3, s21, v[2:3]
.LBB114_26:
	s_waitcnt lgkmcnt(0)
	global_load_ushort v1, v2, s[18:19]
	global_load_dword v3, v4, s[2:3]
	s_brev_b32 s30, -2
	v_add_u32_e32 v12, 0x80, v12
	s_waitcnt vmcnt(1)
	v_lshlrev_b32_e32 v1, 16, v1
	s_waitcnt vmcnt(0)
	v_bfi_b32 v1, s30, v3, v1
	global_store_dword v0, v1, s[0:1]
	s_or_b64 exec, exec, s[28:29]
	v_cmp_gt_i32_e32 vcc, s36, v12
	s_and_saveexec_b64 s[28:29], vcc
	s_cbranch_execz .LBB114_4
.LBB114_27:
	s_andn2_b64 vcc, exec, s[6:7]
	s_cbranch_vccnz .LBB114_34
; %bb.28:
	s_andn2_b64 vcc, exec, s[26:27]
	v_mov_b32_e32 v2, 0
	v_mov_b32_e32 v4, 0
	;; [unrolled: 1-line block ×3, first 2 shown]
	s_cbranch_vccnz .LBB114_33
; %bb.29:
	s_add_i32 s30, s35, 1
	s_and_b32 s37, s30, 30
	s_add_u32 s30, s4, 0xffffffec
	s_addc_u32 s31, s5, -1
	v_mov_b32_e32 v0, 0
	v_mov_b32_e32 v1, v12
	;; [unrolled: 1-line block ×4, first 2 shown]
.LBB114_30:                             ; =>This Inner Loop Header: Depth=1
	s_mov_b64 s[38:39], s[30:31]
	s_load_dwordx4 s[40:43], s[38:39], 0x18
	s_load_dwordx2 s[48:49], s[38:39], 0x28
	s_load_dwordx2 s[50:51], s[38:39], 0xe8
	s_load_dwordx4 s[44:47], s[38:39], 0xd8
	s_add_u32 s30, s38, 24
	s_waitcnt lgkmcnt(0)
	v_mul_hi_u32 v3, s41, v1
	v_add_u32_e32 v3, v1, v3
	v_lshrrev_b32_e32 v3, s42, v3
	v_mul_lo_u32 v5, v3, s40
	v_mul_hi_u32 v6, s48, v3
	v_sub_u32_e32 v1, v1, v5
	v_add_u32_e32 v5, v3, v6
	v_mul_lo_u32 v6, v1, s44
	v_mul_lo_u32 v7, v1, s45
	;; [unrolled: 1-line block ×3, first 2 shown]
	v_lshrrev_b32_e32 v1, s49, v5
	v_mul_lo_u32 v5, v1, s43
	v_sub_u32_e32 v3, v3, v5
	s_addc_u32 s31, s39, 0
	s_add_i32 s37, s37, -2
	v_mul_lo_u32 v5, v3, s47
	v_mul_lo_u32 v9, v3, s50
	;; [unrolled: 1-line block ×3, first 2 shown]
	s_cmp_eq_u32 s37, 0
	v_add3_u32 v0, v6, v0, v5
	v_add3_u32 v2, v8, v2, v3
	;; [unrolled: 1-line block ×3, first 2 shown]
	s_cbranch_scc0 .LBB114_30
; %bb.31:
	s_bitcmp1_b32 s35, 0
	s_cselect_b64 s[38:39], -1, 0
	s_and_b64 vcc, exec, s[38:39]
	s_cbranch_vccnz .LBB114_33
; %bb.32:
	s_load_dwordx2 s[38:39], s[30:31], 0x18
	s_load_dword s37, s[30:31], 0x20
	s_load_dword s42, s[30:31], 0xe0
	s_load_dwordx2 s[40:41], s[30:31], 0xd8
	s_waitcnt lgkmcnt(0)
	v_mul_hi_u32 v3, s39, v1
	v_add_u32_e32 v3, v1, v3
	v_lshrrev_b32_e32 v3, s37, v3
	v_mul_lo_u32 v3, v3, s38
	v_sub_u32_e32 v3, v1, v3
	v_mad_u64_u32 v[0:1], s[30:31], v3, s40, v[0:1]
	v_mad_u64_u32 v[4:5], s[30:31], v3, s41, v[4:5]
	;; [unrolled: 1-line block ×3, first 2 shown]
.LBB114_33:
	s_cbranch_execz .LBB114_35
	s_branch .LBB114_37
.LBB114_34:
                                        ; implicit-def: $vgpr2
                                        ; implicit-def: $vgpr4
                                        ; implicit-def: $vgpr0
.LBB114_35:
	s_waitcnt lgkmcnt(0)
	v_mul_hi_u32 v0, s13, v12
	v_add_u32_e32 v0, v12, v0
	v_lshrrev_b32_e32 v1, s14, v0
	v_mul_lo_u32 v0, v1, s12
	v_sub_u32_e32 v3, v12, v0
	v_mul_lo_u32 v0, v3, s8
	v_mul_lo_u32 v2, v3, s10
	s_andn2_b64 vcc, exec, s[24:25]
	v_mul_lo_u32 v4, v3, s9
	s_cbranch_vccnz .LBB114_37
; %bb.36:
	v_mul_hi_u32 v3, s22, v1
	v_add_u32_e32 v3, v1, v3
	v_lshrrev_b32_e32 v3, s23, v3
	v_mul_lo_u32 v3, v3, s15
	v_sub_u32_e32 v3, v1, v3
	v_mad_u64_u32 v[0:1], s[30:31], v3, s11, v[0:1]
	v_mad_u64_u32 v[4:5], s[30:31], v3, s20, v[4:5]
	;; [unrolled: 1-line block ×3, first 2 shown]
.LBB114_37:
	s_waitcnt lgkmcnt(0)
	global_load_ushort v1, v2, s[18:19]
	global_load_dword v3, v4, s[2:3]
	s_brev_b32 s30, -2
	v_add_u32_e32 v12, 0x80, v12
	s_waitcnt vmcnt(1)
	v_lshlrev_b32_e32 v1, 16, v1
	s_waitcnt vmcnt(0)
	v_bfi_b32 v1, s30, v3, v1
	global_store_dword v0, v1, s[0:1]
	s_or_b64 exec, exec, s[28:29]
	v_cmp_gt_i32_e32 vcc, s36, v12
	s_and_saveexec_b64 s[28:29], vcc
	s_cbranch_execz .LBB114_49
.LBB114_38:
	s_andn2_b64 vcc, exec, s[6:7]
	s_cbranch_vccnz .LBB114_45
; %bb.39:
	s_andn2_b64 vcc, exec, s[26:27]
	v_mov_b32_e32 v2, 0
	v_mov_b32_e32 v4, 0
	;; [unrolled: 1-line block ×3, first 2 shown]
	s_cbranch_vccnz .LBB114_44
; %bb.40:
	s_add_i32 s26, s35, 1
	s_and_b32 s30, s26, 30
	s_add_u32 s26, s4, 0xffffffec
	s_addc_u32 s27, s5, -1
	v_mov_b32_e32 v0, 0
	v_mov_b32_e32 v1, v12
	;; [unrolled: 1-line block ×4, first 2 shown]
.LBB114_41:                             ; =>This Inner Loop Header: Depth=1
	s_mov_b64 s[44:45], s[26:27]
	s_load_dwordx4 s[36:39], s[44:45], 0x18
	s_load_dwordx2 s[46:47], s[44:45], 0x28
	s_load_dwordx2 s[48:49], s[44:45], 0xe8
	s_load_dwordx4 s[40:43], s[44:45], 0xd8
	s_add_u32 s26, s44, 24
	s_waitcnt lgkmcnt(0)
	v_mul_hi_u32 v3, s37, v1
	v_add_u32_e32 v3, v1, v3
	v_lshrrev_b32_e32 v3, s38, v3
	v_mul_lo_u32 v5, v3, s36
	v_mul_hi_u32 v6, s46, v3
	v_sub_u32_e32 v1, v1, v5
	v_add_u32_e32 v5, v3, v6
	v_mul_lo_u32 v6, v1, s40
	v_mul_lo_u32 v7, v1, s41
	;; [unrolled: 1-line block ×3, first 2 shown]
	v_lshrrev_b32_e32 v1, s47, v5
	v_mul_lo_u32 v5, v1, s39
	v_sub_u32_e32 v3, v3, v5
	s_addc_u32 s27, s45, 0
	s_add_i32 s30, s30, -2
	v_mul_lo_u32 v5, v3, s43
	v_mul_lo_u32 v9, v3, s48
	;; [unrolled: 1-line block ×3, first 2 shown]
	s_cmp_eq_u32 s30, 0
	v_add3_u32 v0, v6, v0, v5
	v_add3_u32 v2, v8, v2, v3
	;; [unrolled: 1-line block ×3, first 2 shown]
	s_cbranch_scc0 .LBB114_41
; %bb.42:
	s_bitcmp1_b32 s35, 0
	s_cselect_b64 s[30:31], -1, 0
	s_and_b64 vcc, exec, s[30:31]
	s_cbranch_vccnz .LBB114_44
; %bb.43:
	s_load_dwordx2 s[30:31], s[26:27], 0x18
	s_load_dword s35, s[26:27], 0x20
	s_load_dword s38, s[26:27], 0xe0
	s_load_dwordx2 s[36:37], s[26:27], 0xd8
	s_waitcnt lgkmcnt(0)
	v_mul_hi_u32 v3, s31, v1
	v_add_u32_e32 v3, v1, v3
	v_lshrrev_b32_e32 v3, s35, v3
	v_mul_lo_u32 v3, v3, s30
	v_sub_u32_e32 v3, v1, v3
	v_mad_u64_u32 v[0:1], s[26:27], v3, s36, v[0:1]
	v_mad_u64_u32 v[4:5], s[26:27], v3, s37, v[4:5]
	;; [unrolled: 1-line block ×3, first 2 shown]
.LBB114_44:
	s_cbranch_execz .LBB114_46
	s_branch .LBB114_48
.LBB114_45:
                                        ; implicit-def: $vgpr2
                                        ; implicit-def: $vgpr4
                                        ; implicit-def: $vgpr0
.LBB114_46:
	s_waitcnt lgkmcnt(0)
	v_mul_hi_u32 v0, s13, v12
	v_add_u32_e32 v0, v12, v0
	v_lshrrev_b32_e32 v1, s14, v0
	v_mul_lo_u32 v0, v1, s12
	v_sub_u32_e32 v3, v12, v0
	v_mul_lo_u32 v0, v3, s8
	v_mul_lo_u32 v2, v3, s10
	s_andn2_b64 vcc, exec, s[24:25]
	v_mul_lo_u32 v4, v3, s9
	s_cbranch_vccnz .LBB114_48
; %bb.47:
	v_mul_hi_u32 v3, s22, v1
	v_add_u32_e32 v3, v1, v3
	v_lshrrev_b32_e32 v3, s23, v3
	v_mul_lo_u32 v3, v3, s15
	v_sub_u32_e32 v3, v1, v3
	v_mad_u64_u32 v[0:1], s[8:9], v3, s11, v[0:1]
	v_mad_u64_u32 v[4:5], s[8:9], v3, s20, v[4:5]
	;; [unrolled: 1-line block ×3, first 2 shown]
.LBB114_48:
	s_waitcnt lgkmcnt(0)
	global_load_ushort v1, v2, s[18:19]
	global_load_dword v3, v4, s[2:3]
	s_brev_b32 s2, -2
	s_waitcnt vmcnt(1)
	v_lshlrev_b32_e32 v1, 16, v1
	s_waitcnt vmcnt(0)
	v_bfi_b32 v1, s2, v3, v1
	global_store_dword v0, v1, s[0:1]
.LBB114_49:
	s_or_b64 exec, exec, s[28:29]
                                        ; implicit-def: $vgpr24
                                        ; implicit-def: $vgpr12
.LBB114_50:
	s_waitcnt lgkmcnt(0)
	s_andn2_saveexec_b64 s[0:1], s[16:17]
	s_cbranch_execz .LBB114_57
; %bb.51:
	v_cndmask_b32_e64 v0, 0, 1, s[6:7]
	v_cmp_ne_u32_e64 s[0:1], 1, v0
	s_andn2_b64 vcc, exec, s[6:7]
	s_cbranch_vccnz .LBB114_58
; %bb.52:
	s_cmp_lg_u32 s33, 0
	v_mov_b32_e32 v4, 0
	v_mov_b32_e32 v2, 0
	;; [unrolled: 1-line block ×3, first 2 shown]
	s_cbranch_scc0 .LBB114_59
; %bb.53:
	s_min_u32 s6, s34, 15
	s_add_i32 s2, s6, 1
	s_and_b32 s7, s2, 30
	s_add_u32 s2, s4, 0xffffffec
	s_addc_u32 s3, s5, -1
	v_mov_b32_e32 v0, 0
	v_mov_b32_e32 v1, v12
	;; [unrolled: 1-line block ×4, first 2 shown]
.LBB114_54:                             ; =>This Inner Loop Header: Depth=1
	s_mov_b64 s[16:17], s[2:3]
	s_load_dwordx4 s[8:11], s[16:17], 0x18
	s_load_dwordx2 s[18:19], s[16:17], 0x28
	s_load_dwordx2 s[20:21], s[16:17], 0xe8
	s_load_dwordx4 s[12:15], s[16:17], 0xd8
	s_add_u32 s2, s16, 24
	s_waitcnt lgkmcnt(0)
	v_mul_hi_u32 v3, s9, v1
	v_add_u32_e32 v3, v1, v3
	v_lshrrev_b32_e32 v3, s10, v3
	v_mul_lo_u32 v5, v3, s8
	v_mul_hi_u32 v6, s18, v3
	v_sub_u32_e32 v1, v1, v5
	v_add_u32_e32 v5, v3, v6
	v_mul_lo_u32 v6, v1, s12
	v_mul_lo_u32 v7, v1, s13
	;; [unrolled: 1-line block ×3, first 2 shown]
	v_lshrrev_b32_e32 v1, s19, v5
	v_mul_lo_u32 v5, v1, s11
	v_sub_u32_e32 v3, v3, v5
	s_addc_u32 s3, s17, 0
	s_add_i32 s7, s7, -2
	v_mul_lo_u32 v5, v3, s15
	v_mul_lo_u32 v9, v3, s20
	;; [unrolled: 1-line block ×3, first 2 shown]
	s_cmp_lg_u32 s7, 0
	v_add3_u32 v0, v6, v0, v5
	v_add3_u32 v4, v8, v4, v3
	;; [unrolled: 1-line block ×3, first 2 shown]
	s_cbranch_scc1 .LBB114_54
; %bb.55:
	s_bitcmp1_b32 s6, 0
	s_cselect_b64 s[6:7], -1, 0
	s_and_b64 vcc, exec, s[6:7]
	s_cbranch_vccnz .LBB114_59
; %bb.56:
	s_load_dwordx2 s[6:7], s[2:3], 0x18
	s_load_dword s10, s[2:3], 0x20
	s_load_dword s11, s[2:3], 0xe0
	s_load_dwordx2 s[8:9], s[2:3], 0xd8
	s_waitcnt lgkmcnt(0)
	v_mul_hi_u32 v3, s7, v1
	v_add_u32_e32 v3, v1, v3
	v_lshrrev_b32_e32 v3, s10, v3
	v_mul_lo_u32 v3, v3, s6
	v_sub_u32_e32 v5, v1, v3
	v_mad_u64_u32 v[0:1], s[2:3], v5, s8, v[0:1]
	v_mad_u64_u32 v[2:3], s[2:3], v5, s9, v[2:3]
	;; [unrolled: 1-line block ×3, first 2 shown]
	s_cbranch_execz .LBB114_60
	s_branch .LBB114_62
.LBB114_57:
	s_endpgm
.LBB114_58:
                                        ; implicit-def: $vgpr4
                                        ; implicit-def: $vgpr2
                                        ; implicit-def: $vgpr0
	s_branch .LBB114_60
.LBB114_59:
	s_cbranch_execnz .LBB114_62
.LBB114_60:
	s_load_dwordx4 s[8:11], s[4:5], 0x4
	s_load_dwordx4 s[12:15], s[4:5], 0xc4
	s_cmp_lt_u32 s33, 2
	s_waitcnt lgkmcnt(0)
	v_mul_hi_u32 v0, s9, v12
	v_add_u32_e32 v0, v12, v0
	v_lshrrev_b32_e32 v1, s10, v0
	v_mul_lo_u32 v0, v1, s8
	v_sub_u32_e32 v2, v12, v0
	v_mul_lo_u32 v0, v2, s12
	v_mul_lo_u32 v4, v2, s14
	;; [unrolled: 1-line block ×3, first 2 shown]
	s_cbranch_scc1 .LBB114_62
; %bb.61:
	s_load_dwordx4 s[8:11], s[4:5], 0x10
	s_load_dwordx4 s[12:15], s[4:5], 0xd0
	s_waitcnt lgkmcnt(0)
	v_mul_hi_u32 v3, s9, v1
	v_add_u32_e32 v3, v1, v3
	v_lshrrev_b32_e32 v3, s10, v3
	v_mul_lo_u32 v3, v3, s8
	v_sub_u32_e32 v5, v1, v3
	v_mad_u64_u32 v[0:1], s[2:3], v5, s12, v[0:1]
	v_mad_u64_u32 v[2:3], s[2:3], v5, s13, v[2:3]
	;; [unrolled: 1-line block ×3, first 2 shown]
.LBB114_62:
	s_and_b64 vcc, exec, s[0:1]
	v_add_u32_e32 v1, 0x80, v12
	s_cbranch_vccnz .LBB114_68
; %bb.63:
	s_cmp_lg_u32 s33, 0
	v_mov_b32_e32 v8, 0
	v_mov_b32_e32 v10, 0
	;; [unrolled: 1-line block ×3, first 2 shown]
	s_cbranch_scc0 .LBB114_69
; %bb.64:
	s_min_u32 s6, s34, 15
	s_add_i32 s2, s6, 1
	s_and_b32 s7, s2, 30
	s_add_u32 s2, s4, 0xffffffec
	s_addc_u32 s3, s5, -1
	v_mov_b32_e32 v6, 0
	v_mov_b32_e32 v3, v1
	;; [unrolled: 1-line block ×4, first 2 shown]
.LBB114_65:                             ; =>This Inner Loop Header: Depth=1
	s_mov_b64 s[16:17], s[2:3]
	s_load_dwordx4 s[8:11], s[16:17], 0x18
	s_load_dwordx2 s[18:19], s[16:17], 0x28
	s_load_dwordx2 s[20:21], s[16:17], 0xe8
	s_load_dwordx4 s[12:15], s[16:17], 0xd8
	s_add_u32 s2, s16, 24
	s_waitcnt lgkmcnt(0)
	v_mul_hi_u32 v5, s9, v3
	v_add_u32_e32 v5, v3, v5
	v_lshrrev_b32_e32 v5, s10, v5
	v_mul_lo_u32 v7, v5, s8
	v_mul_hi_u32 v9, s18, v5
	v_sub_u32_e32 v3, v3, v7
	v_add_u32_e32 v7, v5, v9
	v_mul_lo_u32 v9, v3, s12
	v_mul_lo_u32 v11, v3, s13
	;; [unrolled: 1-line block ×3, first 2 shown]
	v_lshrrev_b32_e32 v3, s19, v7
	v_mul_lo_u32 v7, v3, s11
	v_sub_u32_e32 v5, v5, v7
	s_addc_u32 s3, s17, 0
	s_add_i32 s7, s7, -2
	v_mul_lo_u32 v7, v5, s15
	v_mul_lo_u32 v14, v5, s20
	;; [unrolled: 1-line block ×3, first 2 shown]
	s_cmp_lg_u32 s7, 0
	v_add3_u32 v6, v9, v6, v7
	v_add3_u32 v8, v13, v8, v5
	;; [unrolled: 1-line block ×3, first 2 shown]
	s_cbranch_scc1 .LBB114_65
; %bb.66:
	s_bitcmp1_b32 s6, 0
	s_cselect_b64 s[6:7], -1, 0
	s_and_b64 vcc, exec, s[6:7]
	s_cbranch_vccnz .LBB114_69
; %bb.67:
	s_load_dwordx2 s[6:7], s[2:3], 0x18
	s_load_dword s10, s[2:3], 0x20
	s_load_dword s11, s[2:3], 0xe0
	s_load_dwordx2 s[8:9], s[2:3], 0xd8
	s_waitcnt lgkmcnt(0)
	v_mul_hi_u32 v5, s7, v3
	v_add_u32_e32 v5, v3, v5
	v_lshrrev_b32_e32 v5, s10, v5
	v_mul_lo_u32 v5, v5, s6
	v_sub_u32_e32 v3, v3, v5
	v_mad_u64_u32 v[6:7], s[2:3], v3, s8, v[6:7]
	v_mad_u64_u32 v[10:11], s[2:3], v3, s9, v[10:11]
	;; [unrolled: 1-line block ×3, first 2 shown]
	s_cbranch_execz .LBB114_70
	s_branch .LBB114_72
.LBB114_68:
                                        ; implicit-def: $vgpr8
                                        ; implicit-def: $vgpr10
                                        ; implicit-def: $vgpr6
	s_branch .LBB114_70
.LBB114_69:
	s_cbranch_execnz .LBB114_72
.LBB114_70:
	s_load_dwordx4 s[8:11], s[4:5], 0x4
	s_load_dwordx4 s[12:15], s[4:5], 0xc4
	s_cmp_lt_u32 s33, 2
	s_waitcnt lgkmcnt(0)
	v_mul_hi_u32 v3, s9, v1
	v_add_u32_e32 v3, v1, v3
	v_lshrrev_b32_e32 v3, s10, v3
	v_mul_lo_u32 v5, v3, s8
	v_sub_u32_e32 v1, v1, v5
	v_mul_lo_u32 v6, v1, s12
	v_mul_lo_u32 v8, v1, s14
	;; [unrolled: 1-line block ×3, first 2 shown]
	s_cbranch_scc1 .LBB114_72
; %bb.71:
	s_load_dwordx4 s[8:11], s[4:5], 0x10
	s_load_dwordx4 s[12:15], s[4:5], 0xd0
	s_waitcnt lgkmcnt(0)
	v_mul_hi_u32 v1, s9, v3
	v_add_u32_e32 v1, v3, v1
	v_lshrrev_b32_e32 v1, s10, v1
	v_mul_lo_u32 v1, v1, s8
	v_sub_u32_e32 v1, v3, v1
	v_mad_u64_u32 v[6:7], s[2:3], v1, s12, v[6:7]
	v_mad_u64_u32 v[10:11], s[2:3], v1, s13, v[10:11]
	;; [unrolled: 1-line block ×3, first 2 shown]
.LBB114_72:
	s_and_b64 vcc, exec, s[0:1]
	v_add_u32_e32 v1, 0x100, v12
	s_cbranch_vccnz .LBB114_78
; %bb.73:
	s_cmp_lg_u32 s33, 0
	v_mov_b32_e32 v14, 0
	v_mov_b32_e32 v16, 0
	v_mov_b32_e32 v12, 0
	s_cbranch_scc0 .LBB114_79
; %bb.74:
	s_min_u32 s6, s34, 15
	s_add_i32 s2, s6, 1
	s_and_b32 s7, s2, 30
	s_add_u32 s2, s4, 0xffffffec
	s_addc_u32 s3, s5, -1
	v_mov_b32_e32 v12, 0
	v_mov_b32_e32 v3, v1
	;; [unrolled: 1-line block ×4, first 2 shown]
.LBB114_75:                             ; =>This Inner Loop Header: Depth=1
	s_mov_b64 s[16:17], s[2:3]
	s_load_dwordx4 s[8:11], s[16:17], 0x18
	s_load_dwordx2 s[18:19], s[16:17], 0x28
	s_load_dwordx2 s[20:21], s[16:17], 0xe8
	s_load_dwordx4 s[12:15], s[16:17], 0xd8
	s_add_u32 s2, s16, 24
	s_waitcnt lgkmcnt(0)
	v_mul_hi_u32 v5, s9, v3
	v_add_u32_e32 v5, v3, v5
	v_lshrrev_b32_e32 v5, s10, v5
	v_mul_lo_u32 v7, v5, s8
	v_mul_hi_u32 v9, s18, v5
	v_sub_u32_e32 v3, v3, v7
	v_add_u32_e32 v7, v5, v9
	v_mul_lo_u32 v9, v3, s12
	v_mul_lo_u32 v11, v3, s13
	;; [unrolled: 1-line block ×3, first 2 shown]
	v_lshrrev_b32_e32 v3, s19, v7
	v_mul_lo_u32 v7, v3, s11
	v_sub_u32_e32 v5, v5, v7
	s_addc_u32 s3, s17, 0
	s_add_i32 s7, s7, -2
	v_mul_lo_u32 v7, v5, s15
	v_mul_lo_u32 v15, v5, s20
	;; [unrolled: 1-line block ×3, first 2 shown]
	s_cmp_lg_u32 s7, 0
	v_add3_u32 v12, v9, v12, v7
	v_add3_u32 v14, v13, v14, v5
	;; [unrolled: 1-line block ×3, first 2 shown]
	s_cbranch_scc1 .LBB114_75
; %bb.76:
	s_bitcmp1_b32 s6, 0
	s_cselect_b64 s[6:7], -1, 0
	s_and_b64 vcc, exec, s[6:7]
	s_cbranch_vccnz .LBB114_79
; %bb.77:
	s_load_dwordx2 s[6:7], s[2:3], 0x18
	s_load_dword s10, s[2:3], 0x20
	s_load_dword s11, s[2:3], 0xe0
	s_load_dwordx2 s[8:9], s[2:3], 0xd8
	s_waitcnt lgkmcnt(0)
	v_mul_hi_u32 v5, s7, v3
	v_add_u32_e32 v5, v3, v5
	v_lshrrev_b32_e32 v5, s10, v5
	v_mul_lo_u32 v5, v5, s6
	v_sub_u32_e32 v3, v3, v5
	v_mad_u64_u32 v[12:13], s[2:3], v3, s8, v[12:13]
	v_mad_u64_u32 v[16:17], s[2:3], v3, s9, v[16:17]
	v_mad_u64_u32 v[14:15], s[2:3], v3, s11, v[14:15]
	s_cbranch_execz .LBB114_80
	s_branch .LBB114_82
.LBB114_78:
                                        ; implicit-def: $vgpr14
                                        ; implicit-def: $vgpr16
                                        ; implicit-def: $vgpr12
	s_branch .LBB114_80
.LBB114_79:
	s_cbranch_execnz .LBB114_82
.LBB114_80:
	s_load_dwordx4 s[8:11], s[4:5], 0x4
	s_load_dwordx4 s[12:15], s[4:5], 0xc4
	s_cmp_lt_u32 s33, 2
	s_waitcnt lgkmcnt(0)
	v_mul_hi_u32 v3, s9, v1
	v_add_u32_e32 v3, v1, v3
	v_lshrrev_b32_e32 v3, s10, v3
	v_mul_lo_u32 v5, v3, s8
	v_sub_u32_e32 v1, v1, v5
	v_mul_lo_u32 v12, v1, s12
	v_mul_lo_u32 v14, v1, s14
	;; [unrolled: 1-line block ×3, first 2 shown]
	s_cbranch_scc1 .LBB114_82
; %bb.81:
	s_load_dwordx4 s[8:11], s[4:5], 0x10
	s_load_dwordx4 s[12:15], s[4:5], 0xd0
	s_waitcnt lgkmcnt(0)
	v_mul_hi_u32 v1, s9, v3
	v_add_u32_e32 v1, v3, v1
	v_lshrrev_b32_e32 v1, s10, v1
	v_mul_lo_u32 v1, v1, s8
	v_sub_u32_e32 v1, v3, v1
	v_mad_u64_u32 v[12:13], s[2:3], v1, s12, v[12:13]
	v_mad_u64_u32 v[16:17], s[2:3], v1, s13, v[16:17]
	;; [unrolled: 1-line block ×3, first 2 shown]
.LBB114_82:
	s_and_b64 vcc, exec, s[0:1]
	s_cbranch_vccnz .LBB114_88
; %bb.83:
	s_cmp_lg_u32 s33, 0
	v_mov_b32_e32 v20, 0
	v_mov_b32_e32 v22, 0
	;; [unrolled: 1-line block ×3, first 2 shown]
	s_cbranch_scc0 .LBB114_89
; %bb.84:
	s_min_u32 s2, s34, 15
	s_add_i32 s0, s2, 1
	s_and_b32 s3, s0, 30
	s_add_u32 s0, s4, 0xffffffec
	s_addc_u32 s1, s5, -1
	v_mov_b32_e32 v18, 0
	v_mov_b32_e32 v1, v24
	;; [unrolled: 1-line block ×4, first 2 shown]
.LBB114_85:                             ; =>This Inner Loop Header: Depth=1
	s_mov_b64 s[6:7], s[0:1]
	s_load_dwordx4 s[8:11], s[6:7], 0x18
	s_load_dwordx2 s[16:17], s[6:7], 0x28
	s_load_dwordx2 s[18:19], s[6:7], 0xe8
	s_load_dwordx4 s[12:15], s[6:7], 0xd8
	s_add_u32 s0, s6, 24
	s_waitcnt lgkmcnt(0)
	v_mul_hi_u32 v3, s9, v1
	v_add_u32_e32 v3, v1, v3
	v_lshrrev_b32_e32 v3, s10, v3
	v_mul_lo_u32 v5, v3, s8
	v_mul_hi_u32 v7, s16, v3
	v_sub_u32_e32 v1, v1, v5
	v_add_u32_e32 v5, v3, v7
	v_mul_lo_u32 v7, v1, s12
	v_mul_lo_u32 v9, v1, s13
	;; [unrolled: 1-line block ×3, first 2 shown]
	v_lshrrev_b32_e32 v1, s17, v5
	v_mul_lo_u32 v5, v1, s11
	v_sub_u32_e32 v3, v3, v5
	s_addc_u32 s1, s7, 0
	s_add_i32 s3, s3, -2
	v_mul_lo_u32 v5, v3, s15
	v_mul_lo_u32 v13, v3, s18
	;; [unrolled: 1-line block ×3, first 2 shown]
	s_cmp_lg_u32 s3, 0
	v_add3_u32 v18, v7, v18, v5
	v_add3_u32 v20, v11, v20, v3
	;; [unrolled: 1-line block ×3, first 2 shown]
	s_cbranch_scc1 .LBB114_85
; %bb.86:
	s_bitcmp1_b32 s2, 0
	s_cselect_b64 s[2:3], -1, 0
	s_and_b64 vcc, exec, s[2:3]
	s_cbranch_vccnz .LBB114_89
; %bb.87:
	s_load_dwordx2 s[2:3], s[0:1], 0x18
	s_load_dword s8, s[0:1], 0x20
	s_load_dword s9, s[0:1], 0xe0
	s_load_dwordx2 s[6:7], s[0:1], 0xd8
	s_waitcnt lgkmcnt(0)
	v_mul_hi_u32 v3, s3, v1
	v_add_u32_e32 v3, v1, v3
	v_lshrrev_b32_e32 v3, s8, v3
	v_mul_lo_u32 v3, v3, s2
	v_sub_u32_e32 v1, v1, v3
	v_mad_u64_u32 v[18:19], s[0:1], v1, s6, v[18:19]
	v_mad_u64_u32 v[22:23], s[0:1], v1, s7, v[22:23]
	;; [unrolled: 1-line block ×3, first 2 shown]
	s_cbranch_execz .LBB114_90
	s_branch .LBB114_92
.LBB114_88:
                                        ; implicit-def: $vgpr20
                                        ; implicit-def: $vgpr22
                                        ; implicit-def: $vgpr18
	s_branch .LBB114_90
.LBB114_89:
	s_cbranch_execnz .LBB114_92
.LBB114_90:
	s_load_dwordx4 s[0:3], s[4:5], 0x4
	s_load_dwordx4 s[8:11], s[4:5], 0xc4
	s_cmp_lt_u32 s33, 2
	s_waitcnt lgkmcnt(0)
	v_mul_hi_u32 v1, s1, v24
	v_add_u32_e32 v1, v24, v1
	v_lshrrev_b32_e32 v1, s2, v1
	v_mul_lo_u32 v3, v1, s0
	v_sub_u32_e32 v3, v24, v3
	v_mul_lo_u32 v18, v3, s8
	v_mul_lo_u32 v20, v3, s10
	;; [unrolled: 1-line block ×3, first 2 shown]
	s_cbranch_scc1 .LBB114_92
; %bb.91:
	s_load_dwordx4 s[0:3], s[4:5], 0x10
	s_load_dwordx4 s[8:11], s[4:5], 0xd0
	s_waitcnt lgkmcnt(0)
	v_mul_hi_u32 v3, s1, v1
	v_add_u32_e32 v3, v1, v3
	v_lshrrev_b32_e32 v3, s2, v3
	v_mul_lo_u32 v3, v3, s0
	v_sub_u32_e32 v1, v1, v3
	v_mad_u64_u32 v[18:19], s[0:1], v1, s8, v[18:19]
	v_mad_u64_u32 v[22:23], s[0:1], v1, s9, v[22:23]
	;; [unrolled: 1-line block ×3, first 2 shown]
.LBB114_92:
	s_load_dwordx2 s[6:7], s[4:5], 0x198
	s_load_dwordx4 s[0:3], s[4:5], 0x188
	s_waitcnt lgkmcnt(0)
	global_load_ushort v1, v4, s[6:7]
	global_load_ushort v3, v8, s[6:7]
	;; [unrolled: 1-line block ×4, first 2 shown]
	global_load_dword v9, v2, s[2:3]
	global_load_dword v11, v10, s[2:3]
	;; [unrolled: 1-line block ×4, first 2 shown]
	s_brev_b32 s2, -2
	s_waitcnt vmcnt(7)
	v_lshlrev_b32_e32 v1, 16, v1
	s_waitcnt vmcnt(6)
	v_lshlrev_b32_e32 v2, 16, v3
	;; [unrolled: 2-line block ×4, first 2 shown]
	s_waitcnt vmcnt(3)
	v_bfi_b32 v1, s2, v9, v1
	s_waitcnt vmcnt(2)
	v_bfi_b32 v2, s2, v11, v2
	;; [unrolled: 2-line block ×4, first 2 shown]
	global_store_dword v0, v1, s[0:1]
	global_store_dword v6, v2, s[0:1]
	;; [unrolled: 1-line block ×4, first 2 shown]
	s_endpgm
	.section	.rodata,"a",@progbits
	.p2align	6, 0x0
	.amdhsa_kernel _ZN2at6native32elementwise_kernel_manual_unrollILi128ELi4EZNS0_12_GLOBAL__N_142type_specialized_broadcast_kernel_launcherILi0EE5applyINS0_13BinaryFunctorIfffZZZNS0_20copysign_kernel_cudaERNS_18TensorIteratorBaseEENKUlvE_clEvENKUlvE0_clEvEUlffE_EESt5arrayIPcLm3EESD_IN3c1010ScalarTypeELm3EE16OffsetCalculatorILi3EjLb0EEEEvlT_T0_T1_T2_EUlibE_EEviSN_
		.amdhsa_group_segment_fixed_size 0
		.amdhsa_private_segment_fixed_size 0
		.amdhsa_kernarg_size 432
		.amdhsa_user_sgpr_count 6
		.amdhsa_user_sgpr_private_segment_buffer 1
		.amdhsa_user_sgpr_dispatch_ptr 0
		.amdhsa_user_sgpr_queue_ptr 0
		.amdhsa_user_sgpr_kernarg_segment_ptr 1
		.amdhsa_user_sgpr_dispatch_id 0
		.amdhsa_user_sgpr_flat_scratch_init 0
		.amdhsa_user_sgpr_kernarg_preload_length 0
		.amdhsa_user_sgpr_kernarg_preload_offset 0
		.amdhsa_user_sgpr_private_segment_size 0
		.amdhsa_uses_dynamic_stack 0
		.amdhsa_system_sgpr_private_segment_wavefront_offset 0
		.amdhsa_system_sgpr_workgroup_id_x 1
		.amdhsa_system_sgpr_workgroup_id_y 0
		.amdhsa_system_sgpr_workgroup_id_z 0
		.amdhsa_system_sgpr_workgroup_info 0
		.amdhsa_system_vgpr_workitem_id 0
		.amdhsa_next_free_vgpr 25
		.amdhsa_next_free_sgpr 52
		.amdhsa_accum_offset 28
		.amdhsa_reserve_vcc 1
		.amdhsa_reserve_flat_scratch 0
		.amdhsa_float_round_mode_32 0
		.amdhsa_float_round_mode_16_64 0
		.amdhsa_float_denorm_mode_32 3
		.amdhsa_float_denorm_mode_16_64 3
		.amdhsa_dx10_clamp 1
		.amdhsa_ieee_mode 1
		.amdhsa_fp16_overflow 0
		.amdhsa_tg_split 0
		.amdhsa_exception_fp_ieee_invalid_op 0
		.amdhsa_exception_fp_denorm_src 0
		.amdhsa_exception_fp_ieee_div_zero 0
		.amdhsa_exception_fp_ieee_overflow 0
		.amdhsa_exception_fp_ieee_underflow 0
		.amdhsa_exception_fp_ieee_inexact 0
		.amdhsa_exception_int_div_zero 0
	.end_amdhsa_kernel
	.section	.text._ZN2at6native32elementwise_kernel_manual_unrollILi128ELi4EZNS0_12_GLOBAL__N_142type_specialized_broadcast_kernel_launcherILi0EE5applyINS0_13BinaryFunctorIfffZZZNS0_20copysign_kernel_cudaERNS_18TensorIteratorBaseEENKUlvE_clEvENKUlvE0_clEvEUlffE_EESt5arrayIPcLm3EESD_IN3c1010ScalarTypeELm3EE16OffsetCalculatorILi3EjLb0EEEEvlT_T0_T1_T2_EUlibE_EEviSN_,"axG",@progbits,_ZN2at6native32elementwise_kernel_manual_unrollILi128ELi4EZNS0_12_GLOBAL__N_142type_specialized_broadcast_kernel_launcherILi0EE5applyINS0_13BinaryFunctorIfffZZZNS0_20copysign_kernel_cudaERNS_18TensorIteratorBaseEENKUlvE_clEvENKUlvE0_clEvEUlffE_EESt5arrayIPcLm3EESD_IN3c1010ScalarTypeELm3EE16OffsetCalculatorILi3EjLb0EEEEvlT_T0_T1_T2_EUlibE_EEviSN_,comdat
.Lfunc_end114:
	.size	_ZN2at6native32elementwise_kernel_manual_unrollILi128ELi4EZNS0_12_GLOBAL__N_142type_specialized_broadcast_kernel_launcherILi0EE5applyINS0_13BinaryFunctorIfffZZZNS0_20copysign_kernel_cudaERNS_18TensorIteratorBaseEENKUlvE_clEvENKUlvE0_clEvEUlffE_EESt5arrayIPcLm3EESD_IN3c1010ScalarTypeELm3EE16OffsetCalculatorILi3EjLb0EEEEvlT_T0_T1_T2_EUlibE_EEviSN_, .Lfunc_end114-_ZN2at6native32elementwise_kernel_manual_unrollILi128ELi4EZNS0_12_GLOBAL__N_142type_specialized_broadcast_kernel_launcherILi0EE5applyINS0_13BinaryFunctorIfffZZZNS0_20copysign_kernel_cudaERNS_18TensorIteratorBaseEENKUlvE_clEvENKUlvE0_clEvEUlffE_EESt5arrayIPcLm3EESD_IN3c1010ScalarTypeELm3EE16OffsetCalculatorILi3EjLb0EEEEvlT_T0_T1_T2_EUlibE_EEviSN_
                                        ; -- End function
	.section	.AMDGPU.csdata,"",@progbits
; Kernel info:
; codeLenInByte = 4768
; NumSgprs: 56
; NumVgprs: 25
; NumAgprs: 0
; TotalNumVgprs: 25
; ScratchSize: 0
; MemoryBound: 0
; FloatMode: 240
; IeeeMode: 1
; LDSByteSize: 0 bytes/workgroup (compile time only)
; SGPRBlocks: 6
; VGPRBlocks: 3
; NumSGPRsForWavesPerEU: 56
; NumVGPRsForWavesPerEU: 25
; AccumOffset: 28
; Occupancy: 8
; WaveLimiterHint : 1
; COMPUTE_PGM_RSRC2:SCRATCH_EN: 0
; COMPUTE_PGM_RSRC2:USER_SGPR: 6
; COMPUTE_PGM_RSRC2:TRAP_HANDLER: 0
; COMPUTE_PGM_RSRC2:TGID_X_EN: 1
; COMPUTE_PGM_RSRC2:TGID_Y_EN: 0
; COMPUTE_PGM_RSRC2:TGID_Z_EN: 0
; COMPUTE_PGM_RSRC2:TIDIG_COMP_CNT: 0
; COMPUTE_PGM_RSRC3_GFX90A:ACCUM_OFFSET: 6
; COMPUTE_PGM_RSRC3_GFX90A:TG_SPLIT: 0
	.section	.text._ZN2at6native32elementwise_kernel_manual_unrollILi128ELi4EZNS0_12_GLOBAL__N_142type_specialized_broadcast_kernel_launcherILi1EE5applyINS0_13BinaryFunctorIfffZZZNS0_20copysign_kernel_cudaERNS_18TensorIteratorBaseEENKUlvE_clEvENKUlvE0_clEvEUlffE_EESt5arrayIPcLm3EESD_IN3c1010ScalarTypeELm3EE16OffsetCalculatorILi3EjLb0EEEEvlT_T0_T1_T2_EUlibE_EEviSN_,"axG",@progbits,_ZN2at6native32elementwise_kernel_manual_unrollILi128ELi4EZNS0_12_GLOBAL__N_142type_specialized_broadcast_kernel_launcherILi1EE5applyINS0_13BinaryFunctorIfffZZZNS0_20copysign_kernel_cudaERNS_18TensorIteratorBaseEENKUlvE_clEvENKUlvE0_clEvEUlffE_EESt5arrayIPcLm3EESD_IN3c1010ScalarTypeELm3EE16OffsetCalculatorILi3EjLb0EEEEvlT_T0_T1_T2_EUlibE_EEviSN_,comdat
	.globl	_ZN2at6native32elementwise_kernel_manual_unrollILi128ELi4EZNS0_12_GLOBAL__N_142type_specialized_broadcast_kernel_launcherILi1EE5applyINS0_13BinaryFunctorIfffZZZNS0_20copysign_kernel_cudaERNS_18TensorIteratorBaseEENKUlvE_clEvENKUlvE0_clEvEUlffE_EESt5arrayIPcLm3EESD_IN3c1010ScalarTypeELm3EE16OffsetCalculatorILi3EjLb0EEEEvlT_T0_T1_T2_EUlibE_EEviSN_ ; -- Begin function _ZN2at6native32elementwise_kernel_manual_unrollILi128ELi4EZNS0_12_GLOBAL__N_142type_specialized_broadcast_kernel_launcherILi1EE5applyINS0_13BinaryFunctorIfffZZZNS0_20copysign_kernel_cudaERNS_18TensorIteratorBaseEENKUlvE_clEvENKUlvE0_clEvEUlffE_EESt5arrayIPcLm3EESD_IN3c1010ScalarTypeELm3EE16OffsetCalculatorILi3EjLb0EEEEvlT_T0_T1_T2_EUlibE_EEviSN_
	.p2align	8
	.type	_ZN2at6native32elementwise_kernel_manual_unrollILi128ELi4EZNS0_12_GLOBAL__N_142type_specialized_broadcast_kernel_launcherILi1EE5applyINS0_13BinaryFunctorIfffZZZNS0_20copysign_kernel_cudaERNS_18TensorIteratorBaseEENKUlvE_clEvENKUlvE0_clEvEUlffE_EESt5arrayIPcLm3EESD_IN3c1010ScalarTypeELm3EE16OffsetCalculatorILi3EjLb0EEEEvlT_T0_T1_T2_EUlibE_EEviSN_,@function
_ZN2at6native32elementwise_kernel_manual_unrollILi128ELi4EZNS0_12_GLOBAL__N_142type_specialized_broadcast_kernel_launcherILi1EE5applyINS0_13BinaryFunctorIfffZZZNS0_20copysign_kernel_cudaERNS_18TensorIteratorBaseEENKUlvE_clEvENKUlvE0_clEvEUlffE_EESt5arrayIPcLm3EESD_IN3c1010ScalarTypeELm3EE16OffsetCalculatorILi3EjLb0EEEEvlT_T0_T1_T2_EUlibE_EEviSN_: ; @_ZN2at6native32elementwise_kernel_manual_unrollILi128ELi4EZNS0_12_GLOBAL__N_142type_specialized_broadcast_kernel_launcherILi1EE5applyINS0_13BinaryFunctorIfffZZZNS0_20copysign_kernel_cudaERNS_18TensorIteratorBaseEENKUlvE_clEvENKUlvE0_clEvEUlffE_EESt5arrayIPcLm3EESD_IN3c1010ScalarTypeELm3EE16OffsetCalculatorILi3EjLb0EEEEvlT_T0_T1_T2_EUlibE_EEviSN_
; %bb.0:
	s_load_dword s36, s[4:5], 0x0
	s_load_dword s33, s[4:5], 0x8
	s_or_b32 s4, s4, 8
	v_lshl_or_b32 v12, s6, 9, v0
	v_or_b32_e32 v24, 0x180, v12
	s_waitcnt lgkmcnt(0)
	v_cmp_le_i32_e32 vcc, s36, v24
	s_add_i32 s34, s33, -1
	s_cmp_gt_u32 s34, 1
	s_cselect_b64 s[6:7], -1, 0
	s_and_saveexec_b64 s[0:1], vcc
	s_xor_b64 s[16:17], exec, s[0:1]
	s_cbranch_execz .LBB115_50
; %bb.1:
	s_load_dwordx4 s[12:15], s[4:5], 0x4
	s_load_dwordx2 s[22:23], s[4:5], 0x14
	s_load_dwordx4 s[8:11], s[4:5], 0xc4
	s_load_dwordx2 s[20:21], s[4:5], 0xd4
	s_load_dwordx2 s[18:19], s[4:5], 0x198
	s_load_dwordx4 s[0:3], s[4:5], 0x188
	s_cmp_lg_u32 s33, 0
	s_cselect_b64 s[26:27], -1, 0
	s_min_u32 s35, s34, 15
	s_cmp_gt_u32 s33, 1
	s_cselect_b64 s[24:25], -1, 0
	v_cmp_gt_i32_e32 vcc, s36, v12
	s_and_saveexec_b64 s[28:29], vcc
	s_cbranch_execnz .LBB115_5
; %bb.2:
	s_or_b64 exec, exec, s[28:29]
	v_cmp_gt_i32_e32 vcc, s36, v12
	s_and_saveexec_b64 s[28:29], vcc
	s_cbranch_execnz .LBB115_16
.LBB115_3:
	s_or_b64 exec, exec, s[28:29]
	v_cmp_gt_i32_e32 vcc, s36, v12
	s_and_saveexec_b64 s[28:29], vcc
	s_cbranch_execnz .LBB115_27
.LBB115_4:
	s_or_b64 exec, exec, s[28:29]
	v_cmp_gt_i32_e32 vcc, s36, v12
	s_and_saveexec_b64 s[28:29], vcc
	s_cbranch_execnz .LBB115_38
	s_branch .LBB115_49
.LBB115_5:
	s_andn2_b64 vcc, exec, s[6:7]
	s_cbranch_vccnz .LBB115_12
; %bb.6:
	s_andn2_b64 vcc, exec, s[26:27]
	v_mov_b32_e32 v2, 0
	v_mov_b32_e32 v4, 0
	;; [unrolled: 1-line block ×3, first 2 shown]
	s_cbranch_vccnz .LBB115_11
; %bb.7:
	s_add_i32 s30, s35, 1
	s_and_b32 s37, s30, 30
	s_add_u32 s30, s4, 0xffffffec
	s_addc_u32 s31, s5, -1
	v_mov_b32_e32 v0, 0
	v_mov_b32_e32 v1, v12
	;; [unrolled: 1-line block ×4, first 2 shown]
.LBB115_8:                              ; =>This Inner Loop Header: Depth=1
	s_mov_b64 s[38:39], s[30:31]
	s_load_dwordx4 s[40:43], s[38:39], 0x18
	s_load_dwordx2 s[48:49], s[38:39], 0x28
	s_load_dwordx2 s[50:51], s[38:39], 0xe8
	s_load_dwordx4 s[44:47], s[38:39], 0xd8
	s_add_u32 s30, s38, 24
	s_waitcnt lgkmcnt(0)
	v_mul_hi_u32 v3, s41, v1
	v_add_u32_e32 v3, v1, v3
	v_lshrrev_b32_e32 v3, s42, v3
	v_mul_lo_u32 v5, v3, s40
	v_mul_hi_u32 v6, s48, v3
	v_sub_u32_e32 v1, v1, v5
	v_add_u32_e32 v5, v3, v6
	v_mul_lo_u32 v6, v1, s44
	v_mul_lo_u32 v7, v1, s45
	;; [unrolled: 1-line block ×3, first 2 shown]
	v_lshrrev_b32_e32 v1, s49, v5
	v_mul_lo_u32 v5, v1, s43
	v_sub_u32_e32 v3, v3, v5
	s_addc_u32 s31, s39, 0
	s_add_i32 s37, s37, -2
	v_mul_lo_u32 v5, v3, s47
	v_mul_lo_u32 v9, v3, s50
	;; [unrolled: 1-line block ×3, first 2 shown]
	s_cmp_lg_u32 s37, 0
	v_add3_u32 v0, v6, v0, v5
	v_add3_u32 v2, v8, v2, v3
	;; [unrolled: 1-line block ×3, first 2 shown]
	s_cbranch_scc1 .LBB115_8
; %bb.9:
	s_bitcmp1_b32 s35, 0
	s_cselect_b64 s[38:39], -1, 0
	s_and_b64 vcc, exec, s[38:39]
	s_cbranch_vccnz .LBB115_11
; %bb.10:
	s_load_dwordx2 s[38:39], s[30:31], 0x18
	s_load_dword s37, s[30:31], 0x20
	s_load_dword s42, s[30:31], 0xe0
	s_load_dwordx2 s[40:41], s[30:31], 0xd8
	s_waitcnt lgkmcnt(0)
	v_mul_hi_u32 v3, s39, v1
	v_add_u32_e32 v3, v1, v3
	v_lshrrev_b32_e32 v3, s37, v3
	v_mul_lo_u32 v3, v3, s38
	v_sub_u32_e32 v3, v1, v3
	v_mad_u64_u32 v[0:1], s[30:31], v3, s40, v[0:1]
	v_mad_u64_u32 v[4:5], s[30:31], v3, s41, v[4:5]
	v_mad_u64_u32 v[2:3], s[30:31], v3, s42, v[2:3]
.LBB115_11:
	s_cbranch_execz .LBB115_13
	s_branch .LBB115_15
.LBB115_12:
                                        ; implicit-def: $vgpr2
                                        ; implicit-def: $vgpr4
                                        ; implicit-def: $vgpr0
.LBB115_13:
	s_waitcnt lgkmcnt(0)
	v_mul_hi_u32 v0, s13, v12
	v_add_u32_e32 v0, v12, v0
	v_lshrrev_b32_e32 v1, s14, v0
	v_mul_lo_u32 v0, v1, s12
	v_sub_u32_e32 v3, v12, v0
	v_mul_lo_u32 v0, v3, s8
	v_mul_lo_u32 v2, v3, s10
	s_andn2_b64 vcc, exec, s[24:25]
	v_mul_lo_u32 v4, v3, s9
	s_cbranch_vccnz .LBB115_15
; %bb.14:
	v_mul_hi_u32 v3, s22, v1
	v_add_u32_e32 v3, v1, v3
	v_lshrrev_b32_e32 v3, s23, v3
	v_mul_lo_u32 v3, v3, s15
	v_sub_u32_e32 v3, v1, v3
	v_mad_u64_u32 v[0:1], s[30:31], v3, s11, v[0:1]
	v_mad_u64_u32 v[4:5], s[30:31], v3, s20, v[4:5]
	;; [unrolled: 1-line block ×3, first 2 shown]
.LBB115_15:
	s_waitcnt lgkmcnt(0)
	global_load_ushort v1, v4, s[2:3]
	global_load_dword v3, v2, s[18:19]
	s_brev_b32 s30, -2
	v_add_u32_e32 v12, 0x80, v12
	s_waitcnt vmcnt(1)
	v_lshlrev_b32_e32 v1, 16, v1
	s_waitcnt vmcnt(0)
	v_bfi_b32 v1, s30, v1, v3
	global_store_dword v0, v1, s[0:1]
	s_or_b64 exec, exec, s[28:29]
	v_cmp_gt_i32_e32 vcc, s36, v12
	s_and_saveexec_b64 s[28:29], vcc
	s_cbranch_execz .LBB115_3
.LBB115_16:
	s_andn2_b64 vcc, exec, s[6:7]
	s_cbranch_vccnz .LBB115_23
; %bb.17:
	s_andn2_b64 vcc, exec, s[26:27]
	v_mov_b32_e32 v2, 0
	v_mov_b32_e32 v4, 0
	v_mov_b32_e32 v0, 0
	s_cbranch_vccnz .LBB115_22
; %bb.18:
	s_add_i32 s30, s35, 1
	s_and_b32 s37, s30, 30
	s_add_u32 s30, s4, 0xffffffec
	s_addc_u32 s31, s5, -1
	v_mov_b32_e32 v0, 0
	v_mov_b32_e32 v1, v12
	;; [unrolled: 1-line block ×4, first 2 shown]
.LBB115_19:                             ; =>This Inner Loop Header: Depth=1
	s_mov_b64 s[38:39], s[30:31]
	s_load_dwordx4 s[40:43], s[38:39], 0x18
	s_load_dwordx2 s[48:49], s[38:39], 0x28
	s_load_dwordx2 s[50:51], s[38:39], 0xe8
	s_load_dwordx4 s[44:47], s[38:39], 0xd8
	s_add_u32 s30, s38, 24
	s_waitcnt lgkmcnt(0)
	v_mul_hi_u32 v3, s41, v1
	v_add_u32_e32 v3, v1, v3
	v_lshrrev_b32_e32 v3, s42, v3
	v_mul_lo_u32 v5, v3, s40
	v_mul_hi_u32 v6, s48, v3
	v_sub_u32_e32 v1, v1, v5
	v_add_u32_e32 v5, v3, v6
	v_mul_lo_u32 v6, v1, s44
	v_mul_lo_u32 v7, v1, s45
	;; [unrolled: 1-line block ×3, first 2 shown]
	v_lshrrev_b32_e32 v1, s49, v5
	v_mul_lo_u32 v5, v1, s43
	v_sub_u32_e32 v3, v3, v5
	s_addc_u32 s31, s39, 0
	s_add_i32 s37, s37, -2
	v_mul_lo_u32 v5, v3, s47
	v_mul_lo_u32 v9, v3, s50
	;; [unrolled: 1-line block ×3, first 2 shown]
	s_cmp_eq_u32 s37, 0
	v_add3_u32 v0, v6, v0, v5
	v_add3_u32 v2, v8, v2, v3
	;; [unrolled: 1-line block ×3, first 2 shown]
	s_cbranch_scc0 .LBB115_19
; %bb.20:
	s_bitcmp1_b32 s35, 0
	s_cselect_b64 s[38:39], -1, 0
	s_and_b64 vcc, exec, s[38:39]
	s_cbranch_vccnz .LBB115_22
; %bb.21:
	s_load_dwordx2 s[38:39], s[30:31], 0x18
	s_load_dword s37, s[30:31], 0x20
	s_load_dword s42, s[30:31], 0xe0
	s_load_dwordx2 s[40:41], s[30:31], 0xd8
	s_waitcnt lgkmcnt(0)
	v_mul_hi_u32 v3, s39, v1
	v_add_u32_e32 v3, v1, v3
	v_lshrrev_b32_e32 v3, s37, v3
	v_mul_lo_u32 v3, v3, s38
	v_sub_u32_e32 v3, v1, v3
	v_mad_u64_u32 v[0:1], s[30:31], v3, s40, v[0:1]
	v_mad_u64_u32 v[4:5], s[30:31], v3, s41, v[4:5]
	;; [unrolled: 1-line block ×3, first 2 shown]
.LBB115_22:
	s_cbranch_execz .LBB115_24
	s_branch .LBB115_26
.LBB115_23:
                                        ; implicit-def: $vgpr2
                                        ; implicit-def: $vgpr4
                                        ; implicit-def: $vgpr0
.LBB115_24:
	s_waitcnt lgkmcnt(0)
	v_mul_hi_u32 v0, s13, v12
	v_add_u32_e32 v0, v12, v0
	v_lshrrev_b32_e32 v1, s14, v0
	v_mul_lo_u32 v0, v1, s12
	v_sub_u32_e32 v3, v12, v0
	v_mul_lo_u32 v0, v3, s8
	v_mul_lo_u32 v2, v3, s10
	s_andn2_b64 vcc, exec, s[24:25]
	v_mul_lo_u32 v4, v3, s9
	s_cbranch_vccnz .LBB115_26
; %bb.25:
	v_mul_hi_u32 v3, s22, v1
	v_add_u32_e32 v3, v1, v3
	v_lshrrev_b32_e32 v3, s23, v3
	v_mul_lo_u32 v3, v3, s15
	v_sub_u32_e32 v3, v1, v3
	v_mad_u64_u32 v[0:1], s[30:31], v3, s11, v[0:1]
	v_mad_u64_u32 v[4:5], s[30:31], v3, s20, v[4:5]
	;; [unrolled: 1-line block ×3, first 2 shown]
.LBB115_26:
	s_waitcnt lgkmcnt(0)
	global_load_ushort v1, v4, s[2:3]
	global_load_dword v3, v2, s[18:19]
	s_brev_b32 s30, -2
	v_add_u32_e32 v12, 0x80, v12
	s_waitcnt vmcnt(1)
	v_lshlrev_b32_e32 v1, 16, v1
	s_waitcnt vmcnt(0)
	v_bfi_b32 v1, s30, v1, v3
	global_store_dword v0, v1, s[0:1]
	s_or_b64 exec, exec, s[28:29]
	v_cmp_gt_i32_e32 vcc, s36, v12
	s_and_saveexec_b64 s[28:29], vcc
	s_cbranch_execz .LBB115_4
.LBB115_27:
	s_andn2_b64 vcc, exec, s[6:7]
	s_cbranch_vccnz .LBB115_34
; %bb.28:
	s_andn2_b64 vcc, exec, s[26:27]
	v_mov_b32_e32 v2, 0
	v_mov_b32_e32 v4, 0
	;; [unrolled: 1-line block ×3, first 2 shown]
	s_cbranch_vccnz .LBB115_33
; %bb.29:
	s_add_i32 s30, s35, 1
	s_and_b32 s37, s30, 30
	s_add_u32 s30, s4, 0xffffffec
	s_addc_u32 s31, s5, -1
	v_mov_b32_e32 v0, 0
	v_mov_b32_e32 v1, v12
	v_mov_b32_e32 v4, 0
	v_mov_b32_e32 v2, 0
.LBB115_30:                             ; =>This Inner Loop Header: Depth=1
	s_mov_b64 s[38:39], s[30:31]
	s_load_dwordx4 s[40:43], s[38:39], 0x18
	s_load_dwordx2 s[48:49], s[38:39], 0x28
	s_load_dwordx2 s[50:51], s[38:39], 0xe8
	s_load_dwordx4 s[44:47], s[38:39], 0xd8
	s_add_u32 s30, s38, 24
	s_waitcnt lgkmcnt(0)
	v_mul_hi_u32 v3, s41, v1
	v_add_u32_e32 v3, v1, v3
	v_lshrrev_b32_e32 v3, s42, v3
	v_mul_lo_u32 v5, v3, s40
	v_mul_hi_u32 v6, s48, v3
	v_sub_u32_e32 v1, v1, v5
	v_add_u32_e32 v5, v3, v6
	v_mul_lo_u32 v6, v1, s44
	v_mul_lo_u32 v7, v1, s45
	;; [unrolled: 1-line block ×3, first 2 shown]
	v_lshrrev_b32_e32 v1, s49, v5
	v_mul_lo_u32 v5, v1, s43
	v_sub_u32_e32 v3, v3, v5
	s_addc_u32 s31, s39, 0
	s_add_i32 s37, s37, -2
	v_mul_lo_u32 v5, v3, s47
	v_mul_lo_u32 v9, v3, s50
	;; [unrolled: 1-line block ×3, first 2 shown]
	s_cmp_eq_u32 s37, 0
	v_add3_u32 v0, v6, v0, v5
	v_add3_u32 v2, v8, v2, v3
	;; [unrolled: 1-line block ×3, first 2 shown]
	s_cbranch_scc0 .LBB115_30
; %bb.31:
	s_bitcmp1_b32 s35, 0
	s_cselect_b64 s[38:39], -1, 0
	s_and_b64 vcc, exec, s[38:39]
	s_cbranch_vccnz .LBB115_33
; %bb.32:
	s_load_dwordx2 s[38:39], s[30:31], 0x18
	s_load_dword s37, s[30:31], 0x20
	s_load_dword s42, s[30:31], 0xe0
	s_load_dwordx2 s[40:41], s[30:31], 0xd8
	s_waitcnt lgkmcnt(0)
	v_mul_hi_u32 v3, s39, v1
	v_add_u32_e32 v3, v1, v3
	v_lshrrev_b32_e32 v3, s37, v3
	v_mul_lo_u32 v3, v3, s38
	v_sub_u32_e32 v3, v1, v3
	v_mad_u64_u32 v[0:1], s[30:31], v3, s40, v[0:1]
	v_mad_u64_u32 v[4:5], s[30:31], v3, s41, v[4:5]
	;; [unrolled: 1-line block ×3, first 2 shown]
.LBB115_33:
	s_cbranch_execz .LBB115_35
	s_branch .LBB115_37
.LBB115_34:
                                        ; implicit-def: $vgpr2
                                        ; implicit-def: $vgpr4
                                        ; implicit-def: $vgpr0
.LBB115_35:
	s_waitcnt lgkmcnt(0)
	v_mul_hi_u32 v0, s13, v12
	v_add_u32_e32 v0, v12, v0
	v_lshrrev_b32_e32 v1, s14, v0
	v_mul_lo_u32 v0, v1, s12
	v_sub_u32_e32 v3, v12, v0
	v_mul_lo_u32 v0, v3, s8
	v_mul_lo_u32 v2, v3, s10
	s_andn2_b64 vcc, exec, s[24:25]
	v_mul_lo_u32 v4, v3, s9
	s_cbranch_vccnz .LBB115_37
; %bb.36:
	v_mul_hi_u32 v3, s22, v1
	v_add_u32_e32 v3, v1, v3
	v_lshrrev_b32_e32 v3, s23, v3
	v_mul_lo_u32 v3, v3, s15
	v_sub_u32_e32 v3, v1, v3
	v_mad_u64_u32 v[0:1], s[30:31], v3, s11, v[0:1]
	v_mad_u64_u32 v[4:5], s[30:31], v3, s20, v[4:5]
	;; [unrolled: 1-line block ×3, first 2 shown]
.LBB115_37:
	s_waitcnt lgkmcnt(0)
	global_load_ushort v1, v4, s[2:3]
	global_load_dword v3, v2, s[18:19]
	s_brev_b32 s30, -2
	v_add_u32_e32 v12, 0x80, v12
	s_waitcnt vmcnt(1)
	v_lshlrev_b32_e32 v1, 16, v1
	s_waitcnt vmcnt(0)
	v_bfi_b32 v1, s30, v1, v3
	global_store_dword v0, v1, s[0:1]
	s_or_b64 exec, exec, s[28:29]
	v_cmp_gt_i32_e32 vcc, s36, v12
	s_and_saveexec_b64 s[28:29], vcc
	s_cbranch_execz .LBB115_49
.LBB115_38:
	s_andn2_b64 vcc, exec, s[6:7]
	s_cbranch_vccnz .LBB115_45
; %bb.39:
	s_andn2_b64 vcc, exec, s[26:27]
	v_mov_b32_e32 v2, 0
	v_mov_b32_e32 v4, 0
	;; [unrolled: 1-line block ×3, first 2 shown]
	s_cbranch_vccnz .LBB115_44
; %bb.40:
	s_add_i32 s26, s35, 1
	s_and_b32 s30, s26, 30
	s_add_u32 s26, s4, 0xffffffec
	s_addc_u32 s27, s5, -1
	v_mov_b32_e32 v0, 0
	v_mov_b32_e32 v1, v12
	;; [unrolled: 1-line block ×4, first 2 shown]
.LBB115_41:                             ; =>This Inner Loop Header: Depth=1
	s_mov_b64 s[44:45], s[26:27]
	s_load_dwordx4 s[36:39], s[44:45], 0x18
	s_load_dwordx2 s[46:47], s[44:45], 0x28
	s_load_dwordx2 s[48:49], s[44:45], 0xe8
	s_load_dwordx4 s[40:43], s[44:45], 0xd8
	s_add_u32 s26, s44, 24
	s_waitcnt lgkmcnt(0)
	v_mul_hi_u32 v3, s37, v1
	v_add_u32_e32 v3, v1, v3
	v_lshrrev_b32_e32 v3, s38, v3
	v_mul_lo_u32 v5, v3, s36
	v_mul_hi_u32 v6, s46, v3
	v_sub_u32_e32 v1, v1, v5
	v_add_u32_e32 v5, v3, v6
	v_mul_lo_u32 v6, v1, s40
	v_mul_lo_u32 v7, v1, s41
	;; [unrolled: 1-line block ×3, first 2 shown]
	v_lshrrev_b32_e32 v1, s47, v5
	v_mul_lo_u32 v5, v1, s39
	v_sub_u32_e32 v3, v3, v5
	s_addc_u32 s27, s45, 0
	s_add_i32 s30, s30, -2
	v_mul_lo_u32 v5, v3, s43
	v_mul_lo_u32 v9, v3, s48
	;; [unrolled: 1-line block ×3, first 2 shown]
	s_cmp_eq_u32 s30, 0
	v_add3_u32 v0, v6, v0, v5
	v_add3_u32 v2, v8, v2, v3
	;; [unrolled: 1-line block ×3, first 2 shown]
	s_cbranch_scc0 .LBB115_41
; %bb.42:
	s_bitcmp1_b32 s35, 0
	s_cselect_b64 s[30:31], -1, 0
	s_and_b64 vcc, exec, s[30:31]
	s_cbranch_vccnz .LBB115_44
; %bb.43:
	s_load_dwordx2 s[30:31], s[26:27], 0x18
	s_load_dword s35, s[26:27], 0x20
	s_load_dword s38, s[26:27], 0xe0
	s_load_dwordx2 s[36:37], s[26:27], 0xd8
	s_waitcnt lgkmcnt(0)
	v_mul_hi_u32 v3, s31, v1
	v_add_u32_e32 v3, v1, v3
	v_lshrrev_b32_e32 v3, s35, v3
	v_mul_lo_u32 v3, v3, s30
	v_sub_u32_e32 v3, v1, v3
	v_mad_u64_u32 v[0:1], s[26:27], v3, s36, v[0:1]
	v_mad_u64_u32 v[4:5], s[26:27], v3, s37, v[4:5]
	;; [unrolled: 1-line block ×3, first 2 shown]
.LBB115_44:
	s_cbranch_execz .LBB115_46
	s_branch .LBB115_48
.LBB115_45:
                                        ; implicit-def: $vgpr2
                                        ; implicit-def: $vgpr4
                                        ; implicit-def: $vgpr0
.LBB115_46:
	s_waitcnt lgkmcnt(0)
	v_mul_hi_u32 v0, s13, v12
	v_add_u32_e32 v0, v12, v0
	v_lshrrev_b32_e32 v1, s14, v0
	v_mul_lo_u32 v0, v1, s12
	v_sub_u32_e32 v3, v12, v0
	v_mul_lo_u32 v0, v3, s8
	v_mul_lo_u32 v2, v3, s10
	s_andn2_b64 vcc, exec, s[24:25]
	v_mul_lo_u32 v4, v3, s9
	s_cbranch_vccnz .LBB115_48
; %bb.47:
	v_mul_hi_u32 v3, s22, v1
	v_add_u32_e32 v3, v1, v3
	v_lshrrev_b32_e32 v3, s23, v3
	v_mul_lo_u32 v3, v3, s15
	v_sub_u32_e32 v3, v1, v3
	v_mad_u64_u32 v[0:1], s[8:9], v3, s11, v[0:1]
	v_mad_u64_u32 v[4:5], s[8:9], v3, s20, v[4:5]
	;; [unrolled: 1-line block ×3, first 2 shown]
.LBB115_48:
	s_waitcnt lgkmcnt(0)
	global_load_ushort v1, v4, s[2:3]
	global_load_dword v3, v2, s[18:19]
	s_brev_b32 s2, -2
	s_waitcnt vmcnt(1)
	v_lshlrev_b32_e32 v1, 16, v1
	s_waitcnt vmcnt(0)
	v_bfi_b32 v1, s2, v1, v3
	global_store_dword v0, v1, s[0:1]
.LBB115_49:
	s_or_b64 exec, exec, s[28:29]
                                        ; implicit-def: $vgpr24
                                        ; implicit-def: $vgpr12
.LBB115_50:
	s_waitcnt lgkmcnt(0)
	s_andn2_saveexec_b64 s[0:1], s[16:17]
	s_cbranch_execz .LBB115_57
; %bb.51:
	v_cndmask_b32_e64 v0, 0, 1, s[6:7]
	v_cmp_ne_u32_e64 s[0:1], 1, v0
	s_andn2_b64 vcc, exec, s[6:7]
	s_cbranch_vccnz .LBB115_58
; %bb.52:
	s_cmp_lg_u32 s33, 0
	v_mov_b32_e32 v4, 0
	v_mov_b32_e32 v2, 0
	;; [unrolled: 1-line block ×3, first 2 shown]
	s_cbranch_scc0 .LBB115_59
; %bb.53:
	s_min_u32 s6, s34, 15
	s_add_i32 s2, s6, 1
	s_and_b32 s7, s2, 30
	s_add_u32 s2, s4, 0xffffffec
	s_addc_u32 s3, s5, -1
	v_mov_b32_e32 v0, 0
	v_mov_b32_e32 v1, v12
	;; [unrolled: 1-line block ×4, first 2 shown]
.LBB115_54:                             ; =>This Inner Loop Header: Depth=1
	s_mov_b64 s[16:17], s[2:3]
	s_load_dwordx4 s[8:11], s[16:17], 0x18
	s_load_dwordx2 s[18:19], s[16:17], 0x28
	s_load_dwordx2 s[20:21], s[16:17], 0xe8
	s_load_dwordx4 s[12:15], s[16:17], 0xd8
	s_add_u32 s2, s16, 24
	s_waitcnt lgkmcnt(0)
	v_mul_hi_u32 v3, s9, v1
	v_add_u32_e32 v3, v1, v3
	v_lshrrev_b32_e32 v3, s10, v3
	v_mul_lo_u32 v5, v3, s8
	v_mul_hi_u32 v6, s18, v3
	v_sub_u32_e32 v1, v1, v5
	v_add_u32_e32 v5, v3, v6
	v_mul_lo_u32 v6, v1, s12
	v_mul_lo_u32 v7, v1, s13
	;; [unrolled: 1-line block ×3, first 2 shown]
	v_lshrrev_b32_e32 v1, s19, v5
	v_mul_lo_u32 v5, v1, s11
	v_sub_u32_e32 v3, v3, v5
	s_addc_u32 s3, s17, 0
	s_add_i32 s7, s7, -2
	v_mul_lo_u32 v5, v3, s15
	v_mul_lo_u32 v9, v3, s20
	;; [unrolled: 1-line block ×3, first 2 shown]
	s_cmp_lg_u32 s7, 0
	v_add3_u32 v0, v6, v0, v5
	v_add3_u32 v4, v8, v4, v3
	;; [unrolled: 1-line block ×3, first 2 shown]
	s_cbranch_scc1 .LBB115_54
; %bb.55:
	s_bitcmp1_b32 s6, 0
	s_cselect_b64 s[6:7], -1, 0
	s_and_b64 vcc, exec, s[6:7]
	s_cbranch_vccnz .LBB115_59
; %bb.56:
	s_load_dwordx2 s[6:7], s[2:3], 0x18
	s_load_dword s10, s[2:3], 0x20
	s_load_dword s11, s[2:3], 0xe0
	s_load_dwordx2 s[8:9], s[2:3], 0xd8
	s_waitcnt lgkmcnt(0)
	v_mul_hi_u32 v3, s7, v1
	v_add_u32_e32 v3, v1, v3
	v_lshrrev_b32_e32 v3, s10, v3
	v_mul_lo_u32 v3, v3, s6
	v_sub_u32_e32 v5, v1, v3
	v_mad_u64_u32 v[0:1], s[2:3], v5, s8, v[0:1]
	v_mad_u64_u32 v[2:3], s[2:3], v5, s9, v[2:3]
	;; [unrolled: 1-line block ×3, first 2 shown]
	s_cbranch_execz .LBB115_60
	s_branch .LBB115_62
.LBB115_57:
	s_endpgm
.LBB115_58:
                                        ; implicit-def: $vgpr4
                                        ; implicit-def: $vgpr2
                                        ; implicit-def: $vgpr0
	s_branch .LBB115_60
.LBB115_59:
	s_cbranch_execnz .LBB115_62
.LBB115_60:
	s_load_dwordx4 s[8:11], s[4:5], 0x4
	s_load_dwordx4 s[12:15], s[4:5], 0xc4
	s_cmp_lt_u32 s33, 2
	s_waitcnt lgkmcnt(0)
	v_mul_hi_u32 v0, s9, v12
	v_add_u32_e32 v0, v12, v0
	v_lshrrev_b32_e32 v1, s10, v0
	v_mul_lo_u32 v0, v1, s8
	v_sub_u32_e32 v2, v12, v0
	v_mul_lo_u32 v0, v2, s12
	v_mul_lo_u32 v4, v2, s14
	;; [unrolled: 1-line block ×3, first 2 shown]
	s_cbranch_scc1 .LBB115_62
; %bb.61:
	s_load_dwordx4 s[8:11], s[4:5], 0x10
	s_load_dwordx4 s[12:15], s[4:5], 0xd0
	s_waitcnt lgkmcnt(0)
	v_mul_hi_u32 v3, s9, v1
	v_add_u32_e32 v3, v1, v3
	v_lshrrev_b32_e32 v3, s10, v3
	v_mul_lo_u32 v3, v3, s8
	v_sub_u32_e32 v5, v1, v3
	v_mad_u64_u32 v[0:1], s[2:3], v5, s12, v[0:1]
	v_mad_u64_u32 v[2:3], s[2:3], v5, s13, v[2:3]
	v_mad_u64_u32 v[4:5], s[2:3], v5, s14, v[4:5]
.LBB115_62:
	s_and_b64 vcc, exec, s[0:1]
	v_add_u32_e32 v1, 0x80, v12
	s_cbranch_vccnz .LBB115_68
; %bb.63:
	s_cmp_lg_u32 s33, 0
	v_mov_b32_e32 v8, 0
	v_mov_b32_e32 v10, 0
	;; [unrolled: 1-line block ×3, first 2 shown]
	s_cbranch_scc0 .LBB115_69
; %bb.64:
	s_min_u32 s6, s34, 15
	s_add_i32 s2, s6, 1
	s_and_b32 s7, s2, 30
	s_add_u32 s2, s4, 0xffffffec
	s_addc_u32 s3, s5, -1
	v_mov_b32_e32 v6, 0
	v_mov_b32_e32 v3, v1
	;; [unrolled: 1-line block ×4, first 2 shown]
.LBB115_65:                             ; =>This Inner Loop Header: Depth=1
	s_mov_b64 s[16:17], s[2:3]
	s_load_dwordx4 s[8:11], s[16:17], 0x18
	s_load_dwordx2 s[18:19], s[16:17], 0x28
	s_load_dwordx2 s[20:21], s[16:17], 0xe8
	s_load_dwordx4 s[12:15], s[16:17], 0xd8
	s_add_u32 s2, s16, 24
	s_waitcnt lgkmcnt(0)
	v_mul_hi_u32 v5, s9, v3
	v_add_u32_e32 v5, v3, v5
	v_lshrrev_b32_e32 v5, s10, v5
	v_mul_lo_u32 v7, v5, s8
	v_mul_hi_u32 v9, s18, v5
	v_sub_u32_e32 v3, v3, v7
	v_add_u32_e32 v7, v5, v9
	v_mul_lo_u32 v9, v3, s12
	v_mul_lo_u32 v11, v3, s13
	;; [unrolled: 1-line block ×3, first 2 shown]
	v_lshrrev_b32_e32 v3, s19, v7
	v_mul_lo_u32 v7, v3, s11
	v_sub_u32_e32 v5, v5, v7
	s_addc_u32 s3, s17, 0
	s_add_i32 s7, s7, -2
	v_mul_lo_u32 v7, v5, s15
	v_mul_lo_u32 v14, v5, s20
	;; [unrolled: 1-line block ×3, first 2 shown]
	s_cmp_lg_u32 s7, 0
	v_add3_u32 v6, v9, v6, v7
	v_add3_u32 v8, v13, v8, v5
	;; [unrolled: 1-line block ×3, first 2 shown]
	s_cbranch_scc1 .LBB115_65
; %bb.66:
	s_bitcmp1_b32 s6, 0
	s_cselect_b64 s[6:7], -1, 0
	s_and_b64 vcc, exec, s[6:7]
	s_cbranch_vccnz .LBB115_69
; %bb.67:
	s_load_dwordx2 s[6:7], s[2:3], 0x18
	s_load_dword s10, s[2:3], 0x20
	s_load_dword s11, s[2:3], 0xe0
	s_load_dwordx2 s[8:9], s[2:3], 0xd8
	s_waitcnt lgkmcnt(0)
	v_mul_hi_u32 v5, s7, v3
	v_add_u32_e32 v5, v3, v5
	v_lshrrev_b32_e32 v5, s10, v5
	v_mul_lo_u32 v5, v5, s6
	v_sub_u32_e32 v3, v3, v5
	v_mad_u64_u32 v[6:7], s[2:3], v3, s8, v[6:7]
	v_mad_u64_u32 v[10:11], s[2:3], v3, s9, v[10:11]
	;; [unrolled: 1-line block ×3, first 2 shown]
	s_cbranch_execz .LBB115_70
	s_branch .LBB115_72
.LBB115_68:
                                        ; implicit-def: $vgpr8
                                        ; implicit-def: $vgpr10
                                        ; implicit-def: $vgpr6
	s_branch .LBB115_70
.LBB115_69:
	s_cbranch_execnz .LBB115_72
.LBB115_70:
	s_load_dwordx4 s[8:11], s[4:5], 0x4
	s_load_dwordx4 s[12:15], s[4:5], 0xc4
	s_cmp_lt_u32 s33, 2
	s_waitcnt lgkmcnt(0)
	v_mul_hi_u32 v3, s9, v1
	v_add_u32_e32 v3, v1, v3
	v_lshrrev_b32_e32 v3, s10, v3
	v_mul_lo_u32 v5, v3, s8
	v_sub_u32_e32 v1, v1, v5
	v_mul_lo_u32 v6, v1, s12
	v_mul_lo_u32 v8, v1, s14
	;; [unrolled: 1-line block ×3, first 2 shown]
	s_cbranch_scc1 .LBB115_72
; %bb.71:
	s_load_dwordx4 s[8:11], s[4:5], 0x10
	s_load_dwordx4 s[12:15], s[4:5], 0xd0
	s_waitcnt lgkmcnt(0)
	v_mul_hi_u32 v1, s9, v3
	v_add_u32_e32 v1, v3, v1
	v_lshrrev_b32_e32 v1, s10, v1
	v_mul_lo_u32 v1, v1, s8
	v_sub_u32_e32 v1, v3, v1
	v_mad_u64_u32 v[6:7], s[2:3], v1, s12, v[6:7]
	v_mad_u64_u32 v[10:11], s[2:3], v1, s13, v[10:11]
	;; [unrolled: 1-line block ×3, first 2 shown]
.LBB115_72:
	s_and_b64 vcc, exec, s[0:1]
	v_add_u32_e32 v1, 0x100, v12
	s_cbranch_vccnz .LBB115_78
; %bb.73:
	s_cmp_lg_u32 s33, 0
	v_mov_b32_e32 v14, 0
	v_mov_b32_e32 v16, 0
	;; [unrolled: 1-line block ×3, first 2 shown]
	s_cbranch_scc0 .LBB115_79
; %bb.74:
	s_min_u32 s6, s34, 15
	s_add_i32 s2, s6, 1
	s_and_b32 s7, s2, 30
	s_add_u32 s2, s4, 0xffffffec
	s_addc_u32 s3, s5, -1
	v_mov_b32_e32 v12, 0
	v_mov_b32_e32 v3, v1
	;; [unrolled: 1-line block ×4, first 2 shown]
.LBB115_75:                             ; =>This Inner Loop Header: Depth=1
	s_mov_b64 s[16:17], s[2:3]
	s_load_dwordx4 s[8:11], s[16:17], 0x18
	s_load_dwordx2 s[18:19], s[16:17], 0x28
	s_load_dwordx2 s[20:21], s[16:17], 0xe8
	s_load_dwordx4 s[12:15], s[16:17], 0xd8
	s_add_u32 s2, s16, 24
	s_waitcnt lgkmcnt(0)
	v_mul_hi_u32 v5, s9, v3
	v_add_u32_e32 v5, v3, v5
	v_lshrrev_b32_e32 v5, s10, v5
	v_mul_lo_u32 v7, v5, s8
	v_mul_hi_u32 v9, s18, v5
	v_sub_u32_e32 v3, v3, v7
	v_add_u32_e32 v7, v5, v9
	v_mul_lo_u32 v9, v3, s12
	v_mul_lo_u32 v11, v3, s13
	;; [unrolled: 1-line block ×3, first 2 shown]
	v_lshrrev_b32_e32 v3, s19, v7
	v_mul_lo_u32 v7, v3, s11
	v_sub_u32_e32 v5, v5, v7
	s_addc_u32 s3, s17, 0
	s_add_i32 s7, s7, -2
	v_mul_lo_u32 v7, v5, s15
	v_mul_lo_u32 v15, v5, s20
	v_mul_lo_u32 v5, v5, s21
	s_cmp_lg_u32 s7, 0
	v_add3_u32 v12, v9, v12, v7
	v_add3_u32 v14, v13, v14, v5
	;; [unrolled: 1-line block ×3, first 2 shown]
	s_cbranch_scc1 .LBB115_75
; %bb.76:
	s_bitcmp1_b32 s6, 0
	s_cselect_b64 s[6:7], -1, 0
	s_and_b64 vcc, exec, s[6:7]
	s_cbranch_vccnz .LBB115_79
; %bb.77:
	s_load_dwordx2 s[6:7], s[2:3], 0x18
	s_load_dword s10, s[2:3], 0x20
	s_load_dword s11, s[2:3], 0xe0
	s_load_dwordx2 s[8:9], s[2:3], 0xd8
	s_waitcnt lgkmcnt(0)
	v_mul_hi_u32 v5, s7, v3
	v_add_u32_e32 v5, v3, v5
	v_lshrrev_b32_e32 v5, s10, v5
	v_mul_lo_u32 v5, v5, s6
	v_sub_u32_e32 v3, v3, v5
	v_mad_u64_u32 v[12:13], s[2:3], v3, s8, v[12:13]
	v_mad_u64_u32 v[16:17], s[2:3], v3, s9, v[16:17]
	;; [unrolled: 1-line block ×3, first 2 shown]
	s_cbranch_execz .LBB115_80
	s_branch .LBB115_82
.LBB115_78:
                                        ; implicit-def: $vgpr14
                                        ; implicit-def: $vgpr16
                                        ; implicit-def: $vgpr12
	s_branch .LBB115_80
.LBB115_79:
	s_cbranch_execnz .LBB115_82
.LBB115_80:
	s_load_dwordx4 s[8:11], s[4:5], 0x4
	s_load_dwordx4 s[12:15], s[4:5], 0xc4
	s_cmp_lt_u32 s33, 2
	s_waitcnt lgkmcnt(0)
	v_mul_hi_u32 v3, s9, v1
	v_add_u32_e32 v3, v1, v3
	v_lshrrev_b32_e32 v3, s10, v3
	v_mul_lo_u32 v5, v3, s8
	v_sub_u32_e32 v1, v1, v5
	v_mul_lo_u32 v12, v1, s12
	v_mul_lo_u32 v14, v1, s14
	;; [unrolled: 1-line block ×3, first 2 shown]
	s_cbranch_scc1 .LBB115_82
; %bb.81:
	s_load_dwordx4 s[8:11], s[4:5], 0x10
	s_load_dwordx4 s[12:15], s[4:5], 0xd0
	s_waitcnt lgkmcnt(0)
	v_mul_hi_u32 v1, s9, v3
	v_add_u32_e32 v1, v3, v1
	v_lshrrev_b32_e32 v1, s10, v1
	v_mul_lo_u32 v1, v1, s8
	v_sub_u32_e32 v1, v3, v1
	v_mad_u64_u32 v[12:13], s[2:3], v1, s12, v[12:13]
	v_mad_u64_u32 v[16:17], s[2:3], v1, s13, v[16:17]
	;; [unrolled: 1-line block ×3, first 2 shown]
.LBB115_82:
	s_and_b64 vcc, exec, s[0:1]
	s_cbranch_vccnz .LBB115_88
; %bb.83:
	s_cmp_lg_u32 s33, 0
	v_mov_b32_e32 v20, 0
	v_mov_b32_e32 v22, 0
	;; [unrolled: 1-line block ×3, first 2 shown]
	s_cbranch_scc0 .LBB115_89
; %bb.84:
	s_min_u32 s2, s34, 15
	s_add_i32 s0, s2, 1
	s_and_b32 s3, s0, 30
	s_add_u32 s0, s4, 0xffffffec
	s_addc_u32 s1, s5, -1
	v_mov_b32_e32 v18, 0
	v_mov_b32_e32 v1, v24
	;; [unrolled: 1-line block ×4, first 2 shown]
.LBB115_85:                             ; =>This Inner Loop Header: Depth=1
	s_mov_b64 s[6:7], s[0:1]
	s_load_dwordx4 s[8:11], s[6:7], 0x18
	s_load_dwordx2 s[16:17], s[6:7], 0x28
	s_load_dwordx2 s[18:19], s[6:7], 0xe8
	s_load_dwordx4 s[12:15], s[6:7], 0xd8
	s_add_u32 s0, s6, 24
	s_waitcnt lgkmcnt(0)
	v_mul_hi_u32 v3, s9, v1
	v_add_u32_e32 v3, v1, v3
	v_lshrrev_b32_e32 v3, s10, v3
	v_mul_lo_u32 v5, v3, s8
	v_mul_hi_u32 v7, s16, v3
	v_sub_u32_e32 v1, v1, v5
	v_add_u32_e32 v5, v3, v7
	v_mul_lo_u32 v7, v1, s12
	v_mul_lo_u32 v9, v1, s13
	;; [unrolled: 1-line block ×3, first 2 shown]
	v_lshrrev_b32_e32 v1, s17, v5
	v_mul_lo_u32 v5, v1, s11
	v_sub_u32_e32 v3, v3, v5
	s_addc_u32 s1, s7, 0
	s_add_i32 s3, s3, -2
	v_mul_lo_u32 v5, v3, s15
	v_mul_lo_u32 v13, v3, s18
	v_mul_lo_u32 v3, v3, s19
	s_cmp_lg_u32 s3, 0
	v_add3_u32 v18, v7, v18, v5
	v_add3_u32 v20, v11, v20, v3
	;; [unrolled: 1-line block ×3, first 2 shown]
	s_cbranch_scc1 .LBB115_85
; %bb.86:
	s_bitcmp1_b32 s2, 0
	s_cselect_b64 s[2:3], -1, 0
	s_and_b64 vcc, exec, s[2:3]
	s_cbranch_vccnz .LBB115_89
; %bb.87:
	s_load_dwordx2 s[2:3], s[0:1], 0x18
	s_load_dword s8, s[0:1], 0x20
	s_load_dword s9, s[0:1], 0xe0
	s_load_dwordx2 s[6:7], s[0:1], 0xd8
	s_waitcnt lgkmcnt(0)
	v_mul_hi_u32 v3, s3, v1
	v_add_u32_e32 v3, v1, v3
	v_lshrrev_b32_e32 v3, s8, v3
	v_mul_lo_u32 v3, v3, s2
	v_sub_u32_e32 v1, v1, v3
	v_mad_u64_u32 v[18:19], s[0:1], v1, s6, v[18:19]
	v_mad_u64_u32 v[22:23], s[0:1], v1, s7, v[22:23]
	;; [unrolled: 1-line block ×3, first 2 shown]
	s_cbranch_execz .LBB115_90
	s_branch .LBB115_92
.LBB115_88:
                                        ; implicit-def: $vgpr20
                                        ; implicit-def: $vgpr22
                                        ; implicit-def: $vgpr18
	s_branch .LBB115_90
.LBB115_89:
	s_cbranch_execnz .LBB115_92
.LBB115_90:
	s_load_dwordx4 s[0:3], s[4:5], 0x4
	s_load_dwordx4 s[8:11], s[4:5], 0xc4
	s_cmp_lt_u32 s33, 2
	s_waitcnt lgkmcnt(0)
	v_mul_hi_u32 v1, s1, v24
	v_add_u32_e32 v1, v24, v1
	v_lshrrev_b32_e32 v1, s2, v1
	v_mul_lo_u32 v3, v1, s0
	v_sub_u32_e32 v3, v24, v3
	v_mul_lo_u32 v18, v3, s8
	v_mul_lo_u32 v20, v3, s10
	;; [unrolled: 1-line block ×3, first 2 shown]
	s_cbranch_scc1 .LBB115_92
; %bb.91:
	s_load_dwordx4 s[0:3], s[4:5], 0x10
	s_load_dwordx4 s[8:11], s[4:5], 0xd0
	s_waitcnt lgkmcnt(0)
	v_mul_hi_u32 v3, s1, v1
	v_add_u32_e32 v3, v1, v3
	v_lshrrev_b32_e32 v3, s2, v3
	v_mul_lo_u32 v3, v3, s0
	v_sub_u32_e32 v1, v1, v3
	v_mad_u64_u32 v[18:19], s[0:1], v1, s8, v[18:19]
	v_mad_u64_u32 v[22:23], s[0:1], v1, s9, v[22:23]
	;; [unrolled: 1-line block ×3, first 2 shown]
.LBB115_92:
	s_load_dwordx4 s[0:3], s[4:5], 0x188
	s_load_dwordx2 s[6:7], s[4:5], 0x198
	s_waitcnt lgkmcnt(0)
	global_load_ushort v1, v2, s[2:3]
	global_load_ushort v3, v10, s[2:3]
	;; [unrolled: 1-line block ×4, first 2 shown]
	global_load_dword v9, v4, s[6:7]
	global_load_dword v11, v8, s[6:7]
	;; [unrolled: 1-line block ×4, first 2 shown]
	s_brev_b32 s2, -2
	s_waitcnt vmcnt(7)
	v_lshlrev_b32_e32 v1, 16, v1
	s_waitcnt vmcnt(6)
	v_lshlrev_b32_e32 v2, 16, v3
	;; [unrolled: 2-line block ×4, first 2 shown]
	s_waitcnt vmcnt(3)
	v_bfi_b32 v1, s2, v1, v9
	s_waitcnt vmcnt(2)
	v_bfi_b32 v2, s2, v2, v11
	;; [unrolled: 2-line block ×4, first 2 shown]
	global_store_dword v0, v1, s[0:1]
	global_store_dword v6, v2, s[0:1]
	;; [unrolled: 1-line block ×4, first 2 shown]
	s_endpgm
	.section	.rodata,"a",@progbits
	.p2align	6, 0x0
	.amdhsa_kernel _ZN2at6native32elementwise_kernel_manual_unrollILi128ELi4EZNS0_12_GLOBAL__N_142type_specialized_broadcast_kernel_launcherILi1EE5applyINS0_13BinaryFunctorIfffZZZNS0_20copysign_kernel_cudaERNS_18TensorIteratorBaseEENKUlvE_clEvENKUlvE0_clEvEUlffE_EESt5arrayIPcLm3EESD_IN3c1010ScalarTypeELm3EE16OffsetCalculatorILi3EjLb0EEEEvlT_T0_T1_T2_EUlibE_EEviSN_
		.amdhsa_group_segment_fixed_size 0
		.amdhsa_private_segment_fixed_size 0
		.amdhsa_kernarg_size 432
		.amdhsa_user_sgpr_count 6
		.amdhsa_user_sgpr_private_segment_buffer 1
		.amdhsa_user_sgpr_dispatch_ptr 0
		.amdhsa_user_sgpr_queue_ptr 0
		.amdhsa_user_sgpr_kernarg_segment_ptr 1
		.amdhsa_user_sgpr_dispatch_id 0
		.amdhsa_user_sgpr_flat_scratch_init 0
		.amdhsa_user_sgpr_kernarg_preload_length 0
		.amdhsa_user_sgpr_kernarg_preload_offset 0
		.amdhsa_user_sgpr_private_segment_size 0
		.amdhsa_uses_dynamic_stack 0
		.amdhsa_system_sgpr_private_segment_wavefront_offset 0
		.amdhsa_system_sgpr_workgroup_id_x 1
		.amdhsa_system_sgpr_workgroup_id_y 0
		.amdhsa_system_sgpr_workgroup_id_z 0
		.amdhsa_system_sgpr_workgroup_info 0
		.amdhsa_system_vgpr_workitem_id 0
		.amdhsa_next_free_vgpr 25
		.amdhsa_next_free_sgpr 52
		.amdhsa_accum_offset 28
		.amdhsa_reserve_vcc 1
		.amdhsa_reserve_flat_scratch 0
		.amdhsa_float_round_mode_32 0
		.amdhsa_float_round_mode_16_64 0
		.amdhsa_float_denorm_mode_32 3
		.amdhsa_float_denorm_mode_16_64 3
		.amdhsa_dx10_clamp 1
		.amdhsa_ieee_mode 1
		.amdhsa_fp16_overflow 0
		.amdhsa_tg_split 0
		.amdhsa_exception_fp_ieee_invalid_op 0
		.amdhsa_exception_fp_denorm_src 0
		.amdhsa_exception_fp_ieee_div_zero 0
		.amdhsa_exception_fp_ieee_overflow 0
		.amdhsa_exception_fp_ieee_underflow 0
		.amdhsa_exception_fp_ieee_inexact 0
		.amdhsa_exception_int_div_zero 0
	.end_amdhsa_kernel
	.section	.text._ZN2at6native32elementwise_kernel_manual_unrollILi128ELi4EZNS0_12_GLOBAL__N_142type_specialized_broadcast_kernel_launcherILi1EE5applyINS0_13BinaryFunctorIfffZZZNS0_20copysign_kernel_cudaERNS_18TensorIteratorBaseEENKUlvE_clEvENKUlvE0_clEvEUlffE_EESt5arrayIPcLm3EESD_IN3c1010ScalarTypeELm3EE16OffsetCalculatorILi3EjLb0EEEEvlT_T0_T1_T2_EUlibE_EEviSN_,"axG",@progbits,_ZN2at6native32elementwise_kernel_manual_unrollILi128ELi4EZNS0_12_GLOBAL__N_142type_specialized_broadcast_kernel_launcherILi1EE5applyINS0_13BinaryFunctorIfffZZZNS0_20copysign_kernel_cudaERNS_18TensorIteratorBaseEENKUlvE_clEvENKUlvE0_clEvEUlffE_EESt5arrayIPcLm3EESD_IN3c1010ScalarTypeELm3EE16OffsetCalculatorILi3EjLb0EEEEvlT_T0_T1_T2_EUlibE_EEviSN_,comdat
.Lfunc_end115:
	.size	_ZN2at6native32elementwise_kernel_manual_unrollILi128ELi4EZNS0_12_GLOBAL__N_142type_specialized_broadcast_kernel_launcherILi1EE5applyINS0_13BinaryFunctorIfffZZZNS0_20copysign_kernel_cudaERNS_18TensorIteratorBaseEENKUlvE_clEvENKUlvE0_clEvEUlffE_EESt5arrayIPcLm3EESD_IN3c1010ScalarTypeELm3EE16OffsetCalculatorILi3EjLb0EEEEvlT_T0_T1_T2_EUlibE_EEviSN_, .Lfunc_end115-_ZN2at6native32elementwise_kernel_manual_unrollILi128ELi4EZNS0_12_GLOBAL__N_142type_specialized_broadcast_kernel_launcherILi1EE5applyINS0_13BinaryFunctorIfffZZZNS0_20copysign_kernel_cudaERNS_18TensorIteratorBaseEENKUlvE_clEvENKUlvE0_clEvEUlffE_EESt5arrayIPcLm3EESD_IN3c1010ScalarTypeELm3EE16OffsetCalculatorILi3EjLb0EEEEvlT_T0_T1_T2_EUlibE_EEviSN_
                                        ; -- End function
	.section	.AMDGPU.csdata,"",@progbits
; Kernel info:
; codeLenInByte = 4768
; NumSgprs: 56
; NumVgprs: 25
; NumAgprs: 0
; TotalNumVgprs: 25
; ScratchSize: 0
; MemoryBound: 0
; FloatMode: 240
; IeeeMode: 1
; LDSByteSize: 0 bytes/workgroup (compile time only)
; SGPRBlocks: 6
; VGPRBlocks: 3
; NumSGPRsForWavesPerEU: 56
; NumVGPRsForWavesPerEU: 25
; AccumOffset: 28
; Occupancy: 8
; WaveLimiterHint : 1
; COMPUTE_PGM_RSRC2:SCRATCH_EN: 0
; COMPUTE_PGM_RSRC2:USER_SGPR: 6
; COMPUTE_PGM_RSRC2:TRAP_HANDLER: 0
; COMPUTE_PGM_RSRC2:TGID_X_EN: 1
; COMPUTE_PGM_RSRC2:TGID_Y_EN: 0
; COMPUTE_PGM_RSRC2:TGID_Z_EN: 0
; COMPUTE_PGM_RSRC2:TIDIG_COMP_CNT: 0
; COMPUTE_PGM_RSRC3_GFX90A:ACCUM_OFFSET: 6
; COMPUTE_PGM_RSRC3_GFX90A:TG_SPLIT: 0
	.section	.text._ZN2at6native32elementwise_kernel_manual_unrollILi128ELi4EZNS0_12_GLOBAL__N_142type_specialized_broadcast_kernel_launcherILi2EE5applyINS0_13BinaryFunctorIfffZZZNS0_20copysign_kernel_cudaERNS_18TensorIteratorBaseEENKUlvE_clEvENKUlvE0_clEvEUlffE_EESt5arrayIPcLm3EESD_IN3c1010ScalarTypeELm3EE16OffsetCalculatorILi3EjLb0EEEEvlT_T0_T1_T2_EUlibE_EEviSN_,"axG",@progbits,_ZN2at6native32elementwise_kernel_manual_unrollILi128ELi4EZNS0_12_GLOBAL__N_142type_specialized_broadcast_kernel_launcherILi2EE5applyINS0_13BinaryFunctorIfffZZZNS0_20copysign_kernel_cudaERNS_18TensorIteratorBaseEENKUlvE_clEvENKUlvE0_clEvEUlffE_EESt5arrayIPcLm3EESD_IN3c1010ScalarTypeELm3EE16OffsetCalculatorILi3EjLb0EEEEvlT_T0_T1_T2_EUlibE_EEviSN_,comdat
	.globl	_ZN2at6native32elementwise_kernel_manual_unrollILi128ELi4EZNS0_12_GLOBAL__N_142type_specialized_broadcast_kernel_launcherILi2EE5applyINS0_13BinaryFunctorIfffZZZNS0_20copysign_kernel_cudaERNS_18TensorIteratorBaseEENKUlvE_clEvENKUlvE0_clEvEUlffE_EESt5arrayIPcLm3EESD_IN3c1010ScalarTypeELm3EE16OffsetCalculatorILi3EjLb0EEEEvlT_T0_T1_T2_EUlibE_EEviSN_ ; -- Begin function _ZN2at6native32elementwise_kernel_manual_unrollILi128ELi4EZNS0_12_GLOBAL__N_142type_specialized_broadcast_kernel_launcherILi2EE5applyINS0_13BinaryFunctorIfffZZZNS0_20copysign_kernel_cudaERNS_18TensorIteratorBaseEENKUlvE_clEvENKUlvE0_clEvEUlffE_EESt5arrayIPcLm3EESD_IN3c1010ScalarTypeELm3EE16OffsetCalculatorILi3EjLb0EEEEvlT_T0_T1_T2_EUlibE_EEviSN_
	.p2align	8
	.type	_ZN2at6native32elementwise_kernel_manual_unrollILi128ELi4EZNS0_12_GLOBAL__N_142type_specialized_broadcast_kernel_launcherILi2EE5applyINS0_13BinaryFunctorIfffZZZNS0_20copysign_kernel_cudaERNS_18TensorIteratorBaseEENKUlvE_clEvENKUlvE0_clEvEUlffE_EESt5arrayIPcLm3EESD_IN3c1010ScalarTypeELm3EE16OffsetCalculatorILi3EjLb0EEEEvlT_T0_T1_T2_EUlibE_EEviSN_,@function
_ZN2at6native32elementwise_kernel_manual_unrollILi128ELi4EZNS0_12_GLOBAL__N_142type_specialized_broadcast_kernel_launcherILi2EE5applyINS0_13BinaryFunctorIfffZZZNS0_20copysign_kernel_cudaERNS_18TensorIteratorBaseEENKUlvE_clEvENKUlvE0_clEvEUlffE_EESt5arrayIPcLm3EESD_IN3c1010ScalarTypeELm3EE16OffsetCalculatorILi3EjLb0EEEEvlT_T0_T1_T2_EUlibE_EEviSN_: ; @_ZN2at6native32elementwise_kernel_manual_unrollILi128ELi4EZNS0_12_GLOBAL__N_142type_specialized_broadcast_kernel_launcherILi2EE5applyINS0_13BinaryFunctorIfffZZZNS0_20copysign_kernel_cudaERNS_18TensorIteratorBaseEENKUlvE_clEvENKUlvE0_clEvEUlffE_EESt5arrayIPcLm3EESD_IN3c1010ScalarTypeELm3EE16OffsetCalculatorILi3EjLb0EEEEvlT_T0_T1_T2_EUlibE_EEviSN_
; %bb.0:
	s_load_dword s36, s[4:5], 0x0
	s_load_dword s33, s[4:5], 0x8
	s_or_b32 s4, s4, 8
	v_lshl_or_b32 v12, s6, 9, v0
	v_or_b32_e32 v24, 0x180, v12
	s_waitcnt lgkmcnt(0)
	v_cmp_le_i32_e32 vcc, s36, v24
	s_add_i32 s34, s33, -1
	s_cmp_gt_u32 s34, 1
	s_cselect_b64 s[6:7], -1, 0
	s_mov_b64 s[8:9], 0
                                        ; implicit-def: $vgpr2_vgpr3
                                        ; implicit-def: $vgpr1
	s_and_saveexec_b64 s[0:1], vcc
	s_xor_b64 s[16:17], exec, s[0:1]
	s_cbranch_execnz .LBB116_4
; %bb.1:
	s_andn2_saveexec_b64 s[10:11], s[16:17]
	s_cbranch_execnz .LBB116_53
.LBB116_2:
	s_or_b64 exec, exec, s[10:11]
	s_and_saveexec_b64 s[0:1], s[8:9]
	s_cbranch_execnz .LBB116_94
.LBB116_3:
	s_endpgm
.LBB116_4:
	s_load_dwordx4 s[12:15], s[4:5], 0x4
	s_load_dwordx2 s[22:23], s[4:5], 0x14
	s_load_dwordx4 s[8:11], s[4:5], 0xc4
	s_load_dwordx2 s[20:21], s[4:5], 0xd4
	s_load_dwordx2 s[18:19], s[4:5], 0x198
	s_load_dwordx4 s[0:3], s[4:5], 0x188
	s_cmp_lg_u32 s33, 0
	s_cselect_b64 s[26:27], -1, 0
	s_min_u32 s35, s34, 15
	s_cmp_gt_u32 s33, 1
	s_cselect_b64 s[24:25], -1, 0
	v_cmp_gt_i32_e32 vcc, s36, v12
	s_and_saveexec_b64 s[28:29], vcc
	s_cbranch_execnz .LBB116_7
; %bb.5:
	s_or_b64 exec, exec, s[28:29]
	v_cmp_gt_i32_e32 vcc, s36, v12
	s_and_saveexec_b64 s[28:29], vcc
	s_cbranch_execnz .LBB116_18
.LBB116_6:
	s_or_b64 exec, exec, s[28:29]
	v_cmp_gt_i32_e32 vcc, s36, v12
	s_and_saveexec_b64 s[28:29], vcc
	s_cbranch_execnz .LBB116_29
	s_branch .LBB116_40
.LBB116_7:
	s_andn2_b64 vcc, exec, s[6:7]
	s_cbranch_vccnz .LBB116_14
; %bb.8:
	s_andn2_b64 vcc, exec, s[26:27]
	v_mov_b32_e32 v2, 0
	v_mov_b32_e32 v4, 0
	v_mov_b32_e32 v0, 0
	s_cbranch_vccnz .LBB116_13
; %bb.9:
	s_add_i32 s30, s35, 1
	s_and_b32 s37, s30, 30
	s_add_u32 s30, s4, 0xffffffec
	s_addc_u32 s31, s5, -1
	v_mov_b32_e32 v0, 0
	v_mov_b32_e32 v1, v12
	v_mov_b32_e32 v4, 0
	v_mov_b32_e32 v2, 0
.LBB116_10:                             ; =>This Inner Loop Header: Depth=1
	s_mov_b64 s[38:39], s[30:31]
	s_load_dwordx4 s[40:43], s[38:39], 0x18
	s_load_dwordx2 s[48:49], s[38:39], 0x28
	s_load_dwordx2 s[50:51], s[38:39], 0xe8
	s_load_dwordx4 s[44:47], s[38:39], 0xd8
	s_add_u32 s30, s38, 24
	s_waitcnt lgkmcnt(0)
	v_mul_hi_u32 v3, s41, v1
	v_add_u32_e32 v3, v1, v3
	v_lshrrev_b32_e32 v3, s42, v3
	v_mul_lo_u32 v5, v3, s40
	v_mul_hi_u32 v6, s48, v3
	v_sub_u32_e32 v1, v1, v5
	v_add_u32_e32 v5, v3, v6
	v_mul_lo_u32 v6, v1, s44
	v_mul_lo_u32 v7, v1, s45
	;; [unrolled: 1-line block ×3, first 2 shown]
	v_lshrrev_b32_e32 v1, s49, v5
	v_mul_lo_u32 v5, v1, s43
	v_sub_u32_e32 v3, v3, v5
	s_addc_u32 s31, s39, 0
	s_add_i32 s37, s37, -2
	v_mul_lo_u32 v5, v3, s47
	v_mul_lo_u32 v9, v3, s50
	;; [unrolled: 1-line block ×3, first 2 shown]
	s_cmp_lg_u32 s37, 0
	v_add3_u32 v0, v6, v0, v5
	v_add3_u32 v2, v8, v2, v3
	;; [unrolled: 1-line block ×3, first 2 shown]
	s_cbranch_scc1 .LBB116_10
; %bb.11:
	s_bitcmp1_b32 s35, 0
	s_cselect_b64 s[38:39], -1, 0
	s_and_b64 vcc, exec, s[38:39]
	s_cbranch_vccnz .LBB116_13
; %bb.12:
	s_load_dwordx2 s[38:39], s[30:31], 0x18
	s_load_dword s37, s[30:31], 0x20
	s_load_dword s42, s[30:31], 0xe0
	s_load_dwordx2 s[40:41], s[30:31], 0xd8
	s_waitcnt lgkmcnt(0)
	v_mul_hi_u32 v3, s39, v1
	v_add_u32_e32 v3, v1, v3
	v_lshrrev_b32_e32 v3, s37, v3
	v_mul_lo_u32 v3, v3, s38
	v_sub_u32_e32 v3, v1, v3
	v_mad_u64_u32 v[0:1], s[30:31], v3, s40, v[0:1]
	v_mad_u64_u32 v[4:5], s[30:31], v3, s41, v[4:5]
	;; [unrolled: 1-line block ×3, first 2 shown]
.LBB116_13:
	s_cbranch_execz .LBB116_15
	s_branch .LBB116_17
.LBB116_14:
                                        ; implicit-def: $vgpr2
                                        ; implicit-def: $vgpr4
                                        ; implicit-def: $vgpr0
.LBB116_15:
	s_waitcnt lgkmcnt(0)
	v_mul_hi_u32 v0, s13, v12
	v_add_u32_e32 v0, v12, v0
	v_lshrrev_b32_e32 v1, s14, v0
	v_mul_lo_u32 v0, v1, s12
	v_sub_u32_e32 v3, v12, v0
	v_mul_lo_u32 v0, v3, s8
	v_mul_lo_u32 v2, v3, s10
	s_andn2_b64 vcc, exec, s[24:25]
	v_mul_lo_u32 v4, v3, s9
	s_cbranch_vccnz .LBB116_17
; %bb.16:
	v_mul_hi_u32 v3, s22, v1
	v_add_u32_e32 v3, v1, v3
	v_lshrrev_b32_e32 v3, s23, v3
	v_mul_lo_u32 v3, v3, s15
	v_sub_u32_e32 v3, v1, v3
	v_mad_u64_u32 v[0:1], s[30:31], v3, s11, v[0:1]
	v_mad_u64_u32 v[4:5], s[30:31], v3, s20, v[4:5]
	v_mad_u64_u32 v[2:3], s[30:31], v3, s21, v[2:3]
.LBB116_17:
	s_waitcnt lgkmcnt(0)
	global_load_ushort v1, v4, s[2:3]
	global_load_dword v3, v2, s[18:19]
	s_brev_b32 s30, -2
	s_movk_i32 s31, 0x7fff
	v_mov_b32_e32 v2, 0x7fc0
	v_add_u32_e32 v12, 0x80, v12
	s_waitcnt vmcnt(1)
	v_lshlrev_b32_e32 v1, 16, v1
	s_waitcnt vmcnt(0)
	v_bfi_b32 v1, s30, v1, v3
	v_bfe_u32 v3, v1, 16, 1
	v_add3_u32 v3, v1, v3, s31
	v_lshrrev_b32_e32 v3, 16, v3
	v_cmp_o_f32_e32 vcc, v1, v1
	v_cndmask_b32_e32 v1, v2, v3, vcc
	global_store_short v0, v1, s[0:1]
	s_or_b64 exec, exec, s[28:29]
	v_cmp_gt_i32_e32 vcc, s36, v12
	s_and_saveexec_b64 s[28:29], vcc
	s_cbranch_execz .LBB116_6
.LBB116_18:
	s_andn2_b64 vcc, exec, s[6:7]
	s_cbranch_vccnz .LBB116_25
; %bb.19:
	s_andn2_b64 vcc, exec, s[26:27]
	v_mov_b32_e32 v2, 0
	v_mov_b32_e32 v4, 0
	;; [unrolled: 1-line block ×3, first 2 shown]
	s_cbranch_vccnz .LBB116_24
; %bb.20:
	s_add_i32 s30, s35, 1
	s_and_b32 s37, s30, 30
	s_add_u32 s30, s4, 0xffffffec
	s_addc_u32 s31, s5, -1
	v_mov_b32_e32 v0, 0
	v_mov_b32_e32 v1, v12
	;; [unrolled: 1-line block ×4, first 2 shown]
.LBB116_21:                             ; =>This Inner Loop Header: Depth=1
	s_mov_b64 s[38:39], s[30:31]
	s_load_dwordx4 s[40:43], s[38:39], 0x18
	s_load_dwordx2 s[48:49], s[38:39], 0x28
	s_load_dwordx2 s[50:51], s[38:39], 0xe8
	s_load_dwordx4 s[44:47], s[38:39], 0xd8
	s_add_u32 s30, s38, 24
	s_waitcnt lgkmcnt(0)
	v_mul_hi_u32 v3, s41, v1
	v_add_u32_e32 v3, v1, v3
	v_lshrrev_b32_e32 v3, s42, v3
	v_mul_lo_u32 v5, v3, s40
	v_mul_hi_u32 v6, s48, v3
	v_sub_u32_e32 v1, v1, v5
	v_add_u32_e32 v5, v3, v6
	v_mul_lo_u32 v6, v1, s44
	v_mul_lo_u32 v7, v1, s45
	v_mul_lo_u32 v8, v1, s46
	v_lshrrev_b32_e32 v1, s49, v5
	v_mul_lo_u32 v5, v1, s43
	v_sub_u32_e32 v3, v3, v5
	s_addc_u32 s31, s39, 0
	s_add_i32 s37, s37, -2
	v_mul_lo_u32 v5, v3, s47
	v_mul_lo_u32 v9, v3, s50
	;; [unrolled: 1-line block ×3, first 2 shown]
	s_cmp_eq_u32 s37, 0
	v_add3_u32 v0, v6, v0, v5
	v_add3_u32 v2, v8, v2, v3
	;; [unrolled: 1-line block ×3, first 2 shown]
	s_cbranch_scc0 .LBB116_21
; %bb.22:
	s_bitcmp1_b32 s35, 0
	s_cselect_b64 s[38:39], -1, 0
	s_and_b64 vcc, exec, s[38:39]
	s_cbranch_vccnz .LBB116_24
; %bb.23:
	s_load_dwordx2 s[38:39], s[30:31], 0x18
	s_load_dword s37, s[30:31], 0x20
	s_load_dword s42, s[30:31], 0xe0
	s_load_dwordx2 s[40:41], s[30:31], 0xd8
	s_waitcnt lgkmcnt(0)
	v_mul_hi_u32 v3, s39, v1
	v_add_u32_e32 v3, v1, v3
	v_lshrrev_b32_e32 v3, s37, v3
	v_mul_lo_u32 v3, v3, s38
	v_sub_u32_e32 v3, v1, v3
	v_mad_u64_u32 v[0:1], s[30:31], v3, s40, v[0:1]
	v_mad_u64_u32 v[4:5], s[30:31], v3, s41, v[4:5]
	;; [unrolled: 1-line block ×3, first 2 shown]
.LBB116_24:
	s_cbranch_execz .LBB116_26
	s_branch .LBB116_28
.LBB116_25:
                                        ; implicit-def: $vgpr2
                                        ; implicit-def: $vgpr4
                                        ; implicit-def: $vgpr0
.LBB116_26:
	s_waitcnt lgkmcnt(0)
	v_mul_hi_u32 v0, s13, v12
	v_add_u32_e32 v0, v12, v0
	v_lshrrev_b32_e32 v1, s14, v0
	v_mul_lo_u32 v0, v1, s12
	v_sub_u32_e32 v3, v12, v0
	v_mul_lo_u32 v0, v3, s8
	v_mul_lo_u32 v2, v3, s10
	s_andn2_b64 vcc, exec, s[24:25]
	v_mul_lo_u32 v4, v3, s9
	s_cbranch_vccnz .LBB116_28
; %bb.27:
	v_mul_hi_u32 v3, s22, v1
	v_add_u32_e32 v3, v1, v3
	v_lshrrev_b32_e32 v3, s23, v3
	v_mul_lo_u32 v3, v3, s15
	v_sub_u32_e32 v3, v1, v3
	v_mad_u64_u32 v[0:1], s[30:31], v3, s11, v[0:1]
	v_mad_u64_u32 v[4:5], s[30:31], v3, s20, v[4:5]
	;; [unrolled: 1-line block ×3, first 2 shown]
.LBB116_28:
	s_waitcnt lgkmcnt(0)
	global_load_ushort v1, v4, s[2:3]
	global_load_dword v3, v2, s[18:19]
	s_brev_b32 s30, -2
	s_movk_i32 s31, 0x7fff
	v_mov_b32_e32 v2, 0x7fc0
	v_add_u32_e32 v12, 0x80, v12
	s_waitcnt vmcnt(1)
	v_lshlrev_b32_e32 v1, 16, v1
	s_waitcnt vmcnt(0)
	v_bfi_b32 v1, s30, v1, v3
	v_bfe_u32 v3, v1, 16, 1
	v_add3_u32 v3, v1, v3, s31
	v_lshrrev_b32_e32 v3, 16, v3
	v_cmp_o_f32_e32 vcc, v1, v1
	v_cndmask_b32_e32 v1, v2, v3, vcc
	global_store_short v0, v1, s[0:1]
	s_or_b64 exec, exec, s[28:29]
	v_cmp_gt_i32_e32 vcc, s36, v12
	s_and_saveexec_b64 s[28:29], vcc
	s_cbranch_execz .LBB116_40
.LBB116_29:
	s_andn2_b64 vcc, exec, s[6:7]
	s_cbranch_vccnz .LBB116_36
; %bb.30:
	s_andn2_b64 vcc, exec, s[26:27]
	v_mov_b32_e32 v2, 0
	v_mov_b32_e32 v4, 0
	;; [unrolled: 1-line block ×3, first 2 shown]
	s_cbranch_vccnz .LBB116_35
; %bb.31:
	s_add_i32 s30, s35, 1
	s_and_b32 s37, s30, 30
	s_add_u32 s30, s4, 0xffffffec
	s_addc_u32 s31, s5, -1
	v_mov_b32_e32 v0, 0
	v_mov_b32_e32 v1, v12
	v_mov_b32_e32 v4, 0
	v_mov_b32_e32 v2, 0
.LBB116_32:                             ; =>This Inner Loop Header: Depth=1
	s_mov_b64 s[38:39], s[30:31]
	s_load_dwordx4 s[40:43], s[38:39], 0x18
	s_load_dwordx2 s[48:49], s[38:39], 0x28
	s_load_dwordx2 s[50:51], s[38:39], 0xe8
	s_load_dwordx4 s[44:47], s[38:39], 0xd8
	s_add_u32 s30, s38, 24
	s_waitcnt lgkmcnt(0)
	v_mul_hi_u32 v3, s41, v1
	v_add_u32_e32 v3, v1, v3
	v_lshrrev_b32_e32 v3, s42, v3
	v_mul_lo_u32 v5, v3, s40
	v_mul_hi_u32 v6, s48, v3
	v_sub_u32_e32 v1, v1, v5
	v_add_u32_e32 v5, v3, v6
	v_mul_lo_u32 v6, v1, s44
	v_mul_lo_u32 v7, v1, s45
	;; [unrolled: 1-line block ×3, first 2 shown]
	v_lshrrev_b32_e32 v1, s49, v5
	v_mul_lo_u32 v5, v1, s43
	v_sub_u32_e32 v3, v3, v5
	s_addc_u32 s31, s39, 0
	s_add_i32 s37, s37, -2
	v_mul_lo_u32 v5, v3, s47
	v_mul_lo_u32 v9, v3, s50
	v_mul_lo_u32 v3, v3, s51
	s_cmp_eq_u32 s37, 0
	v_add3_u32 v0, v6, v0, v5
	v_add3_u32 v2, v8, v2, v3
	;; [unrolled: 1-line block ×3, first 2 shown]
	s_cbranch_scc0 .LBB116_32
; %bb.33:
	s_bitcmp1_b32 s35, 0
	s_cselect_b64 s[38:39], -1, 0
	s_and_b64 vcc, exec, s[38:39]
	s_cbranch_vccnz .LBB116_35
; %bb.34:
	s_load_dwordx2 s[38:39], s[30:31], 0x18
	s_load_dword s37, s[30:31], 0x20
	s_load_dword s42, s[30:31], 0xe0
	s_load_dwordx2 s[40:41], s[30:31], 0xd8
	s_waitcnt lgkmcnt(0)
	v_mul_hi_u32 v3, s39, v1
	v_add_u32_e32 v3, v1, v3
	v_lshrrev_b32_e32 v3, s37, v3
	v_mul_lo_u32 v3, v3, s38
	v_sub_u32_e32 v3, v1, v3
	v_mad_u64_u32 v[0:1], s[30:31], v3, s40, v[0:1]
	v_mad_u64_u32 v[4:5], s[30:31], v3, s41, v[4:5]
	;; [unrolled: 1-line block ×3, first 2 shown]
.LBB116_35:
	s_cbranch_execz .LBB116_37
	s_branch .LBB116_39
.LBB116_36:
                                        ; implicit-def: $vgpr2
                                        ; implicit-def: $vgpr4
                                        ; implicit-def: $vgpr0
.LBB116_37:
	s_waitcnt lgkmcnt(0)
	v_mul_hi_u32 v0, s13, v12
	v_add_u32_e32 v0, v12, v0
	v_lshrrev_b32_e32 v1, s14, v0
	v_mul_lo_u32 v0, v1, s12
	v_sub_u32_e32 v3, v12, v0
	v_mul_lo_u32 v0, v3, s8
	v_mul_lo_u32 v2, v3, s10
	s_andn2_b64 vcc, exec, s[24:25]
	v_mul_lo_u32 v4, v3, s9
	s_cbranch_vccnz .LBB116_39
; %bb.38:
	v_mul_hi_u32 v3, s22, v1
	v_add_u32_e32 v3, v1, v3
	v_lshrrev_b32_e32 v3, s23, v3
	v_mul_lo_u32 v3, v3, s15
	v_sub_u32_e32 v3, v1, v3
	v_mad_u64_u32 v[0:1], s[30:31], v3, s11, v[0:1]
	v_mad_u64_u32 v[4:5], s[30:31], v3, s20, v[4:5]
	;; [unrolled: 1-line block ×3, first 2 shown]
.LBB116_39:
	s_waitcnt lgkmcnt(0)
	global_load_ushort v1, v4, s[2:3]
	global_load_dword v3, v2, s[18:19]
	s_brev_b32 s30, -2
	s_movk_i32 s31, 0x7fff
	v_mov_b32_e32 v2, 0x7fc0
	v_add_u32_e32 v12, 0x80, v12
	s_waitcnt vmcnt(1)
	v_lshlrev_b32_e32 v1, 16, v1
	s_waitcnt vmcnt(0)
	v_bfi_b32 v1, s30, v1, v3
	v_bfe_u32 v3, v1, 16, 1
	v_add3_u32 v3, v1, v3, s31
	v_lshrrev_b32_e32 v3, 16, v3
	v_cmp_o_f32_e32 vcc, v1, v1
	v_cndmask_b32_e32 v1, v2, v3, vcc
	global_store_short v0, v1, s[0:1]
.LBB116_40:
	s_or_b64 exec, exec, s[28:29]
	v_cmp_gt_i32_e32 vcc, s36, v12
	s_mov_b64 s[30:31], 0
                                        ; implicit-def: $vgpr2_vgpr3
                                        ; implicit-def: $vgpr1
	s_and_saveexec_b64 s[28:29], vcc
	s_cbranch_execz .LBB116_52
; %bb.41:
	s_andn2_b64 vcc, exec, s[6:7]
	s_cbranch_vccnz .LBB116_48
; %bb.42:
	s_andn2_b64 vcc, exec, s[26:27]
	v_mov_b32_e32 v2, 0
	v_mov_b32_e32 v4, 0
	;; [unrolled: 1-line block ×3, first 2 shown]
	s_cbranch_vccnz .LBB116_47
; %bb.43:
	s_add_i32 s26, s35, 1
	s_and_b32 s30, s26, 30
	s_add_u32 s26, s4, 0xffffffec
	s_addc_u32 s27, s5, -1
	v_mov_b32_e32 v0, 0
	v_mov_b32_e32 v1, v12
	v_mov_b32_e32 v4, 0
	v_mov_b32_e32 v2, 0
.LBB116_44:                             ; =>This Inner Loop Header: Depth=1
	s_mov_b64 s[44:45], s[26:27]
	s_load_dwordx4 s[36:39], s[44:45], 0x18
	s_load_dwordx2 s[46:47], s[44:45], 0x28
	s_load_dwordx2 s[48:49], s[44:45], 0xe8
	s_load_dwordx4 s[40:43], s[44:45], 0xd8
	s_add_u32 s26, s44, 24
	s_waitcnt lgkmcnt(0)
	v_mul_hi_u32 v3, s37, v1
	v_add_u32_e32 v3, v1, v3
	v_lshrrev_b32_e32 v3, s38, v3
	v_mul_lo_u32 v5, v3, s36
	v_mul_hi_u32 v6, s46, v3
	v_sub_u32_e32 v1, v1, v5
	v_add_u32_e32 v5, v3, v6
	v_mul_lo_u32 v6, v1, s40
	v_mul_lo_u32 v7, v1, s41
	;; [unrolled: 1-line block ×3, first 2 shown]
	v_lshrrev_b32_e32 v1, s47, v5
	v_mul_lo_u32 v5, v1, s39
	v_sub_u32_e32 v3, v3, v5
	s_addc_u32 s27, s45, 0
	s_add_i32 s30, s30, -2
	v_mul_lo_u32 v5, v3, s43
	v_mul_lo_u32 v9, v3, s48
	;; [unrolled: 1-line block ×3, first 2 shown]
	s_cmp_eq_u32 s30, 0
	v_add3_u32 v0, v6, v0, v5
	v_add3_u32 v2, v8, v2, v3
	;; [unrolled: 1-line block ×3, first 2 shown]
	s_cbranch_scc0 .LBB116_44
; %bb.45:
	s_bitcmp1_b32 s35, 0
	s_cselect_b64 s[30:31], -1, 0
	s_and_b64 vcc, exec, s[30:31]
	s_cbranch_vccnz .LBB116_47
; %bb.46:
	s_load_dwordx2 s[30:31], s[26:27], 0x18
	s_load_dword s35, s[26:27], 0x20
	s_load_dword s38, s[26:27], 0xe0
	s_load_dwordx2 s[36:37], s[26:27], 0xd8
	s_waitcnt lgkmcnt(0)
	v_mul_hi_u32 v3, s31, v1
	v_add_u32_e32 v3, v1, v3
	v_lshrrev_b32_e32 v3, s35, v3
	v_mul_lo_u32 v3, v3, s30
	v_sub_u32_e32 v3, v1, v3
	v_mad_u64_u32 v[0:1], s[26:27], v3, s36, v[0:1]
	v_mad_u64_u32 v[4:5], s[26:27], v3, s37, v[4:5]
	;; [unrolled: 1-line block ×3, first 2 shown]
.LBB116_47:
	s_cbranch_execz .LBB116_49
	s_branch .LBB116_51
.LBB116_48:
                                        ; implicit-def: $vgpr2
                                        ; implicit-def: $vgpr4
                                        ; implicit-def: $vgpr0
.LBB116_49:
	s_waitcnt lgkmcnt(0)
	v_mul_hi_u32 v0, s13, v12
	v_add_u32_e32 v0, v12, v0
	v_lshrrev_b32_e32 v1, s14, v0
	v_mul_lo_u32 v0, v1, s12
	v_sub_u32_e32 v3, v12, v0
	v_mul_lo_u32 v0, v3, s8
	v_mul_lo_u32 v2, v3, s10
	s_andn2_b64 vcc, exec, s[24:25]
	v_mul_lo_u32 v4, v3, s9
	s_cbranch_vccnz .LBB116_51
; %bb.50:
	v_mul_hi_u32 v3, s22, v1
	v_add_u32_e32 v3, v1, v3
	v_lshrrev_b32_e32 v3, s23, v3
	v_mul_lo_u32 v3, v3, s15
	v_sub_u32_e32 v3, v1, v3
	v_mad_u64_u32 v[0:1], s[8:9], v3, s11, v[0:1]
	v_mad_u64_u32 v[4:5], s[8:9], v3, s20, v[4:5]
	;; [unrolled: 1-line block ×3, first 2 shown]
.LBB116_51:
	s_waitcnt lgkmcnt(0)
	global_load_ushort v1, v4, s[2:3]
	global_load_dword v5, v2, s[18:19]
	v_mov_b32_e32 v3, s1
	v_add_co_u32_e32 v2, vcc, s0, v0
	s_brev_b32 s0, -2
	s_mov_b64 s[30:31], exec
	v_addc_co_u32_e32 v3, vcc, 0, v3, vcc
	s_waitcnt vmcnt(1)
	v_lshlrev_b32_e32 v0, 16, v1
	s_waitcnt vmcnt(0)
	v_bfi_b32 v1, s0, v0, v5
.LBB116_52:
	s_or_b64 exec, exec, s[28:29]
	s_waitcnt lgkmcnt(0)
	s_and_b64 s[8:9], s[30:31], exec
                                        ; implicit-def: $vgpr24
                                        ; implicit-def: $vgpr12
	s_andn2_saveexec_b64 s[10:11], s[16:17]
	s_cbranch_execz .LBB116_2
.LBB116_53:
	v_cndmask_b32_e64 v0, 0, 1, s[6:7]
	v_cmp_ne_u32_e64 s[0:1], 1, v0
	s_andn2_b64 vcc, exec, s[6:7]
	s_cbranch_vccnz .LBB116_59
; %bb.54:
	s_cmp_lg_u32 s33, 0
	v_mov_b32_e32 v2, 0
	v_mov_b32_e32 v4, 0
	;; [unrolled: 1-line block ×3, first 2 shown]
	s_cbranch_scc0 .LBB116_60
; %bb.55:
	s_min_u32 s6, s34, 15
	s_add_i32 s2, s6, 1
	s_and_b32 s7, s2, 30
	s_add_u32 s2, s4, 0xffffffec
	s_addc_u32 s3, s5, -1
	v_mov_b32_e32 v0, 0
	v_mov_b32_e32 v1, v12
	;; [unrolled: 1-line block ×4, first 2 shown]
.LBB116_56:                             ; =>This Inner Loop Header: Depth=1
	s_mov_b64 s[20:21], s[2:3]
	s_load_dwordx4 s[12:15], s[20:21], 0x18
	s_load_dwordx2 s[22:23], s[20:21], 0x28
	s_load_dwordx2 s[24:25], s[20:21], 0xe8
	s_load_dwordx4 s[16:19], s[20:21], 0xd8
	s_add_u32 s2, s20, 24
	s_waitcnt lgkmcnt(0)
	v_mul_hi_u32 v3, s13, v1
	v_add_u32_e32 v3, v1, v3
	v_lshrrev_b32_e32 v3, s14, v3
	v_mul_lo_u32 v5, v3, s12
	v_mul_hi_u32 v6, s22, v3
	v_sub_u32_e32 v1, v1, v5
	v_add_u32_e32 v5, v3, v6
	v_mul_lo_u32 v6, v1, s16
	v_mul_lo_u32 v7, v1, s17
	;; [unrolled: 1-line block ×3, first 2 shown]
	v_lshrrev_b32_e32 v1, s23, v5
	v_mul_lo_u32 v5, v1, s15
	v_sub_u32_e32 v3, v3, v5
	s_addc_u32 s3, s21, 0
	s_add_i32 s7, s7, -2
	v_mul_lo_u32 v5, v3, s19
	v_mul_lo_u32 v9, v3, s24
	;; [unrolled: 1-line block ×3, first 2 shown]
	s_cmp_lg_u32 s7, 0
	v_add3_u32 v0, v6, v0, v5
	v_add3_u32 v2, v8, v2, v3
	;; [unrolled: 1-line block ×3, first 2 shown]
	s_cbranch_scc1 .LBB116_56
; %bb.57:
	s_bitcmp1_b32 s6, 0
	s_cselect_b64 s[6:7], -1, 0
	s_and_b64 vcc, exec, s[6:7]
	s_cbranch_vccnz .LBB116_60
; %bb.58:
	s_load_dwordx2 s[6:7], s[2:3], 0x18
	s_load_dword s14, s[2:3], 0x20
	s_load_dword s15, s[2:3], 0xe0
	s_load_dwordx2 s[12:13], s[2:3], 0xd8
	s_waitcnt lgkmcnt(0)
	v_mul_hi_u32 v3, s7, v1
	v_add_u32_e32 v3, v1, v3
	v_lshrrev_b32_e32 v3, s14, v3
	v_mul_lo_u32 v3, v3, s6
	v_sub_u32_e32 v3, v1, v3
	v_mad_u64_u32 v[0:1], s[2:3], v3, s12, v[0:1]
	v_mad_u64_u32 v[4:5], s[2:3], v3, s13, v[4:5]
	;; [unrolled: 1-line block ×3, first 2 shown]
	s_cbranch_execz .LBB116_61
	s_branch .LBB116_63
.LBB116_59:
                                        ; implicit-def: $vgpr2
                                        ; implicit-def: $vgpr4
                                        ; implicit-def: $vgpr0
	s_branch .LBB116_61
.LBB116_60:
	s_cbranch_execnz .LBB116_63
.LBB116_61:
	s_load_dwordx4 s[12:15], s[4:5], 0x4
	s_load_dwordx4 s[16:19], s[4:5], 0xc4
	s_cmp_lt_u32 s33, 2
	s_waitcnt lgkmcnt(0)
	v_mul_hi_u32 v0, s13, v12
	v_add_u32_e32 v0, v12, v0
	v_lshrrev_b32_e32 v1, s14, v0
	v_mul_lo_u32 v0, v1, s12
	v_sub_u32_e32 v3, v12, v0
	v_mul_lo_u32 v0, v3, s16
	v_mul_lo_u32 v2, v3, s18
	;; [unrolled: 1-line block ×3, first 2 shown]
	s_cbranch_scc1 .LBB116_63
; %bb.62:
	s_load_dwordx4 s[12:15], s[4:5], 0x10
	s_load_dwordx4 s[16:19], s[4:5], 0xd0
	s_waitcnt lgkmcnt(0)
	v_mul_hi_u32 v3, s13, v1
	v_add_u32_e32 v3, v1, v3
	v_lshrrev_b32_e32 v3, s14, v3
	v_mul_lo_u32 v3, v3, s12
	v_sub_u32_e32 v3, v1, v3
	v_mad_u64_u32 v[0:1], s[2:3], v3, s16, v[0:1]
	v_mad_u64_u32 v[4:5], s[2:3], v3, s17, v[4:5]
	;; [unrolled: 1-line block ×3, first 2 shown]
.LBB116_63:
	s_and_b64 vcc, exec, s[0:1]
	v_add_u32_e32 v1, 0x80, v12
	s_cbranch_vccnz .LBB116_69
; %bb.64:
	s_cmp_lg_u32 s33, 0
	v_mov_b32_e32 v8, 0
	v_mov_b32_e32 v10, 0
	;; [unrolled: 1-line block ×3, first 2 shown]
	s_cbranch_scc0 .LBB116_70
; %bb.65:
	s_min_u32 s6, s34, 15
	s_add_i32 s2, s6, 1
	s_and_b32 s7, s2, 30
	s_add_u32 s2, s4, 0xffffffec
	s_addc_u32 s3, s5, -1
	v_mov_b32_e32 v6, 0
	v_mov_b32_e32 v3, v1
	;; [unrolled: 1-line block ×4, first 2 shown]
.LBB116_66:                             ; =>This Inner Loop Header: Depth=1
	s_mov_b64 s[20:21], s[2:3]
	s_load_dwordx4 s[12:15], s[20:21], 0x18
	s_load_dwordx2 s[22:23], s[20:21], 0x28
	s_load_dwordx2 s[24:25], s[20:21], 0xe8
	s_load_dwordx4 s[16:19], s[20:21], 0xd8
	s_add_u32 s2, s20, 24
	s_waitcnt lgkmcnt(0)
	v_mul_hi_u32 v5, s13, v3
	v_add_u32_e32 v5, v3, v5
	v_lshrrev_b32_e32 v5, s14, v5
	v_mul_lo_u32 v7, v5, s12
	v_mul_hi_u32 v9, s22, v5
	v_sub_u32_e32 v3, v3, v7
	v_add_u32_e32 v7, v5, v9
	v_mul_lo_u32 v9, v3, s16
	v_mul_lo_u32 v11, v3, s17
	;; [unrolled: 1-line block ×3, first 2 shown]
	v_lshrrev_b32_e32 v3, s23, v7
	v_mul_lo_u32 v7, v3, s15
	v_sub_u32_e32 v5, v5, v7
	s_addc_u32 s3, s21, 0
	s_add_i32 s7, s7, -2
	v_mul_lo_u32 v7, v5, s19
	v_mul_lo_u32 v14, v5, s24
	;; [unrolled: 1-line block ×3, first 2 shown]
	s_cmp_lg_u32 s7, 0
	v_add3_u32 v6, v9, v6, v7
	v_add3_u32 v8, v13, v8, v5
	;; [unrolled: 1-line block ×3, first 2 shown]
	s_cbranch_scc1 .LBB116_66
; %bb.67:
	s_bitcmp1_b32 s6, 0
	s_cselect_b64 s[6:7], -1, 0
	s_and_b64 vcc, exec, s[6:7]
	s_cbranch_vccnz .LBB116_70
; %bb.68:
	s_load_dwordx2 s[6:7], s[2:3], 0x18
	s_load_dword s14, s[2:3], 0x20
	s_load_dword s15, s[2:3], 0xe0
	s_load_dwordx2 s[12:13], s[2:3], 0xd8
	s_waitcnt lgkmcnt(0)
	v_mul_hi_u32 v5, s7, v3
	v_add_u32_e32 v5, v3, v5
	v_lshrrev_b32_e32 v5, s14, v5
	v_mul_lo_u32 v5, v5, s6
	v_sub_u32_e32 v3, v3, v5
	v_mad_u64_u32 v[6:7], s[2:3], v3, s12, v[6:7]
	v_mad_u64_u32 v[10:11], s[2:3], v3, s13, v[10:11]
	;; [unrolled: 1-line block ×3, first 2 shown]
	s_cbranch_execz .LBB116_71
	s_branch .LBB116_73
.LBB116_69:
                                        ; implicit-def: $vgpr8
                                        ; implicit-def: $vgpr10
                                        ; implicit-def: $vgpr6
	s_branch .LBB116_71
.LBB116_70:
	s_cbranch_execnz .LBB116_73
.LBB116_71:
	s_load_dwordx4 s[12:15], s[4:5], 0x4
	s_load_dwordx4 s[16:19], s[4:5], 0xc4
	s_cmp_lt_u32 s33, 2
	s_waitcnt lgkmcnt(0)
	v_mul_hi_u32 v3, s13, v1
	v_add_u32_e32 v3, v1, v3
	v_lshrrev_b32_e32 v3, s14, v3
	v_mul_lo_u32 v5, v3, s12
	v_sub_u32_e32 v1, v1, v5
	v_mul_lo_u32 v6, v1, s16
	v_mul_lo_u32 v8, v1, s18
	;; [unrolled: 1-line block ×3, first 2 shown]
	s_cbranch_scc1 .LBB116_73
; %bb.72:
	s_load_dwordx4 s[12:15], s[4:5], 0x10
	s_load_dwordx4 s[16:19], s[4:5], 0xd0
	s_waitcnt lgkmcnt(0)
	v_mul_hi_u32 v1, s13, v3
	v_add_u32_e32 v1, v3, v1
	v_lshrrev_b32_e32 v1, s14, v1
	v_mul_lo_u32 v1, v1, s12
	v_sub_u32_e32 v1, v3, v1
	v_mad_u64_u32 v[6:7], s[2:3], v1, s16, v[6:7]
	v_mad_u64_u32 v[10:11], s[2:3], v1, s17, v[10:11]
	;; [unrolled: 1-line block ×3, first 2 shown]
.LBB116_73:
	s_and_b64 vcc, exec, s[0:1]
	v_add_u32_e32 v1, 0x100, v12
	s_cbranch_vccnz .LBB116_79
; %bb.74:
	s_cmp_lg_u32 s33, 0
	v_mov_b32_e32 v14, 0
	v_mov_b32_e32 v16, 0
	;; [unrolled: 1-line block ×3, first 2 shown]
	s_cbranch_scc0 .LBB116_80
; %bb.75:
	s_min_u32 s6, s34, 15
	s_add_i32 s2, s6, 1
	s_and_b32 s7, s2, 30
	s_add_u32 s2, s4, 0xffffffec
	s_addc_u32 s3, s5, -1
	v_mov_b32_e32 v12, 0
	v_mov_b32_e32 v3, v1
	;; [unrolled: 1-line block ×4, first 2 shown]
.LBB116_76:                             ; =>This Inner Loop Header: Depth=1
	s_mov_b64 s[20:21], s[2:3]
	s_load_dwordx4 s[12:15], s[20:21], 0x18
	s_load_dwordx2 s[22:23], s[20:21], 0x28
	s_load_dwordx2 s[24:25], s[20:21], 0xe8
	s_load_dwordx4 s[16:19], s[20:21], 0xd8
	s_add_u32 s2, s20, 24
	s_waitcnt lgkmcnt(0)
	v_mul_hi_u32 v5, s13, v3
	v_add_u32_e32 v5, v3, v5
	v_lshrrev_b32_e32 v5, s14, v5
	v_mul_lo_u32 v7, v5, s12
	v_mul_hi_u32 v9, s22, v5
	v_sub_u32_e32 v3, v3, v7
	v_add_u32_e32 v7, v5, v9
	v_mul_lo_u32 v9, v3, s16
	v_mul_lo_u32 v11, v3, s17
	;; [unrolled: 1-line block ×3, first 2 shown]
	v_lshrrev_b32_e32 v3, s23, v7
	v_mul_lo_u32 v7, v3, s15
	v_sub_u32_e32 v5, v5, v7
	s_addc_u32 s3, s21, 0
	s_add_i32 s7, s7, -2
	v_mul_lo_u32 v7, v5, s19
	v_mul_lo_u32 v15, v5, s24
	;; [unrolled: 1-line block ×3, first 2 shown]
	s_cmp_lg_u32 s7, 0
	v_add3_u32 v12, v9, v12, v7
	v_add3_u32 v14, v13, v14, v5
	;; [unrolled: 1-line block ×3, first 2 shown]
	s_cbranch_scc1 .LBB116_76
; %bb.77:
	s_bitcmp1_b32 s6, 0
	s_cselect_b64 s[6:7], -1, 0
	s_and_b64 vcc, exec, s[6:7]
	s_cbranch_vccnz .LBB116_80
; %bb.78:
	s_load_dwordx2 s[6:7], s[2:3], 0x18
	s_load_dword s14, s[2:3], 0x20
	s_load_dword s15, s[2:3], 0xe0
	s_load_dwordx2 s[12:13], s[2:3], 0xd8
	s_waitcnt lgkmcnt(0)
	v_mul_hi_u32 v5, s7, v3
	v_add_u32_e32 v5, v3, v5
	v_lshrrev_b32_e32 v5, s14, v5
	v_mul_lo_u32 v5, v5, s6
	v_sub_u32_e32 v3, v3, v5
	v_mad_u64_u32 v[12:13], s[2:3], v3, s12, v[12:13]
	v_mad_u64_u32 v[16:17], s[2:3], v3, s13, v[16:17]
	;; [unrolled: 1-line block ×3, first 2 shown]
	s_cbranch_execz .LBB116_81
	s_branch .LBB116_83
.LBB116_79:
                                        ; implicit-def: $vgpr14
                                        ; implicit-def: $vgpr16
                                        ; implicit-def: $vgpr12
	s_branch .LBB116_81
.LBB116_80:
	s_cbranch_execnz .LBB116_83
.LBB116_81:
	s_load_dwordx4 s[12:15], s[4:5], 0x4
	s_load_dwordx4 s[16:19], s[4:5], 0xc4
	s_cmp_lt_u32 s33, 2
	s_waitcnt lgkmcnt(0)
	v_mul_hi_u32 v3, s13, v1
	v_add_u32_e32 v3, v1, v3
	v_lshrrev_b32_e32 v3, s14, v3
	v_mul_lo_u32 v5, v3, s12
	v_sub_u32_e32 v1, v1, v5
	v_mul_lo_u32 v12, v1, s16
	v_mul_lo_u32 v14, v1, s18
	;; [unrolled: 1-line block ×3, first 2 shown]
	s_cbranch_scc1 .LBB116_83
; %bb.82:
	s_load_dwordx4 s[12:15], s[4:5], 0x10
	s_load_dwordx4 s[16:19], s[4:5], 0xd0
	s_waitcnt lgkmcnt(0)
	v_mul_hi_u32 v1, s13, v3
	v_add_u32_e32 v1, v3, v1
	v_lshrrev_b32_e32 v1, s14, v1
	v_mul_lo_u32 v1, v1, s12
	v_sub_u32_e32 v1, v3, v1
	v_mad_u64_u32 v[12:13], s[2:3], v1, s16, v[12:13]
	v_mad_u64_u32 v[16:17], s[2:3], v1, s17, v[16:17]
	;; [unrolled: 1-line block ×3, first 2 shown]
.LBB116_83:
	s_and_b64 vcc, exec, s[0:1]
	s_cbranch_vccnz .LBB116_89
; %bb.84:
	s_cmp_lg_u32 s33, 0
	v_mov_b32_e32 v20, 0
	v_mov_b32_e32 v22, 0
	;; [unrolled: 1-line block ×3, first 2 shown]
	s_cbranch_scc0 .LBB116_90
; %bb.85:
	s_min_u32 s2, s34, 15
	s_add_i32 s0, s2, 1
	s_and_b32 s3, s0, 30
	s_add_u32 s0, s4, 0xffffffec
	s_addc_u32 s1, s5, -1
	v_mov_b32_e32 v18, 0
	v_mov_b32_e32 v1, v24
	;; [unrolled: 1-line block ×4, first 2 shown]
.LBB116_86:                             ; =>This Inner Loop Header: Depth=1
	s_mov_b64 s[6:7], s[0:1]
	s_load_dwordx4 s[12:15], s[6:7], 0x18
	s_load_dwordx2 s[20:21], s[6:7], 0x28
	s_load_dwordx2 s[22:23], s[6:7], 0xe8
	s_load_dwordx4 s[16:19], s[6:7], 0xd8
	s_add_u32 s0, s6, 24
	s_waitcnt lgkmcnt(0)
	v_mul_hi_u32 v3, s13, v1
	v_add_u32_e32 v3, v1, v3
	v_lshrrev_b32_e32 v3, s14, v3
	v_mul_lo_u32 v5, v3, s12
	v_mul_hi_u32 v7, s20, v3
	v_sub_u32_e32 v1, v1, v5
	v_add_u32_e32 v5, v3, v7
	v_mul_lo_u32 v7, v1, s16
	v_mul_lo_u32 v9, v1, s17
	;; [unrolled: 1-line block ×3, first 2 shown]
	v_lshrrev_b32_e32 v1, s21, v5
	v_mul_lo_u32 v5, v1, s15
	v_sub_u32_e32 v3, v3, v5
	s_addc_u32 s1, s7, 0
	s_add_i32 s3, s3, -2
	v_mul_lo_u32 v5, v3, s19
	v_mul_lo_u32 v13, v3, s22
	;; [unrolled: 1-line block ×3, first 2 shown]
	s_cmp_lg_u32 s3, 0
	v_add3_u32 v18, v7, v18, v5
	v_add3_u32 v20, v11, v20, v3
	;; [unrolled: 1-line block ×3, first 2 shown]
	s_cbranch_scc1 .LBB116_86
; %bb.87:
	s_bitcmp1_b32 s2, 0
	s_cselect_b64 s[2:3], -1, 0
	s_and_b64 vcc, exec, s[2:3]
	s_cbranch_vccnz .LBB116_90
; %bb.88:
	s_load_dwordx2 s[2:3], s[0:1], 0x18
	s_load_dword s12, s[0:1], 0x20
	s_load_dword s13, s[0:1], 0xe0
	s_load_dwordx2 s[6:7], s[0:1], 0xd8
	s_waitcnt lgkmcnt(0)
	v_mul_hi_u32 v3, s3, v1
	v_add_u32_e32 v3, v1, v3
	v_lshrrev_b32_e32 v3, s12, v3
	v_mul_lo_u32 v3, v3, s2
	v_sub_u32_e32 v1, v1, v3
	v_mad_u64_u32 v[18:19], s[0:1], v1, s6, v[18:19]
	v_mad_u64_u32 v[22:23], s[0:1], v1, s7, v[22:23]
	;; [unrolled: 1-line block ×3, first 2 shown]
	s_cbranch_execz .LBB116_91
	s_branch .LBB116_93
.LBB116_89:
                                        ; implicit-def: $vgpr20
                                        ; implicit-def: $vgpr22
                                        ; implicit-def: $vgpr18
	s_branch .LBB116_91
.LBB116_90:
	s_cbranch_execnz .LBB116_93
.LBB116_91:
	s_load_dwordx4 s[0:3], s[4:5], 0x4
	s_load_dwordx4 s[12:15], s[4:5], 0xc4
	s_cmp_lt_u32 s33, 2
	s_waitcnt lgkmcnt(0)
	v_mul_hi_u32 v1, s1, v24
	v_add_u32_e32 v1, v24, v1
	v_lshrrev_b32_e32 v1, s2, v1
	v_mul_lo_u32 v3, v1, s0
	v_sub_u32_e32 v3, v24, v3
	v_mul_lo_u32 v18, v3, s12
	v_mul_lo_u32 v20, v3, s14
	;; [unrolled: 1-line block ×3, first 2 shown]
	s_cbranch_scc1 .LBB116_93
; %bb.92:
	s_load_dwordx4 s[0:3], s[4:5], 0x10
	s_load_dwordx4 s[12:15], s[4:5], 0xd0
	s_waitcnt lgkmcnt(0)
	v_mul_hi_u32 v3, s1, v1
	v_add_u32_e32 v3, v1, v3
	v_lshrrev_b32_e32 v3, s2, v3
	v_mul_lo_u32 v3, v3, s0
	v_sub_u32_e32 v1, v1, v3
	v_mad_u64_u32 v[18:19], s[0:1], v1, s12, v[18:19]
	v_mad_u64_u32 v[22:23], s[0:1], v1, s13, v[22:23]
	v_mad_u64_u32 v[20:21], s[0:1], v1, s14, v[20:21]
.LBB116_93:
	s_load_dwordx4 s[0:3], s[4:5], 0x188
	s_load_dwordx2 s[6:7], s[4:5], 0x198
	s_or_b64 s[8:9], s[8:9], exec
	s_waitcnt lgkmcnt(0)
	global_load_ushort v1, v4, s[2:3]
	global_load_ushort v5, v10, s[2:3]
	;; [unrolled: 1-line block ×4, first 2 shown]
	global_load_dword v11, v2, s[6:7]
	global_load_dword v13, v8, s[6:7]
	;; [unrolled: 1-line block ×4, first 2 shown]
	s_brev_b32 s2, -2
	s_movk_i32 s3, 0x7fff
	v_mov_b32_e32 v3, s1
	v_add_co_u32_e32 v2, vcc, s0, v18
	v_addc_co_u32_e32 v3, vcc, 0, v3, vcc
	v_mov_b32_e32 v4, 0x7fc0
	s_waitcnt vmcnt(7)
	v_lshlrev_b32_e32 v1, 16, v1
	s_waitcnt vmcnt(6)
	v_lshlrev_b32_e32 v5, 16, v5
	;; [unrolled: 2-line block ×4, first 2 shown]
	s_waitcnt vmcnt(3)
	v_bfi_b32 v9, s2, v1, v11
	s_waitcnt vmcnt(2)
	v_bfi_b32 v5, s2, v5, v13
	;; [unrolled: 2-line block ×4, first 2 shown]
	v_bfe_u32 v8, v9, 16, 1
	v_bfe_u32 v10, v5, 16, 1
	v_add3_u32 v8, v9, v8, s3
	v_bfe_u32 v11, v7, 16, 1
	v_add3_u32 v10, v5, v10, s3
	v_lshrrev_b32_e32 v8, 16, v8
	v_cmp_o_f32_e32 vcc, v9, v9
	v_add3_u32 v11, v7, v11, s3
	v_lshrrev_b32_e32 v10, 16, v10
	v_cndmask_b32_e32 v8, v4, v8, vcc
	v_cmp_o_f32_e32 vcc, v5, v5
	v_lshrrev_b32_e32 v11, 16, v11
	v_cndmask_b32_e32 v5, v4, v10, vcc
	v_cmp_o_f32_e32 vcc, v7, v7
	v_cndmask_b32_e32 v4, v4, v11, vcc
	global_store_short v0, v8, s[0:1]
	global_store_short v6, v5, s[0:1]
	;; [unrolled: 1-line block ×3, first 2 shown]
	s_or_b64 exec, exec, s[10:11]
	s_and_saveexec_b64 s[0:1], s[8:9]
	s_cbranch_execz .LBB116_3
.LBB116_94:
	v_bfe_u32 v0, v1, 16, 1
	s_movk_i32 s0, 0x7fff
	v_add3_u32 v0, v1, v0, s0
	v_lshrrev_b32_e32 v0, 16, v0
	v_mov_b32_e32 v4, 0x7fc0
	v_cmp_o_f32_e32 vcc, v1, v1
	v_cndmask_b32_e32 v0, v4, v0, vcc
	global_store_short v[2:3], v0, off
	s_endpgm
	.section	.rodata,"a",@progbits
	.p2align	6, 0x0
	.amdhsa_kernel _ZN2at6native32elementwise_kernel_manual_unrollILi128ELi4EZNS0_12_GLOBAL__N_142type_specialized_broadcast_kernel_launcherILi2EE5applyINS0_13BinaryFunctorIfffZZZNS0_20copysign_kernel_cudaERNS_18TensorIteratorBaseEENKUlvE_clEvENKUlvE0_clEvEUlffE_EESt5arrayIPcLm3EESD_IN3c1010ScalarTypeELm3EE16OffsetCalculatorILi3EjLb0EEEEvlT_T0_T1_T2_EUlibE_EEviSN_
		.amdhsa_group_segment_fixed_size 0
		.amdhsa_private_segment_fixed_size 0
		.amdhsa_kernarg_size 432
		.amdhsa_user_sgpr_count 6
		.amdhsa_user_sgpr_private_segment_buffer 1
		.amdhsa_user_sgpr_dispatch_ptr 0
		.amdhsa_user_sgpr_queue_ptr 0
		.amdhsa_user_sgpr_kernarg_segment_ptr 1
		.amdhsa_user_sgpr_dispatch_id 0
		.amdhsa_user_sgpr_flat_scratch_init 0
		.amdhsa_user_sgpr_kernarg_preload_length 0
		.amdhsa_user_sgpr_kernarg_preload_offset 0
		.amdhsa_user_sgpr_private_segment_size 0
		.amdhsa_uses_dynamic_stack 0
		.amdhsa_system_sgpr_private_segment_wavefront_offset 0
		.amdhsa_system_sgpr_workgroup_id_x 1
		.amdhsa_system_sgpr_workgroup_id_y 0
		.amdhsa_system_sgpr_workgroup_id_z 0
		.amdhsa_system_sgpr_workgroup_info 0
		.amdhsa_system_vgpr_workitem_id 0
		.amdhsa_next_free_vgpr 25
		.amdhsa_next_free_sgpr 52
		.amdhsa_accum_offset 28
		.amdhsa_reserve_vcc 1
		.amdhsa_reserve_flat_scratch 0
		.amdhsa_float_round_mode_32 0
		.amdhsa_float_round_mode_16_64 0
		.amdhsa_float_denorm_mode_32 3
		.amdhsa_float_denorm_mode_16_64 3
		.amdhsa_dx10_clamp 1
		.amdhsa_ieee_mode 1
		.amdhsa_fp16_overflow 0
		.amdhsa_tg_split 0
		.amdhsa_exception_fp_ieee_invalid_op 0
		.amdhsa_exception_fp_denorm_src 0
		.amdhsa_exception_fp_ieee_div_zero 0
		.amdhsa_exception_fp_ieee_overflow 0
		.amdhsa_exception_fp_ieee_underflow 0
		.amdhsa_exception_fp_ieee_inexact 0
		.amdhsa_exception_int_div_zero 0
	.end_amdhsa_kernel
	.section	.text._ZN2at6native32elementwise_kernel_manual_unrollILi128ELi4EZNS0_12_GLOBAL__N_142type_specialized_broadcast_kernel_launcherILi2EE5applyINS0_13BinaryFunctorIfffZZZNS0_20copysign_kernel_cudaERNS_18TensorIteratorBaseEENKUlvE_clEvENKUlvE0_clEvEUlffE_EESt5arrayIPcLm3EESD_IN3c1010ScalarTypeELm3EE16OffsetCalculatorILi3EjLb0EEEEvlT_T0_T1_T2_EUlibE_EEviSN_,"axG",@progbits,_ZN2at6native32elementwise_kernel_manual_unrollILi128ELi4EZNS0_12_GLOBAL__N_142type_specialized_broadcast_kernel_launcherILi2EE5applyINS0_13BinaryFunctorIfffZZZNS0_20copysign_kernel_cudaERNS_18TensorIteratorBaseEENKUlvE_clEvENKUlvE0_clEvEUlffE_EESt5arrayIPcLm3EESD_IN3c1010ScalarTypeELm3EE16OffsetCalculatorILi3EjLb0EEEEvlT_T0_T1_T2_EUlibE_EEviSN_,comdat
.Lfunc_end116:
	.size	_ZN2at6native32elementwise_kernel_manual_unrollILi128ELi4EZNS0_12_GLOBAL__N_142type_specialized_broadcast_kernel_launcherILi2EE5applyINS0_13BinaryFunctorIfffZZZNS0_20copysign_kernel_cudaERNS_18TensorIteratorBaseEENKUlvE_clEvENKUlvE0_clEvEUlffE_EESt5arrayIPcLm3EESD_IN3c1010ScalarTypeELm3EE16OffsetCalculatorILi3EjLb0EEEEvlT_T0_T1_T2_EUlibE_EEviSN_, .Lfunc_end116-_ZN2at6native32elementwise_kernel_manual_unrollILi128ELi4EZNS0_12_GLOBAL__N_142type_specialized_broadcast_kernel_launcherILi2EE5applyINS0_13BinaryFunctorIfffZZZNS0_20copysign_kernel_cudaERNS_18TensorIteratorBaseEENKUlvE_clEvENKUlvE0_clEvEUlffE_EESt5arrayIPcLm3EESD_IN3c1010ScalarTypeELm3EE16OffsetCalculatorILi3EjLb0EEEEvlT_T0_T1_T2_EUlibE_EEviSN_
                                        ; -- End function
	.section	.AMDGPU.csdata,"",@progbits
; Kernel info:
; codeLenInByte = 5076
; NumSgprs: 56
; NumVgprs: 25
; NumAgprs: 0
; TotalNumVgprs: 25
; ScratchSize: 0
; MemoryBound: 0
; FloatMode: 240
; IeeeMode: 1
; LDSByteSize: 0 bytes/workgroup (compile time only)
; SGPRBlocks: 6
; VGPRBlocks: 3
; NumSGPRsForWavesPerEU: 56
; NumVGPRsForWavesPerEU: 25
; AccumOffset: 28
; Occupancy: 8
; WaveLimiterHint : 1
; COMPUTE_PGM_RSRC2:SCRATCH_EN: 0
; COMPUTE_PGM_RSRC2:USER_SGPR: 6
; COMPUTE_PGM_RSRC2:TRAP_HANDLER: 0
; COMPUTE_PGM_RSRC2:TGID_X_EN: 1
; COMPUTE_PGM_RSRC2:TGID_Y_EN: 0
; COMPUTE_PGM_RSRC2:TGID_Z_EN: 0
; COMPUTE_PGM_RSRC2:TIDIG_COMP_CNT: 0
; COMPUTE_PGM_RSRC3_GFX90A:ACCUM_OFFSET: 6
; COMPUTE_PGM_RSRC3_GFX90A:TG_SPLIT: 0
	.section	.text._ZN2at6native32elementwise_kernel_manual_unrollILi128ELi4EZNS0_12_GLOBAL__N_142type_specialized_broadcast_kernel_launcherILi3EE5applyINS0_13BinaryFunctorIfffZZZNS0_20copysign_kernel_cudaERNS_18TensorIteratorBaseEENKUlvE_clEvENKUlvE0_clEvEUlffE_EESt5arrayIPcLm3EESD_IN3c1010ScalarTypeELm3EE16OffsetCalculatorILi3EjLb0EEEEvlT_T0_T1_T2_EUlibE_EEviSN_,"axG",@progbits,_ZN2at6native32elementwise_kernel_manual_unrollILi128ELi4EZNS0_12_GLOBAL__N_142type_specialized_broadcast_kernel_launcherILi3EE5applyINS0_13BinaryFunctorIfffZZZNS0_20copysign_kernel_cudaERNS_18TensorIteratorBaseEENKUlvE_clEvENKUlvE0_clEvEUlffE_EESt5arrayIPcLm3EESD_IN3c1010ScalarTypeELm3EE16OffsetCalculatorILi3EjLb0EEEEvlT_T0_T1_T2_EUlibE_EEviSN_,comdat
	.globl	_ZN2at6native32elementwise_kernel_manual_unrollILi128ELi4EZNS0_12_GLOBAL__N_142type_specialized_broadcast_kernel_launcherILi3EE5applyINS0_13BinaryFunctorIfffZZZNS0_20copysign_kernel_cudaERNS_18TensorIteratorBaseEENKUlvE_clEvENKUlvE0_clEvEUlffE_EESt5arrayIPcLm3EESD_IN3c1010ScalarTypeELm3EE16OffsetCalculatorILi3EjLb0EEEEvlT_T0_T1_T2_EUlibE_EEviSN_ ; -- Begin function _ZN2at6native32elementwise_kernel_manual_unrollILi128ELi4EZNS0_12_GLOBAL__N_142type_specialized_broadcast_kernel_launcherILi3EE5applyINS0_13BinaryFunctorIfffZZZNS0_20copysign_kernel_cudaERNS_18TensorIteratorBaseEENKUlvE_clEvENKUlvE0_clEvEUlffE_EESt5arrayIPcLm3EESD_IN3c1010ScalarTypeELm3EE16OffsetCalculatorILi3EjLb0EEEEvlT_T0_T1_T2_EUlibE_EEviSN_
	.p2align	8
	.type	_ZN2at6native32elementwise_kernel_manual_unrollILi128ELi4EZNS0_12_GLOBAL__N_142type_specialized_broadcast_kernel_launcherILi3EE5applyINS0_13BinaryFunctorIfffZZZNS0_20copysign_kernel_cudaERNS_18TensorIteratorBaseEENKUlvE_clEvENKUlvE0_clEvEUlffE_EESt5arrayIPcLm3EESD_IN3c1010ScalarTypeELm3EE16OffsetCalculatorILi3EjLb0EEEEvlT_T0_T1_T2_EUlibE_EEviSN_,@function
_ZN2at6native32elementwise_kernel_manual_unrollILi128ELi4EZNS0_12_GLOBAL__N_142type_specialized_broadcast_kernel_launcherILi3EE5applyINS0_13BinaryFunctorIfffZZZNS0_20copysign_kernel_cudaERNS_18TensorIteratorBaseEENKUlvE_clEvENKUlvE0_clEvEUlffE_EESt5arrayIPcLm3EESD_IN3c1010ScalarTypeELm3EE16OffsetCalculatorILi3EjLb0EEEEvlT_T0_T1_T2_EUlibE_EEviSN_: ; @_ZN2at6native32elementwise_kernel_manual_unrollILi128ELi4EZNS0_12_GLOBAL__N_142type_specialized_broadcast_kernel_launcherILi3EE5applyINS0_13BinaryFunctorIfffZZZNS0_20copysign_kernel_cudaERNS_18TensorIteratorBaseEENKUlvE_clEvENKUlvE0_clEvEUlffE_EESt5arrayIPcLm3EESD_IN3c1010ScalarTypeELm3EE16OffsetCalculatorILi3EjLb0EEEEvlT_T0_T1_T2_EUlibE_EEviSN_
; %bb.0:
	s_load_dword s36, s[4:5], 0x0
	s_load_dword s33, s[4:5], 0x8
	s_or_b32 s4, s4, 8
	v_lshl_or_b32 v12, s6, 9, v0
	v_or_b32_e32 v24, 0x180, v12
	s_waitcnt lgkmcnt(0)
	v_cmp_le_i32_e32 vcc, s36, v24
	s_add_i32 s34, s33, -1
	s_cmp_gt_u32 s34, 1
	s_cselect_b64 s[6:7], -1, 0
	s_and_saveexec_b64 s[0:1], vcc
	s_xor_b64 s[16:17], exec, s[0:1]
	s_cbranch_execz .LBB117_50
; %bb.1:
	s_load_dwordx4 s[12:15], s[4:5], 0x4
	s_load_dwordx2 s[22:23], s[4:5], 0x14
	s_load_dwordx4 s[8:11], s[4:5], 0xc4
	s_load_dwordx2 s[20:21], s[4:5], 0xd4
	s_load_dwordx2 s[18:19], s[4:5], 0x198
	s_load_dwordx4 s[0:3], s[4:5], 0x188
	s_cmp_lg_u32 s33, 0
	s_cselect_b64 s[26:27], -1, 0
	s_min_u32 s35, s34, 15
	s_cmp_gt_u32 s33, 1
	s_cselect_b64 s[24:25], -1, 0
	v_cmp_gt_i32_e32 vcc, s36, v12
	s_and_saveexec_b64 s[28:29], vcc
	s_cbranch_execnz .LBB117_5
; %bb.2:
	s_or_b64 exec, exec, s[28:29]
	v_cmp_gt_i32_e32 vcc, s36, v12
	s_and_saveexec_b64 s[28:29], vcc
	s_cbranch_execnz .LBB117_16
.LBB117_3:
	s_or_b64 exec, exec, s[28:29]
	v_cmp_gt_i32_e32 vcc, s36, v12
	s_and_saveexec_b64 s[28:29], vcc
	s_cbranch_execnz .LBB117_27
.LBB117_4:
	s_or_b64 exec, exec, s[28:29]
	v_cmp_gt_i32_e32 vcc, s36, v12
	s_and_saveexec_b64 s[28:29], vcc
	s_cbranch_execnz .LBB117_38
	s_branch .LBB117_49
.LBB117_5:
	s_andn2_b64 vcc, exec, s[6:7]
	s_cbranch_vccnz .LBB117_12
; %bb.6:
	s_andn2_b64 vcc, exec, s[26:27]
	v_mov_b32_e32 v2, 0
	v_mov_b32_e32 v4, 0
	;; [unrolled: 1-line block ×3, first 2 shown]
	s_cbranch_vccnz .LBB117_11
; %bb.7:
	s_add_i32 s30, s35, 1
	s_and_b32 s37, s30, 30
	s_add_u32 s30, s4, 0xffffffec
	s_addc_u32 s31, s5, -1
	v_mov_b32_e32 v0, 0
	v_mov_b32_e32 v1, v12
	;; [unrolled: 1-line block ×4, first 2 shown]
.LBB117_8:                              ; =>This Inner Loop Header: Depth=1
	s_mov_b64 s[38:39], s[30:31]
	s_load_dwordx4 s[40:43], s[38:39], 0x18
	s_load_dwordx2 s[48:49], s[38:39], 0x28
	s_load_dwordx2 s[50:51], s[38:39], 0xe8
	s_load_dwordx4 s[44:47], s[38:39], 0xd8
	s_add_u32 s30, s38, 24
	s_waitcnt lgkmcnt(0)
	v_mul_hi_u32 v3, s41, v1
	v_add_u32_e32 v3, v1, v3
	v_lshrrev_b32_e32 v3, s42, v3
	v_mul_lo_u32 v5, v3, s40
	v_mul_hi_u32 v6, s48, v3
	v_sub_u32_e32 v1, v1, v5
	v_add_u32_e32 v5, v3, v6
	v_mul_lo_u32 v6, v1, s44
	v_mul_lo_u32 v7, v1, s45
	;; [unrolled: 1-line block ×3, first 2 shown]
	v_lshrrev_b32_e32 v1, s49, v5
	v_mul_lo_u32 v5, v1, s43
	v_sub_u32_e32 v3, v3, v5
	s_addc_u32 s31, s39, 0
	s_add_i32 s37, s37, -2
	v_mul_lo_u32 v5, v3, s47
	v_mul_lo_u32 v9, v3, s50
	;; [unrolled: 1-line block ×3, first 2 shown]
	s_cmp_lg_u32 s37, 0
	v_add3_u32 v0, v6, v0, v5
	v_add3_u32 v2, v8, v2, v3
	;; [unrolled: 1-line block ×3, first 2 shown]
	s_cbranch_scc1 .LBB117_8
; %bb.9:
	s_bitcmp1_b32 s35, 0
	s_cselect_b64 s[38:39], -1, 0
	s_and_b64 vcc, exec, s[38:39]
	s_cbranch_vccnz .LBB117_11
; %bb.10:
	s_load_dwordx2 s[38:39], s[30:31], 0x18
	s_load_dword s37, s[30:31], 0x20
	s_load_dword s42, s[30:31], 0xe0
	s_load_dwordx2 s[40:41], s[30:31], 0xd8
	s_waitcnt lgkmcnt(0)
	v_mul_hi_u32 v3, s39, v1
	v_add_u32_e32 v3, v1, v3
	v_lshrrev_b32_e32 v3, s37, v3
	v_mul_lo_u32 v3, v3, s38
	v_sub_u32_e32 v3, v1, v3
	v_mad_u64_u32 v[0:1], s[30:31], v3, s40, v[0:1]
	v_mad_u64_u32 v[4:5], s[30:31], v3, s41, v[4:5]
	;; [unrolled: 1-line block ×3, first 2 shown]
.LBB117_11:
	s_cbranch_execz .LBB117_13
	s_branch .LBB117_15
.LBB117_12:
                                        ; implicit-def: $vgpr2
                                        ; implicit-def: $vgpr4
                                        ; implicit-def: $vgpr0
.LBB117_13:
	s_waitcnt lgkmcnt(0)
	v_mul_hi_u32 v0, s13, v12
	v_add_u32_e32 v0, v12, v0
	v_lshrrev_b32_e32 v1, s14, v0
	v_mul_lo_u32 v0, v1, s12
	v_sub_u32_e32 v3, v12, v0
	v_mul_lo_u32 v0, v3, s8
	v_mul_lo_u32 v2, v3, s10
	s_andn2_b64 vcc, exec, s[24:25]
	v_mul_lo_u32 v4, v3, s9
	s_cbranch_vccnz .LBB117_15
; %bb.14:
	v_mul_hi_u32 v3, s22, v1
	v_add_u32_e32 v3, v1, v3
	v_lshrrev_b32_e32 v3, s23, v3
	v_mul_lo_u32 v3, v3, s15
	v_sub_u32_e32 v3, v1, v3
	v_mad_u64_u32 v[0:1], s[30:31], v3, s11, v[0:1]
	v_mad_u64_u32 v[4:5], s[30:31], v3, s20, v[4:5]
	;; [unrolled: 1-line block ×3, first 2 shown]
.LBB117_15:
	s_waitcnt lgkmcnt(0)
	global_load_ushort v1, v2, s[18:19]
	global_load_dword v3, v4, s[2:3]
	s_brev_b32 s30, -2
	v_add_u32_e32 v12, 0x80, v12
	s_waitcnt vmcnt(1)
	v_lshlrev_b32_e32 v1, 16, v1
	s_waitcnt vmcnt(0)
	v_bfi_b32 v1, s30, v3, v1
	global_store_dword v0, v1, s[0:1]
	s_or_b64 exec, exec, s[28:29]
	v_cmp_gt_i32_e32 vcc, s36, v12
	s_and_saveexec_b64 s[28:29], vcc
	s_cbranch_execz .LBB117_3
.LBB117_16:
	s_andn2_b64 vcc, exec, s[6:7]
	s_cbranch_vccnz .LBB117_23
; %bb.17:
	s_andn2_b64 vcc, exec, s[26:27]
	v_mov_b32_e32 v2, 0
	v_mov_b32_e32 v4, 0
	;; [unrolled: 1-line block ×3, first 2 shown]
	s_cbranch_vccnz .LBB117_22
; %bb.18:
	s_add_i32 s30, s35, 1
	s_and_b32 s37, s30, 30
	s_add_u32 s30, s4, 0xffffffec
	s_addc_u32 s31, s5, -1
	v_mov_b32_e32 v0, 0
	v_mov_b32_e32 v1, v12
	;; [unrolled: 1-line block ×4, first 2 shown]
.LBB117_19:                             ; =>This Inner Loop Header: Depth=1
	s_mov_b64 s[38:39], s[30:31]
	s_load_dwordx4 s[40:43], s[38:39], 0x18
	s_load_dwordx2 s[48:49], s[38:39], 0x28
	s_load_dwordx2 s[50:51], s[38:39], 0xe8
	s_load_dwordx4 s[44:47], s[38:39], 0xd8
	s_add_u32 s30, s38, 24
	s_waitcnt lgkmcnt(0)
	v_mul_hi_u32 v3, s41, v1
	v_add_u32_e32 v3, v1, v3
	v_lshrrev_b32_e32 v3, s42, v3
	v_mul_lo_u32 v5, v3, s40
	v_mul_hi_u32 v6, s48, v3
	v_sub_u32_e32 v1, v1, v5
	v_add_u32_e32 v5, v3, v6
	v_mul_lo_u32 v6, v1, s44
	v_mul_lo_u32 v7, v1, s45
	;; [unrolled: 1-line block ×3, first 2 shown]
	v_lshrrev_b32_e32 v1, s49, v5
	v_mul_lo_u32 v5, v1, s43
	v_sub_u32_e32 v3, v3, v5
	s_addc_u32 s31, s39, 0
	s_add_i32 s37, s37, -2
	v_mul_lo_u32 v5, v3, s47
	v_mul_lo_u32 v9, v3, s50
	;; [unrolled: 1-line block ×3, first 2 shown]
	s_cmp_eq_u32 s37, 0
	v_add3_u32 v0, v6, v0, v5
	v_add3_u32 v2, v8, v2, v3
	;; [unrolled: 1-line block ×3, first 2 shown]
	s_cbranch_scc0 .LBB117_19
; %bb.20:
	s_bitcmp1_b32 s35, 0
	s_cselect_b64 s[38:39], -1, 0
	s_and_b64 vcc, exec, s[38:39]
	s_cbranch_vccnz .LBB117_22
; %bb.21:
	s_load_dwordx2 s[38:39], s[30:31], 0x18
	s_load_dword s37, s[30:31], 0x20
	s_load_dword s42, s[30:31], 0xe0
	s_load_dwordx2 s[40:41], s[30:31], 0xd8
	s_waitcnt lgkmcnt(0)
	v_mul_hi_u32 v3, s39, v1
	v_add_u32_e32 v3, v1, v3
	v_lshrrev_b32_e32 v3, s37, v3
	v_mul_lo_u32 v3, v3, s38
	v_sub_u32_e32 v3, v1, v3
	v_mad_u64_u32 v[0:1], s[30:31], v3, s40, v[0:1]
	v_mad_u64_u32 v[4:5], s[30:31], v3, s41, v[4:5]
	;; [unrolled: 1-line block ×3, first 2 shown]
.LBB117_22:
	s_cbranch_execz .LBB117_24
	s_branch .LBB117_26
.LBB117_23:
                                        ; implicit-def: $vgpr2
                                        ; implicit-def: $vgpr4
                                        ; implicit-def: $vgpr0
.LBB117_24:
	s_waitcnt lgkmcnt(0)
	v_mul_hi_u32 v0, s13, v12
	v_add_u32_e32 v0, v12, v0
	v_lshrrev_b32_e32 v1, s14, v0
	v_mul_lo_u32 v0, v1, s12
	v_sub_u32_e32 v3, v12, v0
	v_mul_lo_u32 v0, v3, s8
	v_mul_lo_u32 v2, v3, s10
	s_andn2_b64 vcc, exec, s[24:25]
	v_mul_lo_u32 v4, v3, s9
	s_cbranch_vccnz .LBB117_26
; %bb.25:
	v_mul_hi_u32 v3, s22, v1
	v_add_u32_e32 v3, v1, v3
	v_lshrrev_b32_e32 v3, s23, v3
	v_mul_lo_u32 v3, v3, s15
	v_sub_u32_e32 v3, v1, v3
	v_mad_u64_u32 v[0:1], s[30:31], v3, s11, v[0:1]
	v_mad_u64_u32 v[4:5], s[30:31], v3, s20, v[4:5]
	;; [unrolled: 1-line block ×3, first 2 shown]
.LBB117_26:
	s_waitcnt lgkmcnt(0)
	global_load_ushort v1, v2, s[18:19]
	global_load_dword v3, v4, s[2:3]
	s_brev_b32 s30, -2
	v_add_u32_e32 v12, 0x80, v12
	s_waitcnt vmcnt(1)
	v_lshlrev_b32_e32 v1, 16, v1
	s_waitcnt vmcnt(0)
	v_bfi_b32 v1, s30, v3, v1
	global_store_dword v0, v1, s[0:1]
	s_or_b64 exec, exec, s[28:29]
	v_cmp_gt_i32_e32 vcc, s36, v12
	s_and_saveexec_b64 s[28:29], vcc
	s_cbranch_execz .LBB117_4
.LBB117_27:
	s_andn2_b64 vcc, exec, s[6:7]
	s_cbranch_vccnz .LBB117_34
; %bb.28:
	s_andn2_b64 vcc, exec, s[26:27]
	v_mov_b32_e32 v2, 0
	v_mov_b32_e32 v4, 0
	v_mov_b32_e32 v0, 0
	s_cbranch_vccnz .LBB117_33
; %bb.29:
	s_add_i32 s30, s35, 1
	s_and_b32 s37, s30, 30
	s_add_u32 s30, s4, 0xffffffec
	s_addc_u32 s31, s5, -1
	v_mov_b32_e32 v0, 0
	v_mov_b32_e32 v1, v12
	;; [unrolled: 1-line block ×4, first 2 shown]
.LBB117_30:                             ; =>This Inner Loop Header: Depth=1
	s_mov_b64 s[38:39], s[30:31]
	s_load_dwordx4 s[40:43], s[38:39], 0x18
	s_load_dwordx2 s[48:49], s[38:39], 0x28
	s_load_dwordx2 s[50:51], s[38:39], 0xe8
	s_load_dwordx4 s[44:47], s[38:39], 0xd8
	s_add_u32 s30, s38, 24
	s_waitcnt lgkmcnt(0)
	v_mul_hi_u32 v3, s41, v1
	v_add_u32_e32 v3, v1, v3
	v_lshrrev_b32_e32 v3, s42, v3
	v_mul_lo_u32 v5, v3, s40
	v_mul_hi_u32 v6, s48, v3
	v_sub_u32_e32 v1, v1, v5
	v_add_u32_e32 v5, v3, v6
	v_mul_lo_u32 v6, v1, s44
	v_mul_lo_u32 v7, v1, s45
	;; [unrolled: 1-line block ×3, first 2 shown]
	v_lshrrev_b32_e32 v1, s49, v5
	v_mul_lo_u32 v5, v1, s43
	v_sub_u32_e32 v3, v3, v5
	s_addc_u32 s31, s39, 0
	s_add_i32 s37, s37, -2
	v_mul_lo_u32 v5, v3, s47
	v_mul_lo_u32 v9, v3, s50
	;; [unrolled: 1-line block ×3, first 2 shown]
	s_cmp_eq_u32 s37, 0
	v_add3_u32 v0, v6, v0, v5
	v_add3_u32 v2, v8, v2, v3
	;; [unrolled: 1-line block ×3, first 2 shown]
	s_cbranch_scc0 .LBB117_30
; %bb.31:
	s_bitcmp1_b32 s35, 0
	s_cselect_b64 s[38:39], -1, 0
	s_and_b64 vcc, exec, s[38:39]
	s_cbranch_vccnz .LBB117_33
; %bb.32:
	s_load_dwordx2 s[38:39], s[30:31], 0x18
	s_load_dword s37, s[30:31], 0x20
	s_load_dword s42, s[30:31], 0xe0
	s_load_dwordx2 s[40:41], s[30:31], 0xd8
	s_waitcnt lgkmcnt(0)
	v_mul_hi_u32 v3, s39, v1
	v_add_u32_e32 v3, v1, v3
	v_lshrrev_b32_e32 v3, s37, v3
	v_mul_lo_u32 v3, v3, s38
	v_sub_u32_e32 v3, v1, v3
	v_mad_u64_u32 v[0:1], s[30:31], v3, s40, v[0:1]
	v_mad_u64_u32 v[4:5], s[30:31], v3, s41, v[4:5]
	;; [unrolled: 1-line block ×3, first 2 shown]
.LBB117_33:
	s_cbranch_execz .LBB117_35
	s_branch .LBB117_37
.LBB117_34:
                                        ; implicit-def: $vgpr2
                                        ; implicit-def: $vgpr4
                                        ; implicit-def: $vgpr0
.LBB117_35:
	s_waitcnt lgkmcnt(0)
	v_mul_hi_u32 v0, s13, v12
	v_add_u32_e32 v0, v12, v0
	v_lshrrev_b32_e32 v1, s14, v0
	v_mul_lo_u32 v0, v1, s12
	v_sub_u32_e32 v3, v12, v0
	v_mul_lo_u32 v0, v3, s8
	v_mul_lo_u32 v2, v3, s10
	s_andn2_b64 vcc, exec, s[24:25]
	v_mul_lo_u32 v4, v3, s9
	s_cbranch_vccnz .LBB117_37
; %bb.36:
	v_mul_hi_u32 v3, s22, v1
	v_add_u32_e32 v3, v1, v3
	v_lshrrev_b32_e32 v3, s23, v3
	v_mul_lo_u32 v3, v3, s15
	v_sub_u32_e32 v3, v1, v3
	v_mad_u64_u32 v[0:1], s[30:31], v3, s11, v[0:1]
	v_mad_u64_u32 v[4:5], s[30:31], v3, s20, v[4:5]
	v_mad_u64_u32 v[2:3], s[30:31], v3, s21, v[2:3]
.LBB117_37:
	s_waitcnt lgkmcnt(0)
	global_load_ushort v1, v2, s[18:19]
	global_load_dword v3, v4, s[2:3]
	s_brev_b32 s30, -2
	v_add_u32_e32 v12, 0x80, v12
	s_waitcnt vmcnt(1)
	v_lshlrev_b32_e32 v1, 16, v1
	s_waitcnt vmcnt(0)
	v_bfi_b32 v1, s30, v3, v1
	global_store_dword v0, v1, s[0:1]
	s_or_b64 exec, exec, s[28:29]
	v_cmp_gt_i32_e32 vcc, s36, v12
	s_and_saveexec_b64 s[28:29], vcc
	s_cbranch_execz .LBB117_49
.LBB117_38:
	s_andn2_b64 vcc, exec, s[6:7]
	s_cbranch_vccnz .LBB117_45
; %bb.39:
	s_andn2_b64 vcc, exec, s[26:27]
	v_mov_b32_e32 v2, 0
	v_mov_b32_e32 v4, 0
	v_mov_b32_e32 v0, 0
	s_cbranch_vccnz .LBB117_44
; %bb.40:
	s_add_i32 s26, s35, 1
	s_and_b32 s30, s26, 30
	s_add_u32 s26, s4, 0xffffffec
	s_addc_u32 s27, s5, -1
	v_mov_b32_e32 v0, 0
	v_mov_b32_e32 v1, v12
	v_mov_b32_e32 v4, 0
	v_mov_b32_e32 v2, 0
.LBB117_41:                             ; =>This Inner Loop Header: Depth=1
	s_mov_b64 s[44:45], s[26:27]
	s_load_dwordx4 s[36:39], s[44:45], 0x18
	s_load_dwordx2 s[46:47], s[44:45], 0x28
	s_load_dwordx2 s[48:49], s[44:45], 0xe8
	s_load_dwordx4 s[40:43], s[44:45], 0xd8
	s_add_u32 s26, s44, 24
	s_waitcnt lgkmcnt(0)
	v_mul_hi_u32 v3, s37, v1
	v_add_u32_e32 v3, v1, v3
	v_lshrrev_b32_e32 v3, s38, v3
	v_mul_lo_u32 v5, v3, s36
	v_mul_hi_u32 v6, s46, v3
	v_sub_u32_e32 v1, v1, v5
	v_add_u32_e32 v5, v3, v6
	v_mul_lo_u32 v6, v1, s40
	v_mul_lo_u32 v7, v1, s41
	;; [unrolled: 1-line block ×3, first 2 shown]
	v_lshrrev_b32_e32 v1, s47, v5
	v_mul_lo_u32 v5, v1, s39
	v_sub_u32_e32 v3, v3, v5
	s_addc_u32 s27, s45, 0
	s_add_i32 s30, s30, -2
	v_mul_lo_u32 v5, v3, s43
	v_mul_lo_u32 v9, v3, s48
	;; [unrolled: 1-line block ×3, first 2 shown]
	s_cmp_eq_u32 s30, 0
	v_add3_u32 v0, v6, v0, v5
	v_add3_u32 v2, v8, v2, v3
	v_add3_u32 v4, v7, v4, v9
	s_cbranch_scc0 .LBB117_41
; %bb.42:
	s_bitcmp1_b32 s35, 0
	s_cselect_b64 s[30:31], -1, 0
	s_and_b64 vcc, exec, s[30:31]
	s_cbranch_vccnz .LBB117_44
; %bb.43:
	s_load_dwordx2 s[30:31], s[26:27], 0x18
	s_load_dword s35, s[26:27], 0x20
	s_load_dword s38, s[26:27], 0xe0
	s_load_dwordx2 s[36:37], s[26:27], 0xd8
	s_waitcnt lgkmcnt(0)
	v_mul_hi_u32 v3, s31, v1
	v_add_u32_e32 v3, v1, v3
	v_lshrrev_b32_e32 v3, s35, v3
	v_mul_lo_u32 v3, v3, s30
	v_sub_u32_e32 v3, v1, v3
	v_mad_u64_u32 v[0:1], s[26:27], v3, s36, v[0:1]
	v_mad_u64_u32 v[4:5], s[26:27], v3, s37, v[4:5]
	;; [unrolled: 1-line block ×3, first 2 shown]
.LBB117_44:
	s_cbranch_execz .LBB117_46
	s_branch .LBB117_48
.LBB117_45:
                                        ; implicit-def: $vgpr2
                                        ; implicit-def: $vgpr4
                                        ; implicit-def: $vgpr0
.LBB117_46:
	s_waitcnt lgkmcnt(0)
	v_mul_hi_u32 v0, s13, v12
	v_add_u32_e32 v0, v12, v0
	v_lshrrev_b32_e32 v1, s14, v0
	v_mul_lo_u32 v0, v1, s12
	v_sub_u32_e32 v3, v12, v0
	v_mul_lo_u32 v0, v3, s8
	v_mul_lo_u32 v2, v3, s10
	s_andn2_b64 vcc, exec, s[24:25]
	v_mul_lo_u32 v4, v3, s9
	s_cbranch_vccnz .LBB117_48
; %bb.47:
	v_mul_hi_u32 v3, s22, v1
	v_add_u32_e32 v3, v1, v3
	v_lshrrev_b32_e32 v3, s23, v3
	v_mul_lo_u32 v3, v3, s15
	v_sub_u32_e32 v3, v1, v3
	v_mad_u64_u32 v[0:1], s[8:9], v3, s11, v[0:1]
	v_mad_u64_u32 v[4:5], s[8:9], v3, s20, v[4:5]
	;; [unrolled: 1-line block ×3, first 2 shown]
.LBB117_48:
	s_waitcnt lgkmcnt(0)
	global_load_ushort v1, v2, s[18:19]
	global_load_dword v3, v4, s[2:3]
	s_brev_b32 s2, -2
	s_waitcnt vmcnt(1)
	v_lshlrev_b32_e32 v1, 16, v1
	s_waitcnt vmcnt(0)
	v_bfi_b32 v1, s2, v3, v1
	global_store_dword v0, v1, s[0:1]
.LBB117_49:
	s_or_b64 exec, exec, s[28:29]
                                        ; implicit-def: $vgpr24
                                        ; implicit-def: $vgpr12
.LBB117_50:
	s_waitcnt lgkmcnt(0)
	s_andn2_saveexec_b64 s[0:1], s[16:17]
	s_cbranch_execz .LBB117_57
; %bb.51:
	v_cndmask_b32_e64 v0, 0, 1, s[6:7]
	v_cmp_ne_u32_e64 s[0:1], 1, v0
	s_andn2_b64 vcc, exec, s[6:7]
	s_cbranch_vccnz .LBB117_58
; %bb.52:
	s_cmp_lg_u32 s33, 0
	v_mov_b32_e32 v2, 0
	v_mov_b32_e32 v4, 0
	;; [unrolled: 1-line block ×3, first 2 shown]
	s_cbranch_scc0 .LBB117_59
; %bb.53:
	s_min_u32 s6, s34, 15
	s_add_i32 s2, s6, 1
	s_and_b32 s7, s2, 30
	s_add_u32 s2, s4, 0xffffffec
	s_addc_u32 s3, s5, -1
	v_mov_b32_e32 v0, 0
	v_mov_b32_e32 v1, v12
	v_mov_b32_e32 v4, 0
	v_mov_b32_e32 v2, 0
.LBB117_54:                             ; =>This Inner Loop Header: Depth=1
	s_mov_b64 s[16:17], s[2:3]
	s_load_dwordx4 s[8:11], s[16:17], 0x18
	s_load_dwordx2 s[18:19], s[16:17], 0x28
	s_load_dwordx2 s[20:21], s[16:17], 0xe8
	s_load_dwordx4 s[12:15], s[16:17], 0xd8
	s_add_u32 s2, s16, 24
	s_waitcnt lgkmcnt(0)
	v_mul_hi_u32 v3, s9, v1
	v_add_u32_e32 v3, v1, v3
	v_lshrrev_b32_e32 v3, s10, v3
	v_mul_lo_u32 v5, v3, s8
	v_mul_hi_u32 v6, s18, v3
	v_sub_u32_e32 v1, v1, v5
	v_add_u32_e32 v5, v3, v6
	v_mul_lo_u32 v6, v1, s12
	v_mul_lo_u32 v7, v1, s13
	;; [unrolled: 1-line block ×3, first 2 shown]
	v_lshrrev_b32_e32 v1, s19, v5
	v_mul_lo_u32 v5, v1, s11
	v_sub_u32_e32 v3, v3, v5
	s_addc_u32 s3, s17, 0
	s_add_i32 s7, s7, -2
	v_mul_lo_u32 v5, v3, s15
	v_mul_lo_u32 v9, v3, s20
	;; [unrolled: 1-line block ×3, first 2 shown]
	s_cmp_lg_u32 s7, 0
	v_add3_u32 v0, v6, v0, v5
	v_add3_u32 v2, v8, v2, v3
	;; [unrolled: 1-line block ×3, first 2 shown]
	s_cbranch_scc1 .LBB117_54
; %bb.55:
	s_bitcmp1_b32 s6, 0
	s_cselect_b64 s[6:7], -1, 0
	s_and_b64 vcc, exec, s[6:7]
	s_cbranch_vccnz .LBB117_59
; %bb.56:
	s_load_dwordx2 s[6:7], s[2:3], 0x18
	s_load_dword s10, s[2:3], 0x20
	s_load_dword s11, s[2:3], 0xe0
	s_load_dwordx2 s[8:9], s[2:3], 0xd8
	s_waitcnt lgkmcnt(0)
	v_mul_hi_u32 v3, s7, v1
	v_add_u32_e32 v3, v1, v3
	v_lshrrev_b32_e32 v3, s10, v3
	v_mul_lo_u32 v3, v3, s6
	v_sub_u32_e32 v3, v1, v3
	v_mad_u64_u32 v[0:1], s[2:3], v3, s8, v[0:1]
	v_mad_u64_u32 v[4:5], s[2:3], v3, s9, v[4:5]
	;; [unrolled: 1-line block ×3, first 2 shown]
	s_cbranch_execz .LBB117_60
	s_branch .LBB117_62
.LBB117_57:
	s_endpgm
.LBB117_58:
                                        ; implicit-def: $vgpr2
                                        ; implicit-def: $vgpr4
                                        ; implicit-def: $vgpr0
	s_branch .LBB117_60
.LBB117_59:
	s_cbranch_execnz .LBB117_62
.LBB117_60:
	s_load_dwordx4 s[8:11], s[4:5], 0x4
	s_load_dwordx4 s[12:15], s[4:5], 0xc4
	s_cmp_lt_u32 s33, 2
	s_waitcnt lgkmcnt(0)
	v_mul_hi_u32 v0, s9, v12
	v_add_u32_e32 v0, v12, v0
	v_lshrrev_b32_e32 v1, s10, v0
	v_mul_lo_u32 v0, v1, s8
	v_sub_u32_e32 v3, v12, v0
	v_mul_lo_u32 v0, v3, s12
	v_mul_lo_u32 v2, v3, s14
	v_mul_lo_u32 v4, v3, s13
	s_cbranch_scc1 .LBB117_62
; %bb.61:
	s_load_dwordx4 s[8:11], s[4:5], 0x10
	s_load_dwordx4 s[12:15], s[4:5], 0xd0
	s_waitcnt lgkmcnt(0)
	v_mul_hi_u32 v3, s9, v1
	v_add_u32_e32 v3, v1, v3
	v_lshrrev_b32_e32 v3, s10, v3
	v_mul_lo_u32 v3, v3, s8
	v_sub_u32_e32 v3, v1, v3
	v_mad_u64_u32 v[0:1], s[2:3], v3, s12, v[0:1]
	v_mad_u64_u32 v[4:5], s[2:3], v3, s13, v[4:5]
	v_mad_u64_u32 v[2:3], s[2:3], v3, s14, v[2:3]
.LBB117_62:
	s_and_b64 vcc, exec, s[0:1]
	v_add_u32_e32 v1, 0x80, v12
	s_cbranch_vccnz .LBB117_68
; %bb.63:
	s_cmp_lg_u32 s33, 0
	v_mov_b32_e32 v8, 0
	v_mov_b32_e32 v10, 0
	;; [unrolled: 1-line block ×3, first 2 shown]
	s_cbranch_scc0 .LBB117_69
; %bb.64:
	s_min_u32 s6, s34, 15
	s_add_i32 s2, s6, 1
	s_and_b32 s7, s2, 30
	s_add_u32 s2, s4, 0xffffffec
	s_addc_u32 s3, s5, -1
	v_mov_b32_e32 v6, 0
	v_mov_b32_e32 v3, v1
	;; [unrolled: 1-line block ×4, first 2 shown]
.LBB117_65:                             ; =>This Inner Loop Header: Depth=1
	s_mov_b64 s[16:17], s[2:3]
	s_load_dwordx4 s[8:11], s[16:17], 0x18
	s_load_dwordx2 s[18:19], s[16:17], 0x28
	s_load_dwordx2 s[20:21], s[16:17], 0xe8
	s_load_dwordx4 s[12:15], s[16:17], 0xd8
	s_add_u32 s2, s16, 24
	s_waitcnt lgkmcnt(0)
	v_mul_hi_u32 v5, s9, v3
	v_add_u32_e32 v5, v3, v5
	v_lshrrev_b32_e32 v5, s10, v5
	v_mul_lo_u32 v7, v5, s8
	v_mul_hi_u32 v9, s18, v5
	v_sub_u32_e32 v3, v3, v7
	v_add_u32_e32 v7, v5, v9
	v_mul_lo_u32 v9, v3, s12
	v_mul_lo_u32 v11, v3, s13
	v_mul_lo_u32 v13, v3, s14
	v_lshrrev_b32_e32 v3, s19, v7
	v_mul_lo_u32 v7, v3, s11
	v_sub_u32_e32 v5, v5, v7
	s_addc_u32 s3, s17, 0
	s_add_i32 s7, s7, -2
	v_mul_lo_u32 v7, v5, s15
	v_mul_lo_u32 v14, v5, s20
	;; [unrolled: 1-line block ×3, first 2 shown]
	s_cmp_lg_u32 s7, 0
	v_add3_u32 v6, v9, v6, v7
	v_add3_u32 v8, v13, v8, v5
	;; [unrolled: 1-line block ×3, first 2 shown]
	s_cbranch_scc1 .LBB117_65
; %bb.66:
	s_bitcmp1_b32 s6, 0
	s_cselect_b64 s[6:7], -1, 0
	s_and_b64 vcc, exec, s[6:7]
	s_cbranch_vccnz .LBB117_69
; %bb.67:
	s_load_dwordx2 s[6:7], s[2:3], 0x18
	s_load_dword s10, s[2:3], 0x20
	s_load_dword s11, s[2:3], 0xe0
	s_load_dwordx2 s[8:9], s[2:3], 0xd8
	s_waitcnt lgkmcnt(0)
	v_mul_hi_u32 v5, s7, v3
	v_add_u32_e32 v5, v3, v5
	v_lshrrev_b32_e32 v5, s10, v5
	v_mul_lo_u32 v5, v5, s6
	v_sub_u32_e32 v3, v3, v5
	v_mad_u64_u32 v[6:7], s[2:3], v3, s8, v[6:7]
	v_mad_u64_u32 v[10:11], s[2:3], v3, s9, v[10:11]
	;; [unrolled: 1-line block ×3, first 2 shown]
	s_cbranch_execz .LBB117_70
	s_branch .LBB117_72
.LBB117_68:
                                        ; implicit-def: $vgpr8
                                        ; implicit-def: $vgpr10
                                        ; implicit-def: $vgpr6
	s_branch .LBB117_70
.LBB117_69:
	s_cbranch_execnz .LBB117_72
.LBB117_70:
	s_load_dwordx4 s[8:11], s[4:5], 0x4
	s_load_dwordx4 s[12:15], s[4:5], 0xc4
	s_cmp_lt_u32 s33, 2
	s_waitcnt lgkmcnt(0)
	v_mul_hi_u32 v3, s9, v1
	v_add_u32_e32 v3, v1, v3
	v_lshrrev_b32_e32 v3, s10, v3
	v_mul_lo_u32 v5, v3, s8
	v_sub_u32_e32 v1, v1, v5
	v_mul_lo_u32 v6, v1, s12
	v_mul_lo_u32 v8, v1, s14
	;; [unrolled: 1-line block ×3, first 2 shown]
	s_cbranch_scc1 .LBB117_72
; %bb.71:
	s_load_dwordx4 s[8:11], s[4:5], 0x10
	s_load_dwordx4 s[12:15], s[4:5], 0xd0
	s_waitcnt lgkmcnt(0)
	v_mul_hi_u32 v1, s9, v3
	v_add_u32_e32 v1, v3, v1
	v_lshrrev_b32_e32 v1, s10, v1
	v_mul_lo_u32 v1, v1, s8
	v_sub_u32_e32 v1, v3, v1
	v_mad_u64_u32 v[6:7], s[2:3], v1, s12, v[6:7]
	v_mad_u64_u32 v[10:11], s[2:3], v1, s13, v[10:11]
	;; [unrolled: 1-line block ×3, first 2 shown]
.LBB117_72:
	s_and_b64 vcc, exec, s[0:1]
	v_add_u32_e32 v1, 0x100, v12
	s_cbranch_vccnz .LBB117_78
; %bb.73:
	s_cmp_lg_u32 s33, 0
	v_mov_b32_e32 v14, 0
	v_mov_b32_e32 v16, 0
	;; [unrolled: 1-line block ×3, first 2 shown]
	s_cbranch_scc0 .LBB117_79
; %bb.74:
	s_min_u32 s6, s34, 15
	s_add_i32 s2, s6, 1
	s_and_b32 s7, s2, 30
	s_add_u32 s2, s4, 0xffffffec
	s_addc_u32 s3, s5, -1
	v_mov_b32_e32 v12, 0
	v_mov_b32_e32 v3, v1
	;; [unrolled: 1-line block ×4, first 2 shown]
.LBB117_75:                             ; =>This Inner Loop Header: Depth=1
	s_mov_b64 s[16:17], s[2:3]
	s_load_dwordx4 s[8:11], s[16:17], 0x18
	s_load_dwordx2 s[18:19], s[16:17], 0x28
	s_load_dwordx2 s[20:21], s[16:17], 0xe8
	s_load_dwordx4 s[12:15], s[16:17], 0xd8
	s_add_u32 s2, s16, 24
	s_waitcnt lgkmcnt(0)
	v_mul_hi_u32 v5, s9, v3
	v_add_u32_e32 v5, v3, v5
	v_lshrrev_b32_e32 v5, s10, v5
	v_mul_lo_u32 v7, v5, s8
	v_mul_hi_u32 v9, s18, v5
	v_sub_u32_e32 v3, v3, v7
	v_add_u32_e32 v7, v5, v9
	v_mul_lo_u32 v9, v3, s12
	v_mul_lo_u32 v11, v3, s13
	;; [unrolled: 1-line block ×3, first 2 shown]
	v_lshrrev_b32_e32 v3, s19, v7
	v_mul_lo_u32 v7, v3, s11
	v_sub_u32_e32 v5, v5, v7
	s_addc_u32 s3, s17, 0
	s_add_i32 s7, s7, -2
	v_mul_lo_u32 v7, v5, s15
	v_mul_lo_u32 v15, v5, s20
	v_mul_lo_u32 v5, v5, s21
	s_cmp_lg_u32 s7, 0
	v_add3_u32 v12, v9, v12, v7
	v_add3_u32 v14, v13, v14, v5
	;; [unrolled: 1-line block ×3, first 2 shown]
	s_cbranch_scc1 .LBB117_75
; %bb.76:
	s_bitcmp1_b32 s6, 0
	s_cselect_b64 s[6:7], -1, 0
	s_and_b64 vcc, exec, s[6:7]
	s_cbranch_vccnz .LBB117_79
; %bb.77:
	s_load_dwordx2 s[6:7], s[2:3], 0x18
	s_load_dword s10, s[2:3], 0x20
	s_load_dword s11, s[2:3], 0xe0
	s_load_dwordx2 s[8:9], s[2:3], 0xd8
	s_waitcnt lgkmcnt(0)
	v_mul_hi_u32 v5, s7, v3
	v_add_u32_e32 v5, v3, v5
	v_lshrrev_b32_e32 v5, s10, v5
	v_mul_lo_u32 v5, v5, s6
	v_sub_u32_e32 v3, v3, v5
	v_mad_u64_u32 v[12:13], s[2:3], v3, s8, v[12:13]
	v_mad_u64_u32 v[16:17], s[2:3], v3, s9, v[16:17]
	;; [unrolled: 1-line block ×3, first 2 shown]
	s_cbranch_execz .LBB117_80
	s_branch .LBB117_82
.LBB117_78:
                                        ; implicit-def: $vgpr14
                                        ; implicit-def: $vgpr16
                                        ; implicit-def: $vgpr12
	s_branch .LBB117_80
.LBB117_79:
	s_cbranch_execnz .LBB117_82
.LBB117_80:
	s_load_dwordx4 s[8:11], s[4:5], 0x4
	s_load_dwordx4 s[12:15], s[4:5], 0xc4
	s_cmp_lt_u32 s33, 2
	s_waitcnt lgkmcnt(0)
	v_mul_hi_u32 v3, s9, v1
	v_add_u32_e32 v3, v1, v3
	v_lshrrev_b32_e32 v3, s10, v3
	v_mul_lo_u32 v5, v3, s8
	v_sub_u32_e32 v1, v1, v5
	v_mul_lo_u32 v12, v1, s12
	v_mul_lo_u32 v14, v1, s14
	;; [unrolled: 1-line block ×3, first 2 shown]
	s_cbranch_scc1 .LBB117_82
; %bb.81:
	s_load_dwordx4 s[8:11], s[4:5], 0x10
	s_load_dwordx4 s[12:15], s[4:5], 0xd0
	s_waitcnt lgkmcnt(0)
	v_mul_hi_u32 v1, s9, v3
	v_add_u32_e32 v1, v3, v1
	v_lshrrev_b32_e32 v1, s10, v1
	v_mul_lo_u32 v1, v1, s8
	v_sub_u32_e32 v1, v3, v1
	v_mad_u64_u32 v[12:13], s[2:3], v1, s12, v[12:13]
	v_mad_u64_u32 v[16:17], s[2:3], v1, s13, v[16:17]
	;; [unrolled: 1-line block ×3, first 2 shown]
.LBB117_82:
	s_and_b64 vcc, exec, s[0:1]
	s_cbranch_vccnz .LBB117_88
; %bb.83:
	s_cmp_lg_u32 s33, 0
	v_mov_b32_e32 v20, 0
	v_mov_b32_e32 v22, 0
	;; [unrolled: 1-line block ×3, first 2 shown]
	s_cbranch_scc0 .LBB117_89
; %bb.84:
	s_min_u32 s2, s34, 15
	s_add_i32 s0, s2, 1
	s_and_b32 s3, s0, 30
	s_add_u32 s0, s4, 0xffffffec
	s_addc_u32 s1, s5, -1
	v_mov_b32_e32 v18, 0
	v_mov_b32_e32 v1, v24
	;; [unrolled: 1-line block ×4, first 2 shown]
.LBB117_85:                             ; =>This Inner Loop Header: Depth=1
	s_mov_b64 s[6:7], s[0:1]
	s_load_dwordx4 s[8:11], s[6:7], 0x18
	s_load_dwordx2 s[16:17], s[6:7], 0x28
	s_load_dwordx2 s[18:19], s[6:7], 0xe8
	s_load_dwordx4 s[12:15], s[6:7], 0xd8
	s_add_u32 s0, s6, 24
	s_waitcnt lgkmcnt(0)
	v_mul_hi_u32 v3, s9, v1
	v_add_u32_e32 v3, v1, v3
	v_lshrrev_b32_e32 v3, s10, v3
	v_mul_lo_u32 v5, v3, s8
	v_mul_hi_u32 v7, s16, v3
	v_sub_u32_e32 v1, v1, v5
	v_add_u32_e32 v5, v3, v7
	v_mul_lo_u32 v7, v1, s12
	v_mul_lo_u32 v9, v1, s13
	v_mul_lo_u32 v11, v1, s14
	v_lshrrev_b32_e32 v1, s17, v5
	v_mul_lo_u32 v5, v1, s11
	v_sub_u32_e32 v3, v3, v5
	s_addc_u32 s1, s7, 0
	s_add_i32 s3, s3, -2
	v_mul_lo_u32 v5, v3, s15
	v_mul_lo_u32 v13, v3, s18
	v_mul_lo_u32 v3, v3, s19
	s_cmp_lg_u32 s3, 0
	v_add3_u32 v18, v7, v18, v5
	v_add3_u32 v20, v11, v20, v3
	;; [unrolled: 1-line block ×3, first 2 shown]
	s_cbranch_scc1 .LBB117_85
; %bb.86:
	s_bitcmp1_b32 s2, 0
	s_cselect_b64 s[2:3], -1, 0
	s_and_b64 vcc, exec, s[2:3]
	s_cbranch_vccnz .LBB117_89
; %bb.87:
	s_load_dwordx2 s[2:3], s[0:1], 0x18
	s_load_dword s8, s[0:1], 0x20
	s_load_dword s9, s[0:1], 0xe0
	s_load_dwordx2 s[6:7], s[0:1], 0xd8
	s_waitcnt lgkmcnt(0)
	v_mul_hi_u32 v3, s3, v1
	v_add_u32_e32 v3, v1, v3
	v_lshrrev_b32_e32 v3, s8, v3
	v_mul_lo_u32 v3, v3, s2
	v_sub_u32_e32 v1, v1, v3
	v_mad_u64_u32 v[18:19], s[0:1], v1, s6, v[18:19]
	v_mad_u64_u32 v[22:23], s[0:1], v1, s7, v[22:23]
	;; [unrolled: 1-line block ×3, first 2 shown]
	s_cbranch_execz .LBB117_90
	s_branch .LBB117_92
.LBB117_88:
                                        ; implicit-def: $vgpr20
                                        ; implicit-def: $vgpr22
                                        ; implicit-def: $vgpr18
	s_branch .LBB117_90
.LBB117_89:
	s_cbranch_execnz .LBB117_92
.LBB117_90:
	s_load_dwordx4 s[0:3], s[4:5], 0x4
	s_load_dwordx4 s[8:11], s[4:5], 0xc4
	s_cmp_lt_u32 s33, 2
	s_waitcnt lgkmcnt(0)
	v_mul_hi_u32 v1, s1, v24
	v_add_u32_e32 v1, v24, v1
	v_lshrrev_b32_e32 v1, s2, v1
	v_mul_lo_u32 v3, v1, s0
	v_sub_u32_e32 v3, v24, v3
	v_mul_lo_u32 v18, v3, s8
	v_mul_lo_u32 v20, v3, s10
	;; [unrolled: 1-line block ×3, first 2 shown]
	s_cbranch_scc1 .LBB117_92
; %bb.91:
	s_load_dwordx4 s[0:3], s[4:5], 0x10
	s_load_dwordx4 s[8:11], s[4:5], 0xd0
	s_waitcnt lgkmcnt(0)
	v_mul_hi_u32 v3, s1, v1
	v_add_u32_e32 v3, v1, v3
	v_lshrrev_b32_e32 v3, s2, v3
	v_mul_lo_u32 v3, v3, s0
	v_sub_u32_e32 v1, v1, v3
	v_mad_u64_u32 v[18:19], s[0:1], v1, s8, v[18:19]
	v_mad_u64_u32 v[22:23], s[0:1], v1, s9, v[22:23]
	;; [unrolled: 1-line block ×3, first 2 shown]
.LBB117_92:
	s_load_dwordx2 s[6:7], s[4:5], 0x198
	s_load_dwordx4 s[0:3], s[4:5], 0x188
	s_waitcnt lgkmcnt(0)
	global_load_ushort v1, v2, s[6:7]
	global_load_ushort v3, v8, s[6:7]
	;; [unrolled: 1-line block ×4, first 2 shown]
	global_load_dword v9, v4, s[2:3]
	global_load_dword v11, v10, s[2:3]
	;; [unrolled: 1-line block ×4, first 2 shown]
	s_brev_b32 s2, -2
	s_waitcnt vmcnt(7)
	v_lshlrev_b32_e32 v1, 16, v1
	s_waitcnt vmcnt(6)
	v_lshlrev_b32_e32 v2, 16, v3
	;; [unrolled: 2-line block ×4, first 2 shown]
	s_waitcnt vmcnt(3)
	v_bfi_b32 v1, s2, v9, v1
	s_waitcnt vmcnt(2)
	v_bfi_b32 v2, s2, v11, v2
	;; [unrolled: 2-line block ×4, first 2 shown]
	global_store_dword v0, v1, s[0:1]
	global_store_dword v6, v2, s[0:1]
	;; [unrolled: 1-line block ×4, first 2 shown]
	s_endpgm
	.section	.rodata,"a",@progbits
	.p2align	6, 0x0
	.amdhsa_kernel _ZN2at6native32elementwise_kernel_manual_unrollILi128ELi4EZNS0_12_GLOBAL__N_142type_specialized_broadcast_kernel_launcherILi3EE5applyINS0_13BinaryFunctorIfffZZZNS0_20copysign_kernel_cudaERNS_18TensorIteratorBaseEENKUlvE_clEvENKUlvE0_clEvEUlffE_EESt5arrayIPcLm3EESD_IN3c1010ScalarTypeELm3EE16OffsetCalculatorILi3EjLb0EEEEvlT_T0_T1_T2_EUlibE_EEviSN_
		.amdhsa_group_segment_fixed_size 0
		.amdhsa_private_segment_fixed_size 0
		.amdhsa_kernarg_size 432
		.amdhsa_user_sgpr_count 6
		.amdhsa_user_sgpr_private_segment_buffer 1
		.amdhsa_user_sgpr_dispatch_ptr 0
		.amdhsa_user_sgpr_queue_ptr 0
		.amdhsa_user_sgpr_kernarg_segment_ptr 1
		.amdhsa_user_sgpr_dispatch_id 0
		.amdhsa_user_sgpr_flat_scratch_init 0
		.amdhsa_user_sgpr_kernarg_preload_length 0
		.amdhsa_user_sgpr_kernarg_preload_offset 0
		.amdhsa_user_sgpr_private_segment_size 0
		.amdhsa_uses_dynamic_stack 0
		.amdhsa_system_sgpr_private_segment_wavefront_offset 0
		.amdhsa_system_sgpr_workgroup_id_x 1
		.amdhsa_system_sgpr_workgroup_id_y 0
		.amdhsa_system_sgpr_workgroup_id_z 0
		.amdhsa_system_sgpr_workgroup_info 0
		.amdhsa_system_vgpr_workitem_id 0
		.amdhsa_next_free_vgpr 25
		.amdhsa_next_free_sgpr 52
		.amdhsa_accum_offset 28
		.amdhsa_reserve_vcc 1
		.amdhsa_reserve_flat_scratch 0
		.amdhsa_float_round_mode_32 0
		.amdhsa_float_round_mode_16_64 0
		.amdhsa_float_denorm_mode_32 3
		.amdhsa_float_denorm_mode_16_64 3
		.amdhsa_dx10_clamp 1
		.amdhsa_ieee_mode 1
		.amdhsa_fp16_overflow 0
		.amdhsa_tg_split 0
		.amdhsa_exception_fp_ieee_invalid_op 0
		.amdhsa_exception_fp_denorm_src 0
		.amdhsa_exception_fp_ieee_div_zero 0
		.amdhsa_exception_fp_ieee_overflow 0
		.amdhsa_exception_fp_ieee_underflow 0
		.amdhsa_exception_fp_ieee_inexact 0
		.amdhsa_exception_int_div_zero 0
	.end_amdhsa_kernel
	.section	.text._ZN2at6native32elementwise_kernel_manual_unrollILi128ELi4EZNS0_12_GLOBAL__N_142type_specialized_broadcast_kernel_launcherILi3EE5applyINS0_13BinaryFunctorIfffZZZNS0_20copysign_kernel_cudaERNS_18TensorIteratorBaseEENKUlvE_clEvENKUlvE0_clEvEUlffE_EESt5arrayIPcLm3EESD_IN3c1010ScalarTypeELm3EE16OffsetCalculatorILi3EjLb0EEEEvlT_T0_T1_T2_EUlibE_EEviSN_,"axG",@progbits,_ZN2at6native32elementwise_kernel_manual_unrollILi128ELi4EZNS0_12_GLOBAL__N_142type_specialized_broadcast_kernel_launcherILi3EE5applyINS0_13BinaryFunctorIfffZZZNS0_20copysign_kernel_cudaERNS_18TensorIteratorBaseEENKUlvE_clEvENKUlvE0_clEvEUlffE_EESt5arrayIPcLm3EESD_IN3c1010ScalarTypeELm3EE16OffsetCalculatorILi3EjLb0EEEEvlT_T0_T1_T2_EUlibE_EEviSN_,comdat
.Lfunc_end117:
	.size	_ZN2at6native32elementwise_kernel_manual_unrollILi128ELi4EZNS0_12_GLOBAL__N_142type_specialized_broadcast_kernel_launcherILi3EE5applyINS0_13BinaryFunctorIfffZZZNS0_20copysign_kernel_cudaERNS_18TensorIteratorBaseEENKUlvE_clEvENKUlvE0_clEvEUlffE_EESt5arrayIPcLm3EESD_IN3c1010ScalarTypeELm3EE16OffsetCalculatorILi3EjLb0EEEEvlT_T0_T1_T2_EUlibE_EEviSN_, .Lfunc_end117-_ZN2at6native32elementwise_kernel_manual_unrollILi128ELi4EZNS0_12_GLOBAL__N_142type_specialized_broadcast_kernel_launcherILi3EE5applyINS0_13BinaryFunctorIfffZZZNS0_20copysign_kernel_cudaERNS_18TensorIteratorBaseEENKUlvE_clEvENKUlvE0_clEvEUlffE_EESt5arrayIPcLm3EESD_IN3c1010ScalarTypeELm3EE16OffsetCalculatorILi3EjLb0EEEEvlT_T0_T1_T2_EUlibE_EEviSN_
                                        ; -- End function
	.section	.AMDGPU.csdata,"",@progbits
; Kernel info:
; codeLenInByte = 4768
; NumSgprs: 56
; NumVgprs: 25
; NumAgprs: 0
; TotalNumVgprs: 25
; ScratchSize: 0
; MemoryBound: 0
; FloatMode: 240
; IeeeMode: 1
; LDSByteSize: 0 bytes/workgroup (compile time only)
; SGPRBlocks: 6
; VGPRBlocks: 3
; NumSGPRsForWavesPerEU: 56
; NumVGPRsForWavesPerEU: 25
; AccumOffset: 28
; Occupancy: 8
; WaveLimiterHint : 1
; COMPUTE_PGM_RSRC2:SCRATCH_EN: 0
; COMPUTE_PGM_RSRC2:USER_SGPR: 6
; COMPUTE_PGM_RSRC2:TRAP_HANDLER: 0
; COMPUTE_PGM_RSRC2:TGID_X_EN: 1
; COMPUTE_PGM_RSRC2:TGID_Y_EN: 0
; COMPUTE_PGM_RSRC2:TGID_Z_EN: 0
; COMPUTE_PGM_RSRC2:TIDIG_COMP_CNT: 0
; COMPUTE_PGM_RSRC3_GFX90A:ACCUM_OFFSET: 6
; COMPUTE_PGM_RSRC3_GFX90A:TG_SPLIT: 0
	.section	.text._ZN2at6native32elementwise_kernel_manual_unrollILi128ELi4EZNS0_12_GLOBAL__N_142type_specialized_broadcast_kernel_launcherILi4EE5applyINS0_13BinaryFunctorIfffZZZNS0_20copysign_kernel_cudaERNS_18TensorIteratorBaseEENKUlvE_clEvENKUlvE0_clEvEUlffE_EESt5arrayIPcLm3EESD_IN3c1010ScalarTypeELm3EE16OffsetCalculatorILi3EjLb0EEEEvlT_T0_T1_T2_EUlibE_EEviSN_,"axG",@progbits,_ZN2at6native32elementwise_kernel_manual_unrollILi128ELi4EZNS0_12_GLOBAL__N_142type_specialized_broadcast_kernel_launcherILi4EE5applyINS0_13BinaryFunctorIfffZZZNS0_20copysign_kernel_cudaERNS_18TensorIteratorBaseEENKUlvE_clEvENKUlvE0_clEvEUlffE_EESt5arrayIPcLm3EESD_IN3c1010ScalarTypeELm3EE16OffsetCalculatorILi3EjLb0EEEEvlT_T0_T1_T2_EUlibE_EEviSN_,comdat
	.globl	_ZN2at6native32elementwise_kernel_manual_unrollILi128ELi4EZNS0_12_GLOBAL__N_142type_specialized_broadcast_kernel_launcherILi4EE5applyINS0_13BinaryFunctorIfffZZZNS0_20copysign_kernel_cudaERNS_18TensorIteratorBaseEENKUlvE_clEvENKUlvE0_clEvEUlffE_EESt5arrayIPcLm3EESD_IN3c1010ScalarTypeELm3EE16OffsetCalculatorILi3EjLb0EEEEvlT_T0_T1_T2_EUlibE_EEviSN_ ; -- Begin function _ZN2at6native32elementwise_kernel_manual_unrollILi128ELi4EZNS0_12_GLOBAL__N_142type_specialized_broadcast_kernel_launcherILi4EE5applyINS0_13BinaryFunctorIfffZZZNS0_20copysign_kernel_cudaERNS_18TensorIteratorBaseEENKUlvE_clEvENKUlvE0_clEvEUlffE_EESt5arrayIPcLm3EESD_IN3c1010ScalarTypeELm3EE16OffsetCalculatorILi3EjLb0EEEEvlT_T0_T1_T2_EUlibE_EEviSN_
	.p2align	8
	.type	_ZN2at6native32elementwise_kernel_manual_unrollILi128ELi4EZNS0_12_GLOBAL__N_142type_specialized_broadcast_kernel_launcherILi4EE5applyINS0_13BinaryFunctorIfffZZZNS0_20copysign_kernel_cudaERNS_18TensorIteratorBaseEENKUlvE_clEvENKUlvE0_clEvEUlffE_EESt5arrayIPcLm3EESD_IN3c1010ScalarTypeELm3EE16OffsetCalculatorILi3EjLb0EEEEvlT_T0_T1_T2_EUlibE_EEviSN_,@function
_ZN2at6native32elementwise_kernel_manual_unrollILi128ELi4EZNS0_12_GLOBAL__N_142type_specialized_broadcast_kernel_launcherILi4EE5applyINS0_13BinaryFunctorIfffZZZNS0_20copysign_kernel_cudaERNS_18TensorIteratorBaseEENKUlvE_clEvENKUlvE0_clEvEUlffE_EESt5arrayIPcLm3EESD_IN3c1010ScalarTypeELm3EE16OffsetCalculatorILi3EjLb0EEEEvlT_T0_T1_T2_EUlibE_EEviSN_: ; @_ZN2at6native32elementwise_kernel_manual_unrollILi128ELi4EZNS0_12_GLOBAL__N_142type_specialized_broadcast_kernel_launcherILi4EE5applyINS0_13BinaryFunctorIfffZZZNS0_20copysign_kernel_cudaERNS_18TensorIteratorBaseEENKUlvE_clEvENKUlvE0_clEvEUlffE_EESt5arrayIPcLm3EESD_IN3c1010ScalarTypeELm3EE16OffsetCalculatorILi3EjLb0EEEEvlT_T0_T1_T2_EUlibE_EEviSN_
; %bb.0:
	s_load_dword s36, s[4:5], 0x0
	s_load_dword s33, s[4:5], 0x8
	s_or_b32 s4, s4, 8
	v_lshl_or_b32 v12, s6, 9, v0
	v_or_b32_e32 v24, 0x180, v12
	s_waitcnt lgkmcnt(0)
	v_cmp_le_i32_e32 vcc, s36, v24
	s_add_i32 s34, s33, -1
	s_cmp_gt_u32 s34, 1
	s_cselect_b64 s[6:7], -1, 0
	s_and_saveexec_b64 s[0:1], vcc
	s_xor_b64 s[16:17], exec, s[0:1]
	s_cbranch_execz .LBB118_50
; %bb.1:
	s_load_dwordx4 s[12:15], s[4:5], 0x4
	s_load_dwordx2 s[22:23], s[4:5], 0x14
	s_load_dwordx4 s[8:11], s[4:5], 0xc4
	s_load_dwordx2 s[20:21], s[4:5], 0xd4
	s_load_dwordx2 s[18:19], s[4:5], 0x198
	s_load_dwordx4 s[0:3], s[4:5], 0x188
	s_cmp_lg_u32 s33, 0
	s_cselect_b64 s[26:27], -1, 0
	s_min_u32 s35, s34, 15
	s_cmp_gt_u32 s33, 1
	s_cselect_b64 s[24:25], -1, 0
	v_cmp_gt_i32_e32 vcc, s36, v12
	s_and_saveexec_b64 s[28:29], vcc
	s_cbranch_execnz .LBB118_5
; %bb.2:
	s_or_b64 exec, exec, s[28:29]
	v_cmp_gt_i32_e32 vcc, s36, v12
	s_and_saveexec_b64 s[28:29], vcc
	s_cbranch_execnz .LBB118_16
.LBB118_3:
	s_or_b64 exec, exec, s[28:29]
	v_cmp_gt_i32_e32 vcc, s36, v12
	s_and_saveexec_b64 s[28:29], vcc
	s_cbranch_execnz .LBB118_27
.LBB118_4:
	s_or_b64 exec, exec, s[28:29]
	v_cmp_gt_i32_e32 vcc, s36, v12
	s_and_saveexec_b64 s[28:29], vcc
	s_cbranch_execnz .LBB118_38
	s_branch .LBB118_49
.LBB118_5:
	s_andn2_b64 vcc, exec, s[6:7]
	s_cbranch_vccnz .LBB118_12
; %bb.6:
	s_andn2_b64 vcc, exec, s[26:27]
	v_mov_b32_e32 v2, 0
	v_mov_b32_e32 v4, 0
	;; [unrolled: 1-line block ×3, first 2 shown]
	s_cbranch_vccnz .LBB118_11
; %bb.7:
	s_add_i32 s30, s35, 1
	s_and_b32 s37, s30, 30
	s_add_u32 s30, s4, 0xffffffec
	s_addc_u32 s31, s5, -1
	v_mov_b32_e32 v0, 0
	v_mov_b32_e32 v1, v12
	;; [unrolled: 1-line block ×4, first 2 shown]
.LBB118_8:                              ; =>This Inner Loop Header: Depth=1
	s_mov_b64 s[38:39], s[30:31]
	s_load_dwordx4 s[40:43], s[38:39], 0x18
	s_load_dwordx2 s[48:49], s[38:39], 0x28
	s_load_dwordx2 s[50:51], s[38:39], 0xe8
	s_load_dwordx4 s[44:47], s[38:39], 0xd8
	s_add_u32 s30, s38, 24
	s_waitcnt lgkmcnt(0)
	v_mul_hi_u32 v3, s41, v1
	v_add_u32_e32 v3, v1, v3
	v_lshrrev_b32_e32 v3, s42, v3
	v_mul_lo_u32 v5, v3, s40
	v_mul_hi_u32 v6, s48, v3
	v_sub_u32_e32 v1, v1, v5
	v_add_u32_e32 v5, v3, v6
	v_mul_lo_u32 v6, v1, s44
	v_mul_lo_u32 v7, v1, s45
	;; [unrolled: 1-line block ×3, first 2 shown]
	v_lshrrev_b32_e32 v1, s49, v5
	v_mul_lo_u32 v5, v1, s43
	v_sub_u32_e32 v3, v3, v5
	s_addc_u32 s31, s39, 0
	s_add_i32 s37, s37, -2
	v_mul_lo_u32 v5, v3, s47
	v_mul_lo_u32 v9, v3, s50
	;; [unrolled: 1-line block ×3, first 2 shown]
	s_cmp_lg_u32 s37, 0
	v_add3_u32 v0, v6, v0, v5
	v_add3_u32 v2, v8, v2, v3
	;; [unrolled: 1-line block ×3, first 2 shown]
	s_cbranch_scc1 .LBB118_8
; %bb.9:
	s_bitcmp1_b32 s35, 0
	s_cselect_b64 s[38:39], -1, 0
	s_and_b64 vcc, exec, s[38:39]
	s_cbranch_vccnz .LBB118_11
; %bb.10:
	s_load_dwordx2 s[38:39], s[30:31], 0x18
	s_load_dword s37, s[30:31], 0x20
	s_load_dword s42, s[30:31], 0xe0
	s_load_dwordx2 s[40:41], s[30:31], 0xd8
	s_waitcnt lgkmcnt(0)
	v_mul_hi_u32 v3, s39, v1
	v_add_u32_e32 v3, v1, v3
	v_lshrrev_b32_e32 v3, s37, v3
	v_mul_lo_u32 v3, v3, s38
	v_sub_u32_e32 v3, v1, v3
	v_mad_u64_u32 v[0:1], s[30:31], v3, s40, v[0:1]
	v_mad_u64_u32 v[4:5], s[30:31], v3, s41, v[4:5]
	;; [unrolled: 1-line block ×3, first 2 shown]
.LBB118_11:
	s_cbranch_execz .LBB118_13
	s_branch .LBB118_15
.LBB118_12:
                                        ; implicit-def: $vgpr2
                                        ; implicit-def: $vgpr4
                                        ; implicit-def: $vgpr0
.LBB118_13:
	s_waitcnt lgkmcnt(0)
	v_mul_hi_u32 v0, s13, v12
	v_add_u32_e32 v0, v12, v0
	v_lshrrev_b32_e32 v1, s14, v0
	v_mul_lo_u32 v0, v1, s12
	v_sub_u32_e32 v3, v12, v0
	v_mul_lo_u32 v0, v3, s8
	v_mul_lo_u32 v2, v3, s10
	s_andn2_b64 vcc, exec, s[24:25]
	v_mul_lo_u32 v4, v3, s9
	s_cbranch_vccnz .LBB118_15
; %bb.14:
	v_mul_hi_u32 v3, s22, v1
	v_add_u32_e32 v3, v1, v3
	v_lshrrev_b32_e32 v3, s23, v3
	v_mul_lo_u32 v3, v3, s15
	v_sub_u32_e32 v3, v1, v3
	v_mad_u64_u32 v[0:1], s[30:31], v3, s11, v[0:1]
	v_mad_u64_u32 v[4:5], s[30:31], v3, s20, v[4:5]
	;; [unrolled: 1-line block ×3, first 2 shown]
.LBB118_15:
	s_waitcnt lgkmcnt(0)
	global_load_ushort v1, v4, s[2:3]
	global_load_dword v3, v2, s[18:19]
	s_brev_b32 s30, -2
	v_add_u32_e32 v12, 0x80, v12
	s_waitcnt vmcnt(1)
	v_cvt_f32_f16_e32 v1, v1
	s_waitcnt vmcnt(0)
	v_bfi_b32 v1, s30, v1, v3
	global_store_dword v0, v1, s[0:1]
	s_or_b64 exec, exec, s[28:29]
	v_cmp_gt_i32_e32 vcc, s36, v12
	s_and_saveexec_b64 s[28:29], vcc
	s_cbranch_execz .LBB118_3
.LBB118_16:
	s_andn2_b64 vcc, exec, s[6:7]
	s_cbranch_vccnz .LBB118_23
; %bb.17:
	s_andn2_b64 vcc, exec, s[26:27]
	v_mov_b32_e32 v2, 0
	v_mov_b32_e32 v4, 0
	v_mov_b32_e32 v0, 0
	s_cbranch_vccnz .LBB118_22
; %bb.18:
	s_add_i32 s30, s35, 1
	s_and_b32 s37, s30, 30
	s_add_u32 s30, s4, 0xffffffec
	s_addc_u32 s31, s5, -1
	v_mov_b32_e32 v0, 0
	v_mov_b32_e32 v1, v12
	;; [unrolled: 1-line block ×4, first 2 shown]
.LBB118_19:                             ; =>This Inner Loop Header: Depth=1
	s_mov_b64 s[38:39], s[30:31]
	s_load_dwordx4 s[40:43], s[38:39], 0x18
	s_load_dwordx2 s[48:49], s[38:39], 0x28
	s_load_dwordx2 s[50:51], s[38:39], 0xe8
	s_load_dwordx4 s[44:47], s[38:39], 0xd8
	s_add_u32 s30, s38, 24
	s_waitcnt lgkmcnt(0)
	v_mul_hi_u32 v3, s41, v1
	v_add_u32_e32 v3, v1, v3
	v_lshrrev_b32_e32 v3, s42, v3
	v_mul_lo_u32 v5, v3, s40
	v_mul_hi_u32 v6, s48, v3
	v_sub_u32_e32 v1, v1, v5
	v_add_u32_e32 v5, v3, v6
	v_mul_lo_u32 v6, v1, s44
	v_mul_lo_u32 v7, v1, s45
	;; [unrolled: 1-line block ×3, first 2 shown]
	v_lshrrev_b32_e32 v1, s49, v5
	v_mul_lo_u32 v5, v1, s43
	v_sub_u32_e32 v3, v3, v5
	s_addc_u32 s31, s39, 0
	s_add_i32 s37, s37, -2
	v_mul_lo_u32 v5, v3, s47
	v_mul_lo_u32 v9, v3, s50
	;; [unrolled: 1-line block ×3, first 2 shown]
	s_cmp_eq_u32 s37, 0
	v_add3_u32 v0, v6, v0, v5
	v_add3_u32 v2, v8, v2, v3
	;; [unrolled: 1-line block ×3, first 2 shown]
	s_cbranch_scc0 .LBB118_19
; %bb.20:
	s_bitcmp1_b32 s35, 0
	s_cselect_b64 s[38:39], -1, 0
	s_and_b64 vcc, exec, s[38:39]
	s_cbranch_vccnz .LBB118_22
; %bb.21:
	s_load_dwordx2 s[38:39], s[30:31], 0x18
	s_load_dword s37, s[30:31], 0x20
	s_load_dword s42, s[30:31], 0xe0
	s_load_dwordx2 s[40:41], s[30:31], 0xd8
	s_waitcnt lgkmcnt(0)
	v_mul_hi_u32 v3, s39, v1
	v_add_u32_e32 v3, v1, v3
	v_lshrrev_b32_e32 v3, s37, v3
	v_mul_lo_u32 v3, v3, s38
	v_sub_u32_e32 v3, v1, v3
	v_mad_u64_u32 v[0:1], s[30:31], v3, s40, v[0:1]
	v_mad_u64_u32 v[4:5], s[30:31], v3, s41, v[4:5]
	;; [unrolled: 1-line block ×3, first 2 shown]
.LBB118_22:
	s_cbranch_execz .LBB118_24
	s_branch .LBB118_26
.LBB118_23:
                                        ; implicit-def: $vgpr2
                                        ; implicit-def: $vgpr4
                                        ; implicit-def: $vgpr0
.LBB118_24:
	s_waitcnt lgkmcnt(0)
	v_mul_hi_u32 v0, s13, v12
	v_add_u32_e32 v0, v12, v0
	v_lshrrev_b32_e32 v1, s14, v0
	v_mul_lo_u32 v0, v1, s12
	v_sub_u32_e32 v3, v12, v0
	v_mul_lo_u32 v0, v3, s8
	v_mul_lo_u32 v2, v3, s10
	s_andn2_b64 vcc, exec, s[24:25]
	v_mul_lo_u32 v4, v3, s9
	s_cbranch_vccnz .LBB118_26
; %bb.25:
	v_mul_hi_u32 v3, s22, v1
	v_add_u32_e32 v3, v1, v3
	v_lshrrev_b32_e32 v3, s23, v3
	v_mul_lo_u32 v3, v3, s15
	v_sub_u32_e32 v3, v1, v3
	v_mad_u64_u32 v[0:1], s[30:31], v3, s11, v[0:1]
	v_mad_u64_u32 v[4:5], s[30:31], v3, s20, v[4:5]
	;; [unrolled: 1-line block ×3, first 2 shown]
.LBB118_26:
	s_waitcnt lgkmcnt(0)
	global_load_ushort v1, v4, s[2:3]
	global_load_dword v3, v2, s[18:19]
	s_brev_b32 s30, -2
	v_add_u32_e32 v12, 0x80, v12
	s_waitcnt vmcnt(1)
	v_cvt_f32_f16_e32 v1, v1
	s_waitcnt vmcnt(0)
	v_bfi_b32 v1, s30, v1, v3
	global_store_dword v0, v1, s[0:1]
	s_or_b64 exec, exec, s[28:29]
	v_cmp_gt_i32_e32 vcc, s36, v12
	s_and_saveexec_b64 s[28:29], vcc
	s_cbranch_execz .LBB118_4
.LBB118_27:
	s_andn2_b64 vcc, exec, s[6:7]
	s_cbranch_vccnz .LBB118_34
; %bb.28:
	s_andn2_b64 vcc, exec, s[26:27]
	v_mov_b32_e32 v2, 0
	v_mov_b32_e32 v4, 0
	;; [unrolled: 1-line block ×3, first 2 shown]
	s_cbranch_vccnz .LBB118_33
; %bb.29:
	s_add_i32 s30, s35, 1
	s_and_b32 s37, s30, 30
	s_add_u32 s30, s4, 0xffffffec
	s_addc_u32 s31, s5, -1
	v_mov_b32_e32 v0, 0
	v_mov_b32_e32 v1, v12
	;; [unrolled: 1-line block ×4, first 2 shown]
.LBB118_30:                             ; =>This Inner Loop Header: Depth=1
	s_mov_b64 s[38:39], s[30:31]
	s_load_dwordx4 s[40:43], s[38:39], 0x18
	s_load_dwordx2 s[48:49], s[38:39], 0x28
	s_load_dwordx2 s[50:51], s[38:39], 0xe8
	s_load_dwordx4 s[44:47], s[38:39], 0xd8
	s_add_u32 s30, s38, 24
	s_waitcnt lgkmcnt(0)
	v_mul_hi_u32 v3, s41, v1
	v_add_u32_e32 v3, v1, v3
	v_lshrrev_b32_e32 v3, s42, v3
	v_mul_lo_u32 v5, v3, s40
	v_mul_hi_u32 v6, s48, v3
	v_sub_u32_e32 v1, v1, v5
	v_add_u32_e32 v5, v3, v6
	v_mul_lo_u32 v6, v1, s44
	v_mul_lo_u32 v7, v1, s45
	;; [unrolled: 1-line block ×3, first 2 shown]
	v_lshrrev_b32_e32 v1, s49, v5
	v_mul_lo_u32 v5, v1, s43
	v_sub_u32_e32 v3, v3, v5
	s_addc_u32 s31, s39, 0
	s_add_i32 s37, s37, -2
	v_mul_lo_u32 v5, v3, s47
	v_mul_lo_u32 v9, v3, s50
	;; [unrolled: 1-line block ×3, first 2 shown]
	s_cmp_eq_u32 s37, 0
	v_add3_u32 v0, v6, v0, v5
	v_add3_u32 v2, v8, v2, v3
	;; [unrolled: 1-line block ×3, first 2 shown]
	s_cbranch_scc0 .LBB118_30
; %bb.31:
	s_bitcmp1_b32 s35, 0
	s_cselect_b64 s[38:39], -1, 0
	s_and_b64 vcc, exec, s[38:39]
	s_cbranch_vccnz .LBB118_33
; %bb.32:
	s_load_dwordx2 s[38:39], s[30:31], 0x18
	s_load_dword s37, s[30:31], 0x20
	s_load_dword s42, s[30:31], 0xe0
	s_load_dwordx2 s[40:41], s[30:31], 0xd8
	s_waitcnt lgkmcnt(0)
	v_mul_hi_u32 v3, s39, v1
	v_add_u32_e32 v3, v1, v3
	v_lshrrev_b32_e32 v3, s37, v3
	v_mul_lo_u32 v3, v3, s38
	v_sub_u32_e32 v3, v1, v3
	v_mad_u64_u32 v[0:1], s[30:31], v3, s40, v[0:1]
	v_mad_u64_u32 v[4:5], s[30:31], v3, s41, v[4:5]
	v_mad_u64_u32 v[2:3], s[30:31], v3, s42, v[2:3]
.LBB118_33:
	s_cbranch_execz .LBB118_35
	s_branch .LBB118_37
.LBB118_34:
                                        ; implicit-def: $vgpr2
                                        ; implicit-def: $vgpr4
                                        ; implicit-def: $vgpr0
.LBB118_35:
	s_waitcnt lgkmcnt(0)
	v_mul_hi_u32 v0, s13, v12
	v_add_u32_e32 v0, v12, v0
	v_lshrrev_b32_e32 v1, s14, v0
	v_mul_lo_u32 v0, v1, s12
	v_sub_u32_e32 v3, v12, v0
	v_mul_lo_u32 v0, v3, s8
	v_mul_lo_u32 v2, v3, s10
	s_andn2_b64 vcc, exec, s[24:25]
	v_mul_lo_u32 v4, v3, s9
	s_cbranch_vccnz .LBB118_37
; %bb.36:
	v_mul_hi_u32 v3, s22, v1
	v_add_u32_e32 v3, v1, v3
	v_lshrrev_b32_e32 v3, s23, v3
	v_mul_lo_u32 v3, v3, s15
	v_sub_u32_e32 v3, v1, v3
	v_mad_u64_u32 v[0:1], s[30:31], v3, s11, v[0:1]
	v_mad_u64_u32 v[4:5], s[30:31], v3, s20, v[4:5]
	;; [unrolled: 1-line block ×3, first 2 shown]
.LBB118_37:
	s_waitcnt lgkmcnt(0)
	global_load_ushort v1, v4, s[2:3]
	global_load_dword v3, v2, s[18:19]
	s_brev_b32 s30, -2
	v_add_u32_e32 v12, 0x80, v12
	s_waitcnt vmcnt(1)
	v_cvt_f32_f16_e32 v1, v1
	s_waitcnt vmcnt(0)
	v_bfi_b32 v1, s30, v1, v3
	global_store_dword v0, v1, s[0:1]
	s_or_b64 exec, exec, s[28:29]
	v_cmp_gt_i32_e32 vcc, s36, v12
	s_and_saveexec_b64 s[28:29], vcc
	s_cbranch_execz .LBB118_49
.LBB118_38:
	s_andn2_b64 vcc, exec, s[6:7]
	s_cbranch_vccnz .LBB118_45
; %bb.39:
	s_andn2_b64 vcc, exec, s[26:27]
	v_mov_b32_e32 v2, 0
	v_mov_b32_e32 v4, 0
	;; [unrolled: 1-line block ×3, first 2 shown]
	s_cbranch_vccnz .LBB118_44
; %bb.40:
	s_add_i32 s26, s35, 1
	s_and_b32 s30, s26, 30
	s_add_u32 s26, s4, 0xffffffec
	s_addc_u32 s27, s5, -1
	v_mov_b32_e32 v0, 0
	v_mov_b32_e32 v1, v12
	;; [unrolled: 1-line block ×4, first 2 shown]
.LBB118_41:                             ; =>This Inner Loop Header: Depth=1
	s_mov_b64 s[44:45], s[26:27]
	s_load_dwordx4 s[36:39], s[44:45], 0x18
	s_load_dwordx2 s[46:47], s[44:45], 0x28
	s_load_dwordx2 s[48:49], s[44:45], 0xe8
	s_load_dwordx4 s[40:43], s[44:45], 0xd8
	s_add_u32 s26, s44, 24
	s_waitcnt lgkmcnt(0)
	v_mul_hi_u32 v3, s37, v1
	v_add_u32_e32 v3, v1, v3
	v_lshrrev_b32_e32 v3, s38, v3
	v_mul_lo_u32 v5, v3, s36
	v_mul_hi_u32 v6, s46, v3
	v_sub_u32_e32 v1, v1, v5
	v_add_u32_e32 v5, v3, v6
	v_mul_lo_u32 v6, v1, s40
	v_mul_lo_u32 v7, v1, s41
	;; [unrolled: 1-line block ×3, first 2 shown]
	v_lshrrev_b32_e32 v1, s47, v5
	v_mul_lo_u32 v5, v1, s39
	v_sub_u32_e32 v3, v3, v5
	s_addc_u32 s27, s45, 0
	s_add_i32 s30, s30, -2
	v_mul_lo_u32 v5, v3, s43
	v_mul_lo_u32 v9, v3, s48
	v_mul_lo_u32 v3, v3, s49
	s_cmp_eq_u32 s30, 0
	v_add3_u32 v0, v6, v0, v5
	v_add3_u32 v2, v8, v2, v3
	;; [unrolled: 1-line block ×3, first 2 shown]
	s_cbranch_scc0 .LBB118_41
; %bb.42:
	s_bitcmp1_b32 s35, 0
	s_cselect_b64 s[30:31], -1, 0
	s_and_b64 vcc, exec, s[30:31]
	s_cbranch_vccnz .LBB118_44
; %bb.43:
	s_load_dwordx2 s[30:31], s[26:27], 0x18
	s_load_dword s35, s[26:27], 0x20
	s_load_dword s38, s[26:27], 0xe0
	s_load_dwordx2 s[36:37], s[26:27], 0xd8
	s_waitcnt lgkmcnt(0)
	v_mul_hi_u32 v3, s31, v1
	v_add_u32_e32 v3, v1, v3
	v_lshrrev_b32_e32 v3, s35, v3
	v_mul_lo_u32 v3, v3, s30
	v_sub_u32_e32 v3, v1, v3
	v_mad_u64_u32 v[0:1], s[26:27], v3, s36, v[0:1]
	v_mad_u64_u32 v[4:5], s[26:27], v3, s37, v[4:5]
	;; [unrolled: 1-line block ×3, first 2 shown]
.LBB118_44:
	s_cbranch_execz .LBB118_46
	s_branch .LBB118_48
.LBB118_45:
                                        ; implicit-def: $vgpr2
                                        ; implicit-def: $vgpr4
                                        ; implicit-def: $vgpr0
.LBB118_46:
	s_waitcnt lgkmcnt(0)
	v_mul_hi_u32 v0, s13, v12
	v_add_u32_e32 v0, v12, v0
	v_lshrrev_b32_e32 v1, s14, v0
	v_mul_lo_u32 v0, v1, s12
	v_sub_u32_e32 v3, v12, v0
	v_mul_lo_u32 v0, v3, s8
	v_mul_lo_u32 v2, v3, s10
	s_andn2_b64 vcc, exec, s[24:25]
	v_mul_lo_u32 v4, v3, s9
	s_cbranch_vccnz .LBB118_48
; %bb.47:
	v_mul_hi_u32 v3, s22, v1
	v_add_u32_e32 v3, v1, v3
	v_lshrrev_b32_e32 v3, s23, v3
	v_mul_lo_u32 v3, v3, s15
	v_sub_u32_e32 v3, v1, v3
	v_mad_u64_u32 v[0:1], s[8:9], v3, s11, v[0:1]
	v_mad_u64_u32 v[4:5], s[8:9], v3, s20, v[4:5]
	;; [unrolled: 1-line block ×3, first 2 shown]
.LBB118_48:
	s_waitcnt lgkmcnt(0)
	global_load_ushort v1, v4, s[2:3]
	global_load_dword v3, v2, s[18:19]
	s_brev_b32 s2, -2
	s_waitcnt vmcnt(1)
	v_cvt_f32_f16_e32 v1, v1
	s_waitcnt vmcnt(0)
	v_bfi_b32 v1, s2, v1, v3
	global_store_dword v0, v1, s[0:1]
.LBB118_49:
	s_or_b64 exec, exec, s[28:29]
                                        ; implicit-def: $vgpr24
                                        ; implicit-def: $vgpr12
.LBB118_50:
	s_waitcnt lgkmcnt(0)
	s_andn2_saveexec_b64 s[0:1], s[16:17]
	s_cbranch_execz .LBB118_57
; %bb.51:
	v_cndmask_b32_e64 v0, 0, 1, s[6:7]
	v_cmp_ne_u32_e64 s[0:1], 1, v0
	s_andn2_b64 vcc, exec, s[6:7]
	s_cbranch_vccnz .LBB118_58
; %bb.52:
	s_cmp_lg_u32 s33, 0
	v_mov_b32_e32 v2, 0
	v_mov_b32_e32 v4, 0
	;; [unrolled: 1-line block ×3, first 2 shown]
	s_cbranch_scc0 .LBB118_59
; %bb.53:
	s_min_u32 s6, s34, 15
	s_add_i32 s2, s6, 1
	s_and_b32 s7, s2, 30
	s_add_u32 s2, s4, 0xffffffec
	s_addc_u32 s3, s5, -1
	v_mov_b32_e32 v0, 0
	v_mov_b32_e32 v1, v12
	;; [unrolled: 1-line block ×4, first 2 shown]
.LBB118_54:                             ; =>This Inner Loop Header: Depth=1
	s_mov_b64 s[16:17], s[2:3]
	s_load_dwordx4 s[8:11], s[16:17], 0x18
	s_load_dwordx2 s[18:19], s[16:17], 0x28
	s_load_dwordx2 s[20:21], s[16:17], 0xe8
	s_load_dwordx4 s[12:15], s[16:17], 0xd8
	s_add_u32 s2, s16, 24
	s_waitcnt lgkmcnt(0)
	v_mul_hi_u32 v3, s9, v1
	v_add_u32_e32 v3, v1, v3
	v_lshrrev_b32_e32 v3, s10, v3
	v_mul_lo_u32 v5, v3, s8
	v_mul_hi_u32 v6, s18, v3
	v_sub_u32_e32 v1, v1, v5
	v_add_u32_e32 v5, v3, v6
	v_mul_lo_u32 v6, v1, s12
	v_mul_lo_u32 v7, v1, s13
	;; [unrolled: 1-line block ×3, first 2 shown]
	v_lshrrev_b32_e32 v1, s19, v5
	v_mul_lo_u32 v5, v1, s11
	v_sub_u32_e32 v3, v3, v5
	s_addc_u32 s3, s17, 0
	s_add_i32 s7, s7, -2
	v_mul_lo_u32 v5, v3, s15
	v_mul_lo_u32 v9, v3, s20
	;; [unrolled: 1-line block ×3, first 2 shown]
	s_cmp_lg_u32 s7, 0
	v_add3_u32 v0, v6, v0, v5
	v_add3_u32 v2, v8, v2, v3
	;; [unrolled: 1-line block ×3, first 2 shown]
	s_cbranch_scc1 .LBB118_54
; %bb.55:
	s_bitcmp1_b32 s6, 0
	s_cselect_b64 s[6:7], -1, 0
	s_and_b64 vcc, exec, s[6:7]
	s_cbranch_vccnz .LBB118_59
; %bb.56:
	s_load_dwordx2 s[6:7], s[2:3], 0x18
	s_load_dword s10, s[2:3], 0x20
	s_load_dword s11, s[2:3], 0xe0
	s_load_dwordx2 s[8:9], s[2:3], 0xd8
	s_waitcnt lgkmcnt(0)
	v_mul_hi_u32 v3, s7, v1
	v_add_u32_e32 v3, v1, v3
	v_lshrrev_b32_e32 v3, s10, v3
	v_mul_lo_u32 v3, v3, s6
	v_sub_u32_e32 v3, v1, v3
	v_mad_u64_u32 v[0:1], s[2:3], v3, s8, v[0:1]
	v_mad_u64_u32 v[4:5], s[2:3], v3, s9, v[4:5]
	;; [unrolled: 1-line block ×3, first 2 shown]
	s_cbranch_execz .LBB118_60
	s_branch .LBB118_62
.LBB118_57:
	s_endpgm
.LBB118_58:
                                        ; implicit-def: $vgpr2
                                        ; implicit-def: $vgpr4
                                        ; implicit-def: $vgpr0
	s_branch .LBB118_60
.LBB118_59:
	s_cbranch_execnz .LBB118_62
.LBB118_60:
	s_load_dwordx4 s[8:11], s[4:5], 0x4
	s_load_dwordx4 s[12:15], s[4:5], 0xc4
	s_cmp_lt_u32 s33, 2
	s_waitcnt lgkmcnt(0)
	v_mul_hi_u32 v0, s9, v12
	v_add_u32_e32 v0, v12, v0
	v_lshrrev_b32_e32 v1, s10, v0
	v_mul_lo_u32 v0, v1, s8
	v_sub_u32_e32 v3, v12, v0
	v_mul_lo_u32 v0, v3, s12
	v_mul_lo_u32 v2, v3, s14
	;; [unrolled: 1-line block ×3, first 2 shown]
	s_cbranch_scc1 .LBB118_62
; %bb.61:
	s_load_dwordx4 s[8:11], s[4:5], 0x10
	s_load_dwordx4 s[12:15], s[4:5], 0xd0
	s_waitcnt lgkmcnt(0)
	v_mul_hi_u32 v3, s9, v1
	v_add_u32_e32 v3, v1, v3
	v_lshrrev_b32_e32 v3, s10, v3
	v_mul_lo_u32 v3, v3, s8
	v_sub_u32_e32 v3, v1, v3
	v_mad_u64_u32 v[0:1], s[2:3], v3, s12, v[0:1]
	v_mad_u64_u32 v[4:5], s[2:3], v3, s13, v[4:5]
	v_mad_u64_u32 v[2:3], s[2:3], v3, s14, v[2:3]
.LBB118_62:
	s_and_b64 vcc, exec, s[0:1]
	v_add_u32_e32 v1, 0x80, v12
	s_cbranch_vccnz .LBB118_68
; %bb.63:
	s_cmp_lg_u32 s33, 0
	v_mov_b32_e32 v8, 0
	v_mov_b32_e32 v10, 0
	;; [unrolled: 1-line block ×3, first 2 shown]
	s_cbranch_scc0 .LBB118_69
; %bb.64:
	s_min_u32 s6, s34, 15
	s_add_i32 s2, s6, 1
	s_and_b32 s7, s2, 30
	s_add_u32 s2, s4, 0xffffffec
	s_addc_u32 s3, s5, -1
	v_mov_b32_e32 v6, 0
	v_mov_b32_e32 v3, v1
	;; [unrolled: 1-line block ×4, first 2 shown]
.LBB118_65:                             ; =>This Inner Loop Header: Depth=1
	s_mov_b64 s[16:17], s[2:3]
	s_load_dwordx4 s[8:11], s[16:17], 0x18
	s_load_dwordx2 s[18:19], s[16:17], 0x28
	s_load_dwordx2 s[20:21], s[16:17], 0xe8
	s_load_dwordx4 s[12:15], s[16:17], 0xd8
	s_add_u32 s2, s16, 24
	s_waitcnt lgkmcnt(0)
	v_mul_hi_u32 v5, s9, v3
	v_add_u32_e32 v5, v3, v5
	v_lshrrev_b32_e32 v5, s10, v5
	v_mul_lo_u32 v7, v5, s8
	v_mul_hi_u32 v9, s18, v5
	v_sub_u32_e32 v3, v3, v7
	v_add_u32_e32 v7, v5, v9
	v_mul_lo_u32 v9, v3, s12
	v_mul_lo_u32 v11, v3, s13
	;; [unrolled: 1-line block ×3, first 2 shown]
	v_lshrrev_b32_e32 v3, s19, v7
	v_mul_lo_u32 v7, v3, s11
	v_sub_u32_e32 v5, v5, v7
	s_addc_u32 s3, s17, 0
	s_add_i32 s7, s7, -2
	v_mul_lo_u32 v7, v5, s15
	v_mul_lo_u32 v14, v5, s20
	;; [unrolled: 1-line block ×3, first 2 shown]
	s_cmp_lg_u32 s7, 0
	v_add3_u32 v6, v9, v6, v7
	v_add3_u32 v8, v13, v8, v5
	;; [unrolled: 1-line block ×3, first 2 shown]
	s_cbranch_scc1 .LBB118_65
; %bb.66:
	s_bitcmp1_b32 s6, 0
	s_cselect_b64 s[6:7], -1, 0
	s_and_b64 vcc, exec, s[6:7]
	s_cbranch_vccnz .LBB118_69
; %bb.67:
	s_load_dwordx2 s[6:7], s[2:3], 0x18
	s_load_dword s10, s[2:3], 0x20
	s_load_dword s11, s[2:3], 0xe0
	s_load_dwordx2 s[8:9], s[2:3], 0xd8
	s_waitcnt lgkmcnt(0)
	v_mul_hi_u32 v5, s7, v3
	v_add_u32_e32 v5, v3, v5
	v_lshrrev_b32_e32 v5, s10, v5
	v_mul_lo_u32 v5, v5, s6
	v_sub_u32_e32 v3, v3, v5
	v_mad_u64_u32 v[6:7], s[2:3], v3, s8, v[6:7]
	v_mad_u64_u32 v[10:11], s[2:3], v3, s9, v[10:11]
	;; [unrolled: 1-line block ×3, first 2 shown]
	s_cbranch_execz .LBB118_70
	s_branch .LBB118_72
.LBB118_68:
                                        ; implicit-def: $vgpr8
                                        ; implicit-def: $vgpr10
                                        ; implicit-def: $vgpr6
	s_branch .LBB118_70
.LBB118_69:
	s_cbranch_execnz .LBB118_72
.LBB118_70:
	s_load_dwordx4 s[8:11], s[4:5], 0x4
	s_load_dwordx4 s[12:15], s[4:5], 0xc4
	s_cmp_lt_u32 s33, 2
	s_waitcnt lgkmcnt(0)
	v_mul_hi_u32 v3, s9, v1
	v_add_u32_e32 v3, v1, v3
	v_lshrrev_b32_e32 v3, s10, v3
	v_mul_lo_u32 v5, v3, s8
	v_sub_u32_e32 v1, v1, v5
	v_mul_lo_u32 v6, v1, s12
	v_mul_lo_u32 v8, v1, s14
	;; [unrolled: 1-line block ×3, first 2 shown]
	s_cbranch_scc1 .LBB118_72
; %bb.71:
	s_load_dwordx4 s[8:11], s[4:5], 0x10
	s_load_dwordx4 s[12:15], s[4:5], 0xd0
	s_waitcnt lgkmcnt(0)
	v_mul_hi_u32 v1, s9, v3
	v_add_u32_e32 v1, v3, v1
	v_lshrrev_b32_e32 v1, s10, v1
	v_mul_lo_u32 v1, v1, s8
	v_sub_u32_e32 v1, v3, v1
	v_mad_u64_u32 v[6:7], s[2:3], v1, s12, v[6:7]
	v_mad_u64_u32 v[10:11], s[2:3], v1, s13, v[10:11]
	;; [unrolled: 1-line block ×3, first 2 shown]
.LBB118_72:
	s_and_b64 vcc, exec, s[0:1]
	v_add_u32_e32 v1, 0x100, v12
	s_cbranch_vccnz .LBB118_78
; %bb.73:
	s_cmp_lg_u32 s33, 0
	v_mov_b32_e32 v14, 0
	v_mov_b32_e32 v16, 0
	;; [unrolled: 1-line block ×3, first 2 shown]
	s_cbranch_scc0 .LBB118_79
; %bb.74:
	s_min_u32 s6, s34, 15
	s_add_i32 s2, s6, 1
	s_and_b32 s7, s2, 30
	s_add_u32 s2, s4, 0xffffffec
	s_addc_u32 s3, s5, -1
	v_mov_b32_e32 v12, 0
	v_mov_b32_e32 v3, v1
	v_mov_b32_e32 v16, 0
	v_mov_b32_e32 v14, 0
.LBB118_75:                             ; =>This Inner Loop Header: Depth=1
	s_mov_b64 s[16:17], s[2:3]
	s_load_dwordx4 s[8:11], s[16:17], 0x18
	s_load_dwordx2 s[18:19], s[16:17], 0x28
	s_load_dwordx2 s[20:21], s[16:17], 0xe8
	s_load_dwordx4 s[12:15], s[16:17], 0xd8
	s_add_u32 s2, s16, 24
	s_waitcnt lgkmcnt(0)
	v_mul_hi_u32 v5, s9, v3
	v_add_u32_e32 v5, v3, v5
	v_lshrrev_b32_e32 v5, s10, v5
	v_mul_lo_u32 v7, v5, s8
	v_mul_hi_u32 v9, s18, v5
	v_sub_u32_e32 v3, v3, v7
	v_add_u32_e32 v7, v5, v9
	v_mul_lo_u32 v9, v3, s12
	v_mul_lo_u32 v11, v3, s13
	;; [unrolled: 1-line block ×3, first 2 shown]
	v_lshrrev_b32_e32 v3, s19, v7
	v_mul_lo_u32 v7, v3, s11
	v_sub_u32_e32 v5, v5, v7
	s_addc_u32 s3, s17, 0
	s_add_i32 s7, s7, -2
	v_mul_lo_u32 v7, v5, s15
	v_mul_lo_u32 v15, v5, s20
	v_mul_lo_u32 v5, v5, s21
	s_cmp_lg_u32 s7, 0
	v_add3_u32 v12, v9, v12, v7
	v_add3_u32 v14, v13, v14, v5
	;; [unrolled: 1-line block ×3, first 2 shown]
	s_cbranch_scc1 .LBB118_75
; %bb.76:
	s_bitcmp1_b32 s6, 0
	s_cselect_b64 s[6:7], -1, 0
	s_and_b64 vcc, exec, s[6:7]
	s_cbranch_vccnz .LBB118_79
; %bb.77:
	s_load_dwordx2 s[6:7], s[2:3], 0x18
	s_load_dword s10, s[2:3], 0x20
	s_load_dword s11, s[2:3], 0xe0
	s_load_dwordx2 s[8:9], s[2:3], 0xd8
	s_waitcnt lgkmcnt(0)
	v_mul_hi_u32 v5, s7, v3
	v_add_u32_e32 v5, v3, v5
	v_lshrrev_b32_e32 v5, s10, v5
	v_mul_lo_u32 v5, v5, s6
	v_sub_u32_e32 v3, v3, v5
	v_mad_u64_u32 v[12:13], s[2:3], v3, s8, v[12:13]
	v_mad_u64_u32 v[16:17], s[2:3], v3, s9, v[16:17]
	;; [unrolled: 1-line block ×3, first 2 shown]
	s_cbranch_execz .LBB118_80
	s_branch .LBB118_82
.LBB118_78:
                                        ; implicit-def: $vgpr14
                                        ; implicit-def: $vgpr16
                                        ; implicit-def: $vgpr12
	s_branch .LBB118_80
.LBB118_79:
	s_cbranch_execnz .LBB118_82
.LBB118_80:
	s_load_dwordx4 s[8:11], s[4:5], 0x4
	s_load_dwordx4 s[12:15], s[4:5], 0xc4
	s_cmp_lt_u32 s33, 2
	s_waitcnt lgkmcnt(0)
	v_mul_hi_u32 v3, s9, v1
	v_add_u32_e32 v3, v1, v3
	v_lshrrev_b32_e32 v3, s10, v3
	v_mul_lo_u32 v5, v3, s8
	v_sub_u32_e32 v1, v1, v5
	v_mul_lo_u32 v12, v1, s12
	v_mul_lo_u32 v14, v1, s14
	;; [unrolled: 1-line block ×3, first 2 shown]
	s_cbranch_scc1 .LBB118_82
; %bb.81:
	s_load_dwordx4 s[8:11], s[4:5], 0x10
	s_load_dwordx4 s[12:15], s[4:5], 0xd0
	s_waitcnt lgkmcnt(0)
	v_mul_hi_u32 v1, s9, v3
	v_add_u32_e32 v1, v3, v1
	v_lshrrev_b32_e32 v1, s10, v1
	v_mul_lo_u32 v1, v1, s8
	v_sub_u32_e32 v1, v3, v1
	v_mad_u64_u32 v[12:13], s[2:3], v1, s12, v[12:13]
	v_mad_u64_u32 v[16:17], s[2:3], v1, s13, v[16:17]
	;; [unrolled: 1-line block ×3, first 2 shown]
.LBB118_82:
	s_and_b64 vcc, exec, s[0:1]
	s_cbranch_vccnz .LBB118_88
; %bb.83:
	s_cmp_lg_u32 s33, 0
	v_mov_b32_e32 v20, 0
	v_mov_b32_e32 v22, 0
	;; [unrolled: 1-line block ×3, first 2 shown]
	s_cbranch_scc0 .LBB118_89
; %bb.84:
	s_min_u32 s2, s34, 15
	s_add_i32 s0, s2, 1
	s_and_b32 s3, s0, 30
	s_add_u32 s0, s4, 0xffffffec
	s_addc_u32 s1, s5, -1
	v_mov_b32_e32 v18, 0
	v_mov_b32_e32 v1, v24
	;; [unrolled: 1-line block ×4, first 2 shown]
.LBB118_85:                             ; =>This Inner Loop Header: Depth=1
	s_mov_b64 s[6:7], s[0:1]
	s_load_dwordx4 s[8:11], s[6:7], 0x18
	s_load_dwordx2 s[16:17], s[6:7], 0x28
	s_load_dwordx2 s[18:19], s[6:7], 0xe8
	s_load_dwordx4 s[12:15], s[6:7], 0xd8
	s_add_u32 s0, s6, 24
	s_waitcnt lgkmcnt(0)
	v_mul_hi_u32 v3, s9, v1
	v_add_u32_e32 v3, v1, v3
	v_lshrrev_b32_e32 v3, s10, v3
	v_mul_lo_u32 v5, v3, s8
	v_mul_hi_u32 v7, s16, v3
	v_sub_u32_e32 v1, v1, v5
	v_add_u32_e32 v5, v3, v7
	v_mul_lo_u32 v7, v1, s12
	v_mul_lo_u32 v9, v1, s13
	;; [unrolled: 1-line block ×3, first 2 shown]
	v_lshrrev_b32_e32 v1, s17, v5
	v_mul_lo_u32 v5, v1, s11
	v_sub_u32_e32 v3, v3, v5
	s_addc_u32 s1, s7, 0
	s_add_i32 s3, s3, -2
	v_mul_lo_u32 v5, v3, s15
	v_mul_lo_u32 v13, v3, s18
	;; [unrolled: 1-line block ×3, first 2 shown]
	s_cmp_lg_u32 s3, 0
	v_add3_u32 v18, v7, v18, v5
	v_add3_u32 v20, v11, v20, v3
	;; [unrolled: 1-line block ×3, first 2 shown]
	s_cbranch_scc1 .LBB118_85
; %bb.86:
	s_bitcmp1_b32 s2, 0
	s_cselect_b64 s[2:3], -1, 0
	s_and_b64 vcc, exec, s[2:3]
	s_cbranch_vccnz .LBB118_89
; %bb.87:
	s_load_dwordx2 s[2:3], s[0:1], 0x18
	s_load_dword s8, s[0:1], 0x20
	s_load_dword s9, s[0:1], 0xe0
	s_load_dwordx2 s[6:7], s[0:1], 0xd8
	s_waitcnt lgkmcnt(0)
	v_mul_hi_u32 v3, s3, v1
	v_add_u32_e32 v3, v1, v3
	v_lshrrev_b32_e32 v3, s8, v3
	v_mul_lo_u32 v3, v3, s2
	v_sub_u32_e32 v1, v1, v3
	v_mad_u64_u32 v[18:19], s[0:1], v1, s6, v[18:19]
	v_mad_u64_u32 v[22:23], s[0:1], v1, s7, v[22:23]
	;; [unrolled: 1-line block ×3, first 2 shown]
	s_cbranch_execz .LBB118_90
	s_branch .LBB118_92
.LBB118_88:
                                        ; implicit-def: $vgpr20
                                        ; implicit-def: $vgpr22
                                        ; implicit-def: $vgpr18
	s_branch .LBB118_90
.LBB118_89:
	s_cbranch_execnz .LBB118_92
.LBB118_90:
	s_load_dwordx4 s[0:3], s[4:5], 0x4
	s_load_dwordx4 s[8:11], s[4:5], 0xc4
	s_cmp_lt_u32 s33, 2
	s_waitcnt lgkmcnt(0)
	v_mul_hi_u32 v1, s1, v24
	v_add_u32_e32 v1, v24, v1
	v_lshrrev_b32_e32 v1, s2, v1
	v_mul_lo_u32 v3, v1, s0
	v_sub_u32_e32 v3, v24, v3
	v_mul_lo_u32 v18, v3, s8
	v_mul_lo_u32 v20, v3, s10
	;; [unrolled: 1-line block ×3, first 2 shown]
	s_cbranch_scc1 .LBB118_92
; %bb.91:
	s_load_dwordx4 s[0:3], s[4:5], 0x10
	s_load_dwordx4 s[8:11], s[4:5], 0xd0
	s_waitcnt lgkmcnt(0)
	v_mul_hi_u32 v3, s1, v1
	v_add_u32_e32 v3, v1, v3
	v_lshrrev_b32_e32 v3, s2, v3
	v_mul_lo_u32 v3, v3, s0
	v_sub_u32_e32 v1, v1, v3
	v_mad_u64_u32 v[18:19], s[0:1], v1, s8, v[18:19]
	v_mad_u64_u32 v[22:23], s[0:1], v1, s9, v[22:23]
	;; [unrolled: 1-line block ×3, first 2 shown]
.LBB118_92:
	s_load_dwordx4 s[0:3], s[4:5], 0x188
	s_load_dwordx2 s[6:7], s[4:5], 0x198
	s_waitcnt lgkmcnt(0)
	global_load_ushort v1, v4, s[2:3]
	global_load_ushort v3, v10, s[2:3]
	;; [unrolled: 1-line block ×4, first 2 shown]
	global_load_dword v9, v2, s[6:7]
	global_load_dword v11, v8, s[6:7]
	;; [unrolled: 1-line block ×4, first 2 shown]
	s_brev_b32 s2, -2
	s_waitcnt vmcnt(7)
	v_cvt_f32_f16_e32 v1, v1
	s_waitcnt vmcnt(6)
	v_cvt_f32_f16_e32 v2, v3
	;; [unrolled: 2-line block ×4, first 2 shown]
	s_waitcnt vmcnt(3)
	v_bfi_b32 v1, s2, v1, v9
	s_waitcnt vmcnt(2)
	v_bfi_b32 v2, s2, v2, v11
	;; [unrolled: 2-line block ×4, first 2 shown]
	global_store_dword v0, v1, s[0:1]
	global_store_dword v6, v2, s[0:1]
	;; [unrolled: 1-line block ×4, first 2 shown]
	s_endpgm
	.section	.rodata,"a",@progbits
	.p2align	6, 0x0
	.amdhsa_kernel _ZN2at6native32elementwise_kernel_manual_unrollILi128ELi4EZNS0_12_GLOBAL__N_142type_specialized_broadcast_kernel_launcherILi4EE5applyINS0_13BinaryFunctorIfffZZZNS0_20copysign_kernel_cudaERNS_18TensorIteratorBaseEENKUlvE_clEvENKUlvE0_clEvEUlffE_EESt5arrayIPcLm3EESD_IN3c1010ScalarTypeELm3EE16OffsetCalculatorILi3EjLb0EEEEvlT_T0_T1_T2_EUlibE_EEviSN_
		.amdhsa_group_segment_fixed_size 0
		.amdhsa_private_segment_fixed_size 0
		.amdhsa_kernarg_size 432
		.amdhsa_user_sgpr_count 6
		.amdhsa_user_sgpr_private_segment_buffer 1
		.amdhsa_user_sgpr_dispatch_ptr 0
		.amdhsa_user_sgpr_queue_ptr 0
		.amdhsa_user_sgpr_kernarg_segment_ptr 1
		.amdhsa_user_sgpr_dispatch_id 0
		.amdhsa_user_sgpr_flat_scratch_init 0
		.amdhsa_user_sgpr_kernarg_preload_length 0
		.amdhsa_user_sgpr_kernarg_preload_offset 0
		.amdhsa_user_sgpr_private_segment_size 0
		.amdhsa_uses_dynamic_stack 0
		.amdhsa_system_sgpr_private_segment_wavefront_offset 0
		.amdhsa_system_sgpr_workgroup_id_x 1
		.amdhsa_system_sgpr_workgroup_id_y 0
		.amdhsa_system_sgpr_workgroup_id_z 0
		.amdhsa_system_sgpr_workgroup_info 0
		.amdhsa_system_vgpr_workitem_id 0
		.amdhsa_next_free_vgpr 25
		.amdhsa_next_free_sgpr 52
		.amdhsa_accum_offset 28
		.amdhsa_reserve_vcc 1
		.amdhsa_reserve_flat_scratch 0
		.amdhsa_float_round_mode_32 0
		.amdhsa_float_round_mode_16_64 0
		.amdhsa_float_denorm_mode_32 3
		.amdhsa_float_denorm_mode_16_64 3
		.amdhsa_dx10_clamp 1
		.amdhsa_ieee_mode 1
		.amdhsa_fp16_overflow 0
		.amdhsa_tg_split 0
		.amdhsa_exception_fp_ieee_invalid_op 0
		.amdhsa_exception_fp_denorm_src 0
		.amdhsa_exception_fp_ieee_div_zero 0
		.amdhsa_exception_fp_ieee_overflow 0
		.amdhsa_exception_fp_ieee_underflow 0
		.amdhsa_exception_fp_ieee_inexact 0
		.amdhsa_exception_int_div_zero 0
	.end_amdhsa_kernel
	.section	.text._ZN2at6native32elementwise_kernel_manual_unrollILi128ELi4EZNS0_12_GLOBAL__N_142type_specialized_broadcast_kernel_launcherILi4EE5applyINS0_13BinaryFunctorIfffZZZNS0_20copysign_kernel_cudaERNS_18TensorIteratorBaseEENKUlvE_clEvENKUlvE0_clEvEUlffE_EESt5arrayIPcLm3EESD_IN3c1010ScalarTypeELm3EE16OffsetCalculatorILi3EjLb0EEEEvlT_T0_T1_T2_EUlibE_EEviSN_,"axG",@progbits,_ZN2at6native32elementwise_kernel_manual_unrollILi128ELi4EZNS0_12_GLOBAL__N_142type_specialized_broadcast_kernel_launcherILi4EE5applyINS0_13BinaryFunctorIfffZZZNS0_20copysign_kernel_cudaERNS_18TensorIteratorBaseEENKUlvE_clEvENKUlvE0_clEvEUlffE_EESt5arrayIPcLm3EESD_IN3c1010ScalarTypeELm3EE16OffsetCalculatorILi3EjLb0EEEEvlT_T0_T1_T2_EUlibE_EEviSN_,comdat
.Lfunc_end118:
	.size	_ZN2at6native32elementwise_kernel_manual_unrollILi128ELi4EZNS0_12_GLOBAL__N_142type_specialized_broadcast_kernel_launcherILi4EE5applyINS0_13BinaryFunctorIfffZZZNS0_20copysign_kernel_cudaERNS_18TensorIteratorBaseEENKUlvE_clEvENKUlvE0_clEvEUlffE_EESt5arrayIPcLm3EESD_IN3c1010ScalarTypeELm3EE16OffsetCalculatorILi3EjLb0EEEEvlT_T0_T1_T2_EUlibE_EEviSN_, .Lfunc_end118-_ZN2at6native32elementwise_kernel_manual_unrollILi128ELi4EZNS0_12_GLOBAL__N_142type_specialized_broadcast_kernel_launcherILi4EE5applyINS0_13BinaryFunctorIfffZZZNS0_20copysign_kernel_cudaERNS_18TensorIteratorBaseEENKUlvE_clEvENKUlvE0_clEvEUlffE_EESt5arrayIPcLm3EESD_IN3c1010ScalarTypeELm3EE16OffsetCalculatorILi3EjLb0EEEEvlT_T0_T1_T2_EUlibE_EEviSN_
                                        ; -- End function
	.section	.AMDGPU.csdata,"",@progbits
; Kernel info:
; codeLenInByte = 4768
; NumSgprs: 56
; NumVgprs: 25
; NumAgprs: 0
; TotalNumVgprs: 25
; ScratchSize: 0
; MemoryBound: 0
; FloatMode: 240
; IeeeMode: 1
; LDSByteSize: 0 bytes/workgroup (compile time only)
; SGPRBlocks: 6
; VGPRBlocks: 3
; NumSGPRsForWavesPerEU: 56
; NumVGPRsForWavesPerEU: 25
; AccumOffset: 28
; Occupancy: 8
; WaveLimiterHint : 1
; COMPUTE_PGM_RSRC2:SCRATCH_EN: 0
; COMPUTE_PGM_RSRC2:USER_SGPR: 6
; COMPUTE_PGM_RSRC2:TRAP_HANDLER: 0
; COMPUTE_PGM_RSRC2:TGID_X_EN: 1
; COMPUTE_PGM_RSRC2:TGID_Y_EN: 0
; COMPUTE_PGM_RSRC2:TGID_Z_EN: 0
; COMPUTE_PGM_RSRC2:TIDIG_COMP_CNT: 0
; COMPUTE_PGM_RSRC3_GFX90A:ACCUM_OFFSET: 6
; COMPUTE_PGM_RSRC3_GFX90A:TG_SPLIT: 0
	.section	.text._ZN2at6native32elementwise_kernel_manual_unrollILi128ELi4EZNS0_12_GLOBAL__N_142type_specialized_broadcast_kernel_launcherILi5EE5applyINS0_13BinaryFunctorIfffZZZNS0_20copysign_kernel_cudaERNS_18TensorIteratorBaseEENKUlvE_clEvENKUlvE0_clEvEUlffE_EESt5arrayIPcLm3EESD_IN3c1010ScalarTypeELm3EE16OffsetCalculatorILi3EjLb0EEEEvlT_T0_T1_T2_EUlibE_EEviSN_,"axG",@progbits,_ZN2at6native32elementwise_kernel_manual_unrollILi128ELi4EZNS0_12_GLOBAL__N_142type_specialized_broadcast_kernel_launcherILi5EE5applyINS0_13BinaryFunctorIfffZZZNS0_20copysign_kernel_cudaERNS_18TensorIteratorBaseEENKUlvE_clEvENKUlvE0_clEvEUlffE_EESt5arrayIPcLm3EESD_IN3c1010ScalarTypeELm3EE16OffsetCalculatorILi3EjLb0EEEEvlT_T0_T1_T2_EUlibE_EEviSN_,comdat
	.globl	_ZN2at6native32elementwise_kernel_manual_unrollILi128ELi4EZNS0_12_GLOBAL__N_142type_specialized_broadcast_kernel_launcherILi5EE5applyINS0_13BinaryFunctorIfffZZZNS0_20copysign_kernel_cudaERNS_18TensorIteratorBaseEENKUlvE_clEvENKUlvE0_clEvEUlffE_EESt5arrayIPcLm3EESD_IN3c1010ScalarTypeELm3EE16OffsetCalculatorILi3EjLb0EEEEvlT_T0_T1_T2_EUlibE_EEviSN_ ; -- Begin function _ZN2at6native32elementwise_kernel_manual_unrollILi128ELi4EZNS0_12_GLOBAL__N_142type_specialized_broadcast_kernel_launcherILi5EE5applyINS0_13BinaryFunctorIfffZZZNS0_20copysign_kernel_cudaERNS_18TensorIteratorBaseEENKUlvE_clEvENKUlvE0_clEvEUlffE_EESt5arrayIPcLm3EESD_IN3c1010ScalarTypeELm3EE16OffsetCalculatorILi3EjLb0EEEEvlT_T0_T1_T2_EUlibE_EEviSN_
	.p2align	8
	.type	_ZN2at6native32elementwise_kernel_manual_unrollILi128ELi4EZNS0_12_GLOBAL__N_142type_specialized_broadcast_kernel_launcherILi5EE5applyINS0_13BinaryFunctorIfffZZZNS0_20copysign_kernel_cudaERNS_18TensorIteratorBaseEENKUlvE_clEvENKUlvE0_clEvEUlffE_EESt5arrayIPcLm3EESD_IN3c1010ScalarTypeELm3EE16OffsetCalculatorILi3EjLb0EEEEvlT_T0_T1_T2_EUlibE_EEviSN_,@function
_ZN2at6native32elementwise_kernel_manual_unrollILi128ELi4EZNS0_12_GLOBAL__N_142type_specialized_broadcast_kernel_launcherILi5EE5applyINS0_13BinaryFunctorIfffZZZNS0_20copysign_kernel_cudaERNS_18TensorIteratorBaseEENKUlvE_clEvENKUlvE0_clEvEUlffE_EESt5arrayIPcLm3EESD_IN3c1010ScalarTypeELm3EE16OffsetCalculatorILi3EjLb0EEEEvlT_T0_T1_T2_EUlibE_EEviSN_: ; @_ZN2at6native32elementwise_kernel_manual_unrollILi128ELi4EZNS0_12_GLOBAL__N_142type_specialized_broadcast_kernel_launcherILi5EE5applyINS0_13BinaryFunctorIfffZZZNS0_20copysign_kernel_cudaERNS_18TensorIteratorBaseEENKUlvE_clEvENKUlvE0_clEvEUlffE_EESt5arrayIPcLm3EESD_IN3c1010ScalarTypeELm3EE16OffsetCalculatorILi3EjLb0EEEEvlT_T0_T1_T2_EUlibE_EEviSN_
; %bb.0:
	s_load_dword s36, s[4:5], 0x0
	s_load_dword s33, s[4:5], 0x8
	s_or_b32 s4, s4, 8
	v_lshl_or_b32 v12, s6, 9, v0
	v_or_b32_e32 v24, 0x180, v12
	s_waitcnt lgkmcnt(0)
	v_cmp_le_i32_e32 vcc, s36, v24
	s_add_i32 s34, s33, -1
	s_cmp_gt_u32 s34, 1
	s_cselect_b64 s[6:7], -1, 0
	s_mov_b64 s[8:9], 0
                                        ; implicit-def: $vgpr2_vgpr3
                                        ; implicit-def: $vgpr0
	s_and_saveexec_b64 s[0:1], vcc
	s_xor_b64 s[16:17], exec, s[0:1]
	s_cbranch_execnz .LBB119_4
; %bb.1:
	s_andn2_saveexec_b64 s[10:11], s[16:17]
	s_cbranch_execnz .LBB119_53
.LBB119_2:
	s_or_b64 exec, exec, s[10:11]
	s_and_saveexec_b64 s[0:1], s[8:9]
	s_cbranch_execnz .LBB119_94
.LBB119_3:
	s_endpgm
.LBB119_4:
	s_load_dwordx4 s[12:15], s[4:5], 0x4
	s_load_dwordx2 s[22:23], s[4:5], 0x14
	s_load_dwordx4 s[8:11], s[4:5], 0xc4
	s_load_dwordx2 s[20:21], s[4:5], 0xd4
	s_load_dwordx2 s[18:19], s[4:5], 0x198
	s_load_dwordx4 s[0:3], s[4:5], 0x188
	s_cmp_lg_u32 s33, 0
	s_cselect_b64 s[26:27], -1, 0
	s_min_u32 s35, s34, 15
	s_cmp_gt_u32 s33, 1
	s_cselect_b64 s[24:25], -1, 0
	v_cmp_gt_i32_e32 vcc, s36, v12
	s_and_saveexec_b64 s[28:29], vcc
	s_cbranch_execnz .LBB119_7
; %bb.5:
	s_or_b64 exec, exec, s[28:29]
	v_cmp_gt_i32_e32 vcc, s36, v12
	s_and_saveexec_b64 s[28:29], vcc
	s_cbranch_execnz .LBB119_18
.LBB119_6:
	s_or_b64 exec, exec, s[28:29]
	v_cmp_gt_i32_e32 vcc, s36, v12
	s_and_saveexec_b64 s[28:29], vcc
	s_cbranch_execnz .LBB119_29
	s_branch .LBB119_40
.LBB119_7:
	s_andn2_b64 vcc, exec, s[6:7]
	s_cbranch_vccnz .LBB119_14
; %bb.8:
	s_andn2_b64 vcc, exec, s[26:27]
	v_mov_b32_e32 v2, 0
	v_mov_b32_e32 v4, 0
	;; [unrolled: 1-line block ×3, first 2 shown]
	s_cbranch_vccnz .LBB119_13
; %bb.9:
	s_add_i32 s30, s35, 1
	s_and_b32 s37, s30, 30
	s_add_u32 s30, s4, 0xffffffec
	s_addc_u32 s31, s5, -1
	v_mov_b32_e32 v0, 0
	v_mov_b32_e32 v1, v12
	;; [unrolled: 1-line block ×4, first 2 shown]
.LBB119_10:                             ; =>This Inner Loop Header: Depth=1
	s_mov_b64 s[38:39], s[30:31]
	s_load_dwordx4 s[40:43], s[38:39], 0x18
	s_load_dwordx2 s[48:49], s[38:39], 0x28
	s_load_dwordx2 s[50:51], s[38:39], 0xe8
	s_load_dwordx4 s[44:47], s[38:39], 0xd8
	s_add_u32 s30, s38, 24
	s_waitcnt lgkmcnt(0)
	v_mul_hi_u32 v3, s41, v1
	v_add_u32_e32 v3, v1, v3
	v_lshrrev_b32_e32 v3, s42, v3
	v_mul_lo_u32 v5, v3, s40
	v_mul_hi_u32 v6, s48, v3
	v_sub_u32_e32 v1, v1, v5
	v_add_u32_e32 v5, v3, v6
	v_mul_lo_u32 v6, v1, s44
	v_mul_lo_u32 v7, v1, s45
	;; [unrolled: 1-line block ×3, first 2 shown]
	v_lshrrev_b32_e32 v1, s49, v5
	v_mul_lo_u32 v5, v1, s43
	v_sub_u32_e32 v3, v3, v5
	s_addc_u32 s31, s39, 0
	s_add_i32 s37, s37, -2
	v_mul_lo_u32 v5, v3, s47
	v_mul_lo_u32 v9, v3, s50
	;; [unrolled: 1-line block ×3, first 2 shown]
	s_cmp_lg_u32 s37, 0
	v_add3_u32 v0, v6, v0, v5
	v_add3_u32 v2, v8, v2, v3
	v_add3_u32 v4, v7, v4, v9
	s_cbranch_scc1 .LBB119_10
; %bb.11:
	s_bitcmp1_b32 s35, 0
	s_cselect_b64 s[38:39], -1, 0
	s_and_b64 vcc, exec, s[38:39]
	s_cbranch_vccnz .LBB119_13
; %bb.12:
	s_load_dwordx2 s[38:39], s[30:31], 0x18
	s_load_dword s37, s[30:31], 0x20
	s_load_dword s42, s[30:31], 0xe0
	s_load_dwordx2 s[40:41], s[30:31], 0xd8
	s_waitcnt lgkmcnt(0)
	v_mul_hi_u32 v3, s39, v1
	v_add_u32_e32 v3, v1, v3
	v_lshrrev_b32_e32 v3, s37, v3
	v_mul_lo_u32 v3, v3, s38
	v_sub_u32_e32 v3, v1, v3
	v_mad_u64_u32 v[0:1], s[30:31], v3, s40, v[0:1]
	v_mad_u64_u32 v[4:5], s[30:31], v3, s41, v[4:5]
	;; [unrolled: 1-line block ×3, first 2 shown]
.LBB119_13:
	s_cbranch_execz .LBB119_15
	s_branch .LBB119_17
.LBB119_14:
                                        ; implicit-def: $vgpr2
                                        ; implicit-def: $vgpr4
                                        ; implicit-def: $vgpr0
.LBB119_15:
	s_waitcnt lgkmcnt(0)
	v_mul_hi_u32 v0, s13, v12
	v_add_u32_e32 v0, v12, v0
	v_lshrrev_b32_e32 v1, s14, v0
	v_mul_lo_u32 v0, v1, s12
	v_sub_u32_e32 v3, v12, v0
	v_mul_lo_u32 v0, v3, s8
	v_mul_lo_u32 v2, v3, s10
	s_andn2_b64 vcc, exec, s[24:25]
	v_mul_lo_u32 v4, v3, s9
	s_cbranch_vccnz .LBB119_17
; %bb.16:
	v_mul_hi_u32 v3, s22, v1
	v_add_u32_e32 v3, v1, v3
	v_lshrrev_b32_e32 v3, s23, v3
	v_mul_lo_u32 v3, v3, s15
	v_sub_u32_e32 v3, v1, v3
	v_mad_u64_u32 v[0:1], s[30:31], v3, s11, v[0:1]
	v_mad_u64_u32 v[4:5], s[30:31], v3, s20, v[4:5]
	;; [unrolled: 1-line block ×3, first 2 shown]
.LBB119_17:
	s_waitcnt lgkmcnt(0)
	global_load_dword v1, v2, s[18:19]
	global_load_ushort v3, v4, s[2:3]
	s_movk_i32 s30, 0x7fff
	v_add_u32_e32 v12, 0x80, v12
	s_waitcnt vmcnt(1)
	v_lshrrev_b32_e32 v1, 16, v1
	s_waitcnt vmcnt(0)
	v_bfi_b32 v1, s30, v3, v1
	global_store_short v0, v1, s[0:1]
	s_or_b64 exec, exec, s[28:29]
	v_cmp_gt_i32_e32 vcc, s36, v12
	s_and_saveexec_b64 s[28:29], vcc
	s_cbranch_execz .LBB119_6
.LBB119_18:
	s_andn2_b64 vcc, exec, s[6:7]
	s_cbranch_vccnz .LBB119_25
; %bb.19:
	s_andn2_b64 vcc, exec, s[26:27]
	v_mov_b32_e32 v2, 0
	v_mov_b32_e32 v4, 0
	v_mov_b32_e32 v0, 0
	s_cbranch_vccnz .LBB119_24
; %bb.20:
	s_add_i32 s30, s35, 1
	s_and_b32 s37, s30, 30
	s_add_u32 s30, s4, 0xffffffec
	s_addc_u32 s31, s5, -1
	v_mov_b32_e32 v0, 0
	v_mov_b32_e32 v1, v12
	;; [unrolled: 1-line block ×4, first 2 shown]
.LBB119_21:                             ; =>This Inner Loop Header: Depth=1
	s_mov_b64 s[38:39], s[30:31]
	s_load_dwordx4 s[40:43], s[38:39], 0x18
	s_load_dwordx2 s[48:49], s[38:39], 0x28
	s_load_dwordx2 s[50:51], s[38:39], 0xe8
	s_load_dwordx4 s[44:47], s[38:39], 0xd8
	s_add_u32 s30, s38, 24
	s_waitcnt lgkmcnt(0)
	v_mul_hi_u32 v3, s41, v1
	v_add_u32_e32 v3, v1, v3
	v_lshrrev_b32_e32 v3, s42, v3
	v_mul_lo_u32 v5, v3, s40
	v_mul_hi_u32 v6, s48, v3
	v_sub_u32_e32 v1, v1, v5
	v_add_u32_e32 v5, v3, v6
	v_mul_lo_u32 v6, v1, s44
	v_mul_lo_u32 v7, v1, s45
	;; [unrolled: 1-line block ×3, first 2 shown]
	v_lshrrev_b32_e32 v1, s49, v5
	v_mul_lo_u32 v5, v1, s43
	v_sub_u32_e32 v3, v3, v5
	s_addc_u32 s31, s39, 0
	s_add_i32 s37, s37, -2
	v_mul_lo_u32 v5, v3, s47
	v_mul_lo_u32 v9, v3, s50
	;; [unrolled: 1-line block ×3, first 2 shown]
	s_cmp_eq_u32 s37, 0
	v_add3_u32 v0, v6, v0, v5
	v_add3_u32 v2, v8, v2, v3
	;; [unrolled: 1-line block ×3, first 2 shown]
	s_cbranch_scc0 .LBB119_21
; %bb.22:
	s_bitcmp1_b32 s35, 0
	s_cselect_b64 s[38:39], -1, 0
	s_and_b64 vcc, exec, s[38:39]
	s_cbranch_vccnz .LBB119_24
; %bb.23:
	s_load_dwordx2 s[38:39], s[30:31], 0x18
	s_load_dword s37, s[30:31], 0x20
	s_load_dword s42, s[30:31], 0xe0
	s_load_dwordx2 s[40:41], s[30:31], 0xd8
	s_waitcnt lgkmcnt(0)
	v_mul_hi_u32 v3, s39, v1
	v_add_u32_e32 v3, v1, v3
	v_lshrrev_b32_e32 v3, s37, v3
	v_mul_lo_u32 v3, v3, s38
	v_sub_u32_e32 v3, v1, v3
	v_mad_u64_u32 v[0:1], s[30:31], v3, s40, v[0:1]
	v_mad_u64_u32 v[4:5], s[30:31], v3, s41, v[4:5]
	;; [unrolled: 1-line block ×3, first 2 shown]
.LBB119_24:
	s_cbranch_execz .LBB119_26
	s_branch .LBB119_28
.LBB119_25:
                                        ; implicit-def: $vgpr2
                                        ; implicit-def: $vgpr4
                                        ; implicit-def: $vgpr0
.LBB119_26:
	s_waitcnt lgkmcnt(0)
	v_mul_hi_u32 v0, s13, v12
	v_add_u32_e32 v0, v12, v0
	v_lshrrev_b32_e32 v1, s14, v0
	v_mul_lo_u32 v0, v1, s12
	v_sub_u32_e32 v3, v12, v0
	v_mul_lo_u32 v0, v3, s8
	v_mul_lo_u32 v2, v3, s10
	s_andn2_b64 vcc, exec, s[24:25]
	v_mul_lo_u32 v4, v3, s9
	s_cbranch_vccnz .LBB119_28
; %bb.27:
	v_mul_hi_u32 v3, s22, v1
	v_add_u32_e32 v3, v1, v3
	v_lshrrev_b32_e32 v3, s23, v3
	v_mul_lo_u32 v3, v3, s15
	v_sub_u32_e32 v3, v1, v3
	v_mad_u64_u32 v[0:1], s[30:31], v3, s11, v[0:1]
	v_mad_u64_u32 v[4:5], s[30:31], v3, s20, v[4:5]
	;; [unrolled: 1-line block ×3, first 2 shown]
.LBB119_28:
	s_waitcnt lgkmcnt(0)
	global_load_dword v1, v2, s[18:19]
	global_load_ushort v3, v4, s[2:3]
	s_movk_i32 s30, 0x7fff
	v_add_u32_e32 v12, 0x80, v12
	s_waitcnt vmcnt(1)
	v_lshrrev_b32_e32 v1, 16, v1
	s_waitcnt vmcnt(0)
	v_bfi_b32 v1, s30, v3, v1
	global_store_short v0, v1, s[0:1]
	s_or_b64 exec, exec, s[28:29]
	v_cmp_gt_i32_e32 vcc, s36, v12
	s_and_saveexec_b64 s[28:29], vcc
	s_cbranch_execz .LBB119_40
.LBB119_29:
	s_andn2_b64 vcc, exec, s[6:7]
	s_cbranch_vccnz .LBB119_36
; %bb.30:
	s_andn2_b64 vcc, exec, s[26:27]
	v_mov_b32_e32 v2, 0
	v_mov_b32_e32 v4, 0
	v_mov_b32_e32 v0, 0
	s_cbranch_vccnz .LBB119_35
; %bb.31:
	s_add_i32 s30, s35, 1
	s_and_b32 s37, s30, 30
	s_add_u32 s30, s4, 0xffffffec
	s_addc_u32 s31, s5, -1
	v_mov_b32_e32 v0, 0
	v_mov_b32_e32 v1, v12
	;; [unrolled: 1-line block ×4, first 2 shown]
.LBB119_32:                             ; =>This Inner Loop Header: Depth=1
	s_mov_b64 s[38:39], s[30:31]
	s_load_dwordx4 s[40:43], s[38:39], 0x18
	s_load_dwordx2 s[48:49], s[38:39], 0x28
	s_load_dwordx2 s[50:51], s[38:39], 0xe8
	s_load_dwordx4 s[44:47], s[38:39], 0xd8
	s_add_u32 s30, s38, 24
	s_waitcnt lgkmcnt(0)
	v_mul_hi_u32 v3, s41, v1
	v_add_u32_e32 v3, v1, v3
	v_lshrrev_b32_e32 v3, s42, v3
	v_mul_lo_u32 v5, v3, s40
	v_mul_hi_u32 v6, s48, v3
	v_sub_u32_e32 v1, v1, v5
	v_add_u32_e32 v5, v3, v6
	v_mul_lo_u32 v6, v1, s44
	v_mul_lo_u32 v7, v1, s45
	;; [unrolled: 1-line block ×3, first 2 shown]
	v_lshrrev_b32_e32 v1, s49, v5
	v_mul_lo_u32 v5, v1, s43
	v_sub_u32_e32 v3, v3, v5
	s_addc_u32 s31, s39, 0
	s_add_i32 s37, s37, -2
	v_mul_lo_u32 v5, v3, s47
	v_mul_lo_u32 v9, v3, s50
	;; [unrolled: 1-line block ×3, first 2 shown]
	s_cmp_eq_u32 s37, 0
	v_add3_u32 v0, v6, v0, v5
	v_add3_u32 v2, v8, v2, v3
	;; [unrolled: 1-line block ×3, first 2 shown]
	s_cbranch_scc0 .LBB119_32
; %bb.33:
	s_bitcmp1_b32 s35, 0
	s_cselect_b64 s[38:39], -1, 0
	s_and_b64 vcc, exec, s[38:39]
	s_cbranch_vccnz .LBB119_35
; %bb.34:
	s_load_dwordx2 s[38:39], s[30:31], 0x18
	s_load_dword s37, s[30:31], 0x20
	s_load_dword s42, s[30:31], 0xe0
	s_load_dwordx2 s[40:41], s[30:31], 0xd8
	s_waitcnt lgkmcnt(0)
	v_mul_hi_u32 v3, s39, v1
	v_add_u32_e32 v3, v1, v3
	v_lshrrev_b32_e32 v3, s37, v3
	v_mul_lo_u32 v3, v3, s38
	v_sub_u32_e32 v3, v1, v3
	v_mad_u64_u32 v[0:1], s[30:31], v3, s40, v[0:1]
	v_mad_u64_u32 v[4:5], s[30:31], v3, s41, v[4:5]
	;; [unrolled: 1-line block ×3, first 2 shown]
.LBB119_35:
	s_cbranch_execz .LBB119_37
	s_branch .LBB119_39
.LBB119_36:
                                        ; implicit-def: $vgpr2
                                        ; implicit-def: $vgpr4
                                        ; implicit-def: $vgpr0
.LBB119_37:
	s_waitcnt lgkmcnt(0)
	v_mul_hi_u32 v0, s13, v12
	v_add_u32_e32 v0, v12, v0
	v_lshrrev_b32_e32 v1, s14, v0
	v_mul_lo_u32 v0, v1, s12
	v_sub_u32_e32 v3, v12, v0
	v_mul_lo_u32 v0, v3, s8
	v_mul_lo_u32 v2, v3, s10
	s_andn2_b64 vcc, exec, s[24:25]
	v_mul_lo_u32 v4, v3, s9
	s_cbranch_vccnz .LBB119_39
; %bb.38:
	v_mul_hi_u32 v3, s22, v1
	v_add_u32_e32 v3, v1, v3
	v_lshrrev_b32_e32 v3, s23, v3
	v_mul_lo_u32 v3, v3, s15
	v_sub_u32_e32 v3, v1, v3
	v_mad_u64_u32 v[0:1], s[30:31], v3, s11, v[0:1]
	v_mad_u64_u32 v[4:5], s[30:31], v3, s20, v[4:5]
	;; [unrolled: 1-line block ×3, first 2 shown]
.LBB119_39:
	s_waitcnt lgkmcnt(0)
	global_load_dword v1, v2, s[18:19]
	global_load_ushort v3, v4, s[2:3]
	s_movk_i32 s30, 0x7fff
	v_add_u32_e32 v12, 0x80, v12
	s_waitcnt vmcnt(1)
	v_lshrrev_b32_e32 v1, 16, v1
	s_waitcnt vmcnt(0)
	v_bfi_b32 v1, s30, v3, v1
	global_store_short v0, v1, s[0:1]
.LBB119_40:
	s_or_b64 exec, exec, s[28:29]
	v_cmp_gt_i32_e32 vcc, s36, v12
	s_mov_b64 s[30:31], 0
                                        ; implicit-def: $vgpr2_vgpr3
                                        ; implicit-def: $vgpr0
	s_and_saveexec_b64 s[28:29], vcc
	s_cbranch_execz .LBB119_52
; %bb.41:
	s_andn2_b64 vcc, exec, s[6:7]
	s_cbranch_vccnz .LBB119_48
; %bb.42:
	s_andn2_b64 vcc, exec, s[26:27]
	v_mov_b32_e32 v2, 0
	v_mov_b32_e32 v4, 0
	v_mov_b32_e32 v0, 0
	s_cbranch_vccnz .LBB119_47
; %bb.43:
	s_add_i32 s26, s35, 1
	s_and_b32 s30, s26, 30
	s_add_u32 s26, s4, 0xffffffec
	s_addc_u32 s27, s5, -1
	v_mov_b32_e32 v0, 0
	v_mov_b32_e32 v1, v12
	;; [unrolled: 1-line block ×4, first 2 shown]
.LBB119_44:                             ; =>This Inner Loop Header: Depth=1
	s_mov_b64 s[44:45], s[26:27]
	s_load_dwordx4 s[36:39], s[44:45], 0x18
	s_load_dwordx2 s[46:47], s[44:45], 0x28
	s_load_dwordx2 s[48:49], s[44:45], 0xe8
	s_load_dwordx4 s[40:43], s[44:45], 0xd8
	s_add_u32 s26, s44, 24
	s_waitcnt lgkmcnt(0)
	v_mul_hi_u32 v3, s37, v1
	v_add_u32_e32 v3, v1, v3
	v_lshrrev_b32_e32 v3, s38, v3
	v_mul_lo_u32 v5, v3, s36
	v_mul_hi_u32 v6, s46, v3
	v_sub_u32_e32 v1, v1, v5
	v_add_u32_e32 v5, v3, v6
	v_mul_lo_u32 v6, v1, s40
	v_mul_lo_u32 v7, v1, s41
	;; [unrolled: 1-line block ×3, first 2 shown]
	v_lshrrev_b32_e32 v1, s47, v5
	v_mul_lo_u32 v5, v1, s39
	v_sub_u32_e32 v3, v3, v5
	s_addc_u32 s27, s45, 0
	s_add_i32 s30, s30, -2
	v_mul_lo_u32 v5, v3, s43
	v_mul_lo_u32 v9, v3, s48
	;; [unrolled: 1-line block ×3, first 2 shown]
	s_cmp_eq_u32 s30, 0
	v_add3_u32 v0, v6, v0, v5
	v_add3_u32 v2, v8, v2, v3
	;; [unrolled: 1-line block ×3, first 2 shown]
	s_cbranch_scc0 .LBB119_44
; %bb.45:
	s_bitcmp1_b32 s35, 0
	s_cselect_b64 s[30:31], -1, 0
	s_and_b64 vcc, exec, s[30:31]
	s_cbranch_vccnz .LBB119_47
; %bb.46:
	s_load_dwordx2 s[30:31], s[26:27], 0x18
	s_load_dword s35, s[26:27], 0x20
	s_load_dword s38, s[26:27], 0xe0
	s_load_dwordx2 s[36:37], s[26:27], 0xd8
	s_waitcnt lgkmcnt(0)
	v_mul_hi_u32 v3, s31, v1
	v_add_u32_e32 v3, v1, v3
	v_lshrrev_b32_e32 v3, s35, v3
	v_mul_lo_u32 v3, v3, s30
	v_sub_u32_e32 v3, v1, v3
	v_mad_u64_u32 v[0:1], s[26:27], v3, s36, v[0:1]
	v_mad_u64_u32 v[4:5], s[26:27], v3, s37, v[4:5]
	;; [unrolled: 1-line block ×3, first 2 shown]
.LBB119_47:
	s_cbranch_execz .LBB119_49
	s_branch .LBB119_51
.LBB119_48:
                                        ; implicit-def: $vgpr2
                                        ; implicit-def: $vgpr4
                                        ; implicit-def: $vgpr0
.LBB119_49:
	s_waitcnt lgkmcnt(0)
	v_mul_hi_u32 v0, s13, v12
	v_add_u32_e32 v0, v12, v0
	v_lshrrev_b32_e32 v1, s14, v0
	v_mul_lo_u32 v0, v1, s12
	v_sub_u32_e32 v3, v12, v0
	v_mul_lo_u32 v0, v3, s8
	v_mul_lo_u32 v2, v3, s10
	s_andn2_b64 vcc, exec, s[24:25]
	v_mul_lo_u32 v4, v3, s9
	s_cbranch_vccnz .LBB119_51
; %bb.50:
	v_mul_hi_u32 v3, s22, v1
	v_add_u32_e32 v3, v1, v3
	v_lshrrev_b32_e32 v3, s23, v3
	v_mul_lo_u32 v3, v3, s15
	v_sub_u32_e32 v3, v1, v3
	v_mad_u64_u32 v[0:1], s[8:9], v3, s11, v[0:1]
	v_mad_u64_u32 v[4:5], s[8:9], v3, s20, v[4:5]
	;; [unrolled: 1-line block ×3, first 2 shown]
.LBB119_51:
	s_waitcnt lgkmcnt(0)
	global_load_ushort v1, v4, s[2:3]
	global_load_dword v5, v2, s[18:19]
	v_mov_b32_e32 v3, s1
	v_add_co_u32_e32 v2, vcc, s0, v0
	s_brev_b32 s0, -2
	s_mov_b64 s[30:31], exec
	v_addc_co_u32_e32 v3, vcc, 0, v3, vcc
	s_waitcnt vmcnt(1)
	v_cvt_f32_f16_e32 v1, v1
	s_waitcnt vmcnt(0)
	v_bfi_b32 v0, s0, v1, v5
.LBB119_52:
	s_or_b64 exec, exec, s[28:29]
	s_waitcnt lgkmcnt(0)
	s_and_b64 s[8:9], s[30:31], exec
                                        ; implicit-def: $vgpr24
                                        ; implicit-def: $vgpr12
	s_andn2_saveexec_b64 s[10:11], s[16:17]
	s_cbranch_execz .LBB119_2
.LBB119_53:
	v_cndmask_b32_e64 v0, 0, 1, s[6:7]
	v_cmp_ne_u32_e64 s[0:1], 1, v0
	s_andn2_b64 vcc, exec, s[6:7]
	s_cbranch_vccnz .LBB119_59
; %bb.54:
	s_cmp_lg_u32 s33, 0
	v_mov_b32_e32 v2, 0
	v_mov_b32_e32 v4, 0
	;; [unrolled: 1-line block ×3, first 2 shown]
	s_cbranch_scc0 .LBB119_60
; %bb.55:
	s_min_u32 s6, s34, 15
	s_add_i32 s2, s6, 1
	s_and_b32 s7, s2, 30
	s_add_u32 s2, s4, 0xffffffec
	s_addc_u32 s3, s5, -1
	v_mov_b32_e32 v0, 0
	v_mov_b32_e32 v1, v12
	;; [unrolled: 1-line block ×4, first 2 shown]
.LBB119_56:                             ; =>This Inner Loop Header: Depth=1
	s_mov_b64 s[20:21], s[2:3]
	s_load_dwordx4 s[12:15], s[20:21], 0x18
	s_load_dwordx2 s[22:23], s[20:21], 0x28
	s_load_dwordx2 s[24:25], s[20:21], 0xe8
	s_load_dwordx4 s[16:19], s[20:21], 0xd8
	s_add_u32 s2, s20, 24
	s_waitcnt lgkmcnt(0)
	v_mul_hi_u32 v3, s13, v1
	v_add_u32_e32 v3, v1, v3
	v_lshrrev_b32_e32 v3, s14, v3
	v_mul_lo_u32 v5, v3, s12
	v_mul_hi_u32 v6, s22, v3
	v_sub_u32_e32 v1, v1, v5
	v_add_u32_e32 v5, v3, v6
	v_mul_lo_u32 v6, v1, s16
	v_mul_lo_u32 v7, v1, s17
	;; [unrolled: 1-line block ×3, first 2 shown]
	v_lshrrev_b32_e32 v1, s23, v5
	v_mul_lo_u32 v5, v1, s15
	v_sub_u32_e32 v3, v3, v5
	s_addc_u32 s3, s21, 0
	s_add_i32 s7, s7, -2
	v_mul_lo_u32 v5, v3, s19
	v_mul_lo_u32 v9, v3, s24
	;; [unrolled: 1-line block ×3, first 2 shown]
	s_cmp_lg_u32 s7, 0
	v_add3_u32 v0, v6, v0, v5
	v_add3_u32 v2, v8, v2, v3
	;; [unrolled: 1-line block ×3, first 2 shown]
	s_cbranch_scc1 .LBB119_56
; %bb.57:
	s_bitcmp1_b32 s6, 0
	s_cselect_b64 s[6:7], -1, 0
	s_and_b64 vcc, exec, s[6:7]
	s_cbranch_vccnz .LBB119_60
; %bb.58:
	s_load_dwordx2 s[6:7], s[2:3], 0x18
	s_load_dword s14, s[2:3], 0x20
	s_load_dword s15, s[2:3], 0xe0
	s_load_dwordx2 s[12:13], s[2:3], 0xd8
	s_waitcnt lgkmcnt(0)
	v_mul_hi_u32 v3, s7, v1
	v_add_u32_e32 v3, v1, v3
	v_lshrrev_b32_e32 v3, s14, v3
	v_mul_lo_u32 v3, v3, s6
	v_sub_u32_e32 v3, v1, v3
	v_mad_u64_u32 v[0:1], s[2:3], v3, s12, v[0:1]
	v_mad_u64_u32 v[4:5], s[2:3], v3, s13, v[4:5]
	;; [unrolled: 1-line block ×3, first 2 shown]
	s_cbranch_execz .LBB119_61
	s_branch .LBB119_63
.LBB119_59:
                                        ; implicit-def: $vgpr2
                                        ; implicit-def: $vgpr4
                                        ; implicit-def: $vgpr0
	s_branch .LBB119_61
.LBB119_60:
	s_cbranch_execnz .LBB119_63
.LBB119_61:
	s_load_dwordx4 s[12:15], s[4:5], 0x4
	s_load_dwordx4 s[16:19], s[4:5], 0xc4
	s_cmp_lt_u32 s33, 2
	s_waitcnt lgkmcnt(0)
	v_mul_hi_u32 v0, s13, v12
	v_add_u32_e32 v0, v12, v0
	v_lshrrev_b32_e32 v1, s14, v0
	v_mul_lo_u32 v0, v1, s12
	v_sub_u32_e32 v3, v12, v0
	v_mul_lo_u32 v0, v3, s16
	v_mul_lo_u32 v2, v3, s18
	;; [unrolled: 1-line block ×3, first 2 shown]
	s_cbranch_scc1 .LBB119_63
; %bb.62:
	s_load_dwordx4 s[12:15], s[4:5], 0x10
	s_load_dwordx4 s[16:19], s[4:5], 0xd0
	s_waitcnt lgkmcnt(0)
	v_mul_hi_u32 v3, s13, v1
	v_add_u32_e32 v3, v1, v3
	v_lshrrev_b32_e32 v3, s14, v3
	v_mul_lo_u32 v3, v3, s12
	v_sub_u32_e32 v3, v1, v3
	v_mad_u64_u32 v[0:1], s[2:3], v3, s16, v[0:1]
	v_mad_u64_u32 v[4:5], s[2:3], v3, s17, v[4:5]
	;; [unrolled: 1-line block ×3, first 2 shown]
.LBB119_63:
	s_and_b64 vcc, exec, s[0:1]
	v_add_u32_e32 v1, 0x80, v12
	s_cbranch_vccnz .LBB119_69
; %bb.64:
	s_cmp_lg_u32 s33, 0
	v_mov_b32_e32 v10, 0
	v_mov_b32_e32 v8, 0
	;; [unrolled: 1-line block ×3, first 2 shown]
	s_cbranch_scc0 .LBB119_70
; %bb.65:
	s_min_u32 s6, s34, 15
	s_add_i32 s2, s6, 1
	s_and_b32 s7, s2, 30
	s_add_u32 s2, s4, 0xffffffec
	s_addc_u32 s3, s5, -1
	v_mov_b32_e32 v6, 0
	v_mov_b32_e32 v3, v1
	;; [unrolled: 1-line block ×4, first 2 shown]
.LBB119_66:                             ; =>This Inner Loop Header: Depth=1
	s_mov_b64 s[20:21], s[2:3]
	s_load_dwordx4 s[12:15], s[20:21], 0x18
	s_load_dwordx2 s[22:23], s[20:21], 0x28
	s_load_dwordx2 s[24:25], s[20:21], 0xe8
	s_load_dwordx4 s[16:19], s[20:21], 0xd8
	s_add_u32 s2, s20, 24
	s_waitcnt lgkmcnt(0)
	v_mul_hi_u32 v5, s13, v3
	v_add_u32_e32 v5, v3, v5
	v_lshrrev_b32_e32 v5, s14, v5
	v_mul_lo_u32 v7, v5, s12
	v_mul_hi_u32 v9, s22, v5
	v_sub_u32_e32 v3, v3, v7
	v_add_u32_e32 v7, v5, v9
	v_mul_lo_u32 v9, v3, s16
	v_mul_lo_u32 v11, v3, s17
	;; [unrolled: 1-line block ×3, first 2 shown]
	v_lshrrev_b32_e32 v3, s23, v7
	v_mul_lo_u32 v7, v3, s15
	v_sub_u32_e32 v5, v5, v7
	s_addc_u32 s3, s21, 0
	s_add_i32 s7, s7, -2
	v_mul_lo_u32 v7, v5, s19
	v_mul_lo_u32 v14, v5, s24
	;; [unrolled: 1-line block ×3, first 2 shown]
	s_cmp_lg_u32 s7, 0
	v_add3_u32 v6, v9, v6, v7
	v_add3_u32 v10, v13, v10, v5
	;; [unrolled: 1-line block ×3, first 2 shown]
	s_cbranch_scc1 .LBB119_66
; %bb.67:
	s_bitcmp1_b32 s6, 0
	s_cselect_b64 s[6:7], -1, 0
	s_and_b64 vcc, exec, s[6:7]
	s_cbranch_vccnz .LBB119_70
; %bb.68:
	s_load_dwordx2 s[6:7], s[2:3], 0x18
	s_load_dword s14, s[2:3], 0x20
	s_load_dword s15, s[2:3], 0xe0
	s_load_dwordx2 s[12:13], s[2:3], 0xd8
	s_waitcnt lgkmcnt(0)
	v_mul_hi_u32 v5, s7, v3
	v_add_u32_e32 v5, v3, v5
	v_lshrrev_b32_e32 v5, s14, v5
	v_mul_lo_u32 v5, v5, s6
	v_sub_u32_e32 v3, v3, v5
	v_mad_u64_u32 v[6:7], s[2:3], v3, s12, v[6:7]
	v_mad_u64_u32 v[8:9], s[2:3], v3, s13, v[8:9]
	;; [unrolled: 1-line block ×3, first 2 shown]
	s_cbranch_execz .LBB119_71
	s_branch .LBB119_73
.LBB119_69:
                                        ; implicit-def: $vgpr10
                                        ; implicit-def: $vgpr8
                                        ; implicit-def: $vgpr6
	s_branch .LBB119_71
.LBB119_70:
	s_cbranch_execnz .LBB119_73
.LBB119_71:
	s_load_dwordx4 s[12:15], s[4:5], 0x4
	s_load_dwordx4 s[16:19], s[4:5], 0xc4
	s_cmp_lt_u32 s33, 2
	s_waitcnt lgkmcnt(0)
	v_mul_hi_u32 v3, s13, v1
	v_add_u32_e32 v3, v1, v3
	v_lshrrev_b32_e32 v3, s14, v3
	v_mul_lo_u32 v5, v3, s12
	v_sub_u32_e32 v1, v1, v5
	v_mul_lo_u32 v6, v1, s16
	v_mul_lo_u32 v10, v1, s18
	v_mul_lo_u32 v8, v1, s17
	s_cbranch_scc1 .LBB119_73
; %bb.72:
	s_load_dwordx4 s[12:15], s[4:5], 0x10
	s_load_dwordx4 s[16:19], s[4:5], 0xd0
	s_waitcnt lgkmcnt(0)
	v_mul_hi_u32 v1, s13, v3
	v_add_u32_e32 v1, v3, v1
	v_lshrrev_b32_e32 v1, s14, v1
	v_mul_lo_u32 v1, v1, s12
	v_sub_u32_e32 v1, v3, v1
	v_mad_u64_u32 v[6:7], s[2:3], v1, s16, v[6:7]
	v_mad_u64_u32 v[8:9], s[2:3], v1, s17, v[8:9]
	;; [unrolled: 1-line block ×3, first 2 shown]
.LBB119_73:
	s_and_b64 vcc, exec, s[0:1]
	v_add_u32_e32 v1, 0x100, v12
	s_cbranch_vccnz .LBB119_79
; %bb.74:
	s_cmp_lg_u32 s33, 0
	v_mov_b32_e32 v14, 0
	v_mov_b32_e32 v16, 0
	;; [unrolled: 1-line block ×3, first 2 shown]
	s_cbranch_scc0 .LBB119_80
; %bb.75:
	s_min_u32 s6, s34, 15
	s_add_i32 s2, s6, 1
	s_and_b32 s7, s2, 30
	s_add_u32 s2, s4, 0xffffffec
	s_addc_u32 s3, s5, -1
	v_mov_b32_e32 v12, 0
	v_mov_b32_e32 v3, v1
	;; [unrolled: 1-line block ×4, first 2 shown]
.LBB119_76:                             ; =>This Inner Loop Header: Depth=1
	s_mov_b64 s[20:21], s[2:3]
	s_load_dwordx4 s[12:15], s[20:21], 0x18
	s_load_dwordx2 s[22:23], s[20:21], 0x28
	s_load_dwordx2 s[24:25], s[20:21], 0xe8
	s_load_dwordx4 s[16:19], s[20:21], 0xd8
	s_add_u32 s2, s20, 24
	s_waitcnt lgkmcnt(0)
	v_mul_hi_u32 v5, s13, v3
	v_add_u32_e32 v5, v3, v5
	v_lshrrev_b32_e32 v5, s14, v5
	v_mul_lo_u32 v7, v5, s12
	v_mul_hi_u32 v9, s22, v5
	v_sub_u32_e32 v3, v3, v7
	v_add_u32_e32 v7, v5, v9
	v_mul_lo_u32 v9, v3, s16
	v_mul_lo_u32 v11, v3, s17
	;; [unrolled: 1-line block ×3, first 2 shown]
	v_lshrrev_b32_e32 v3, s23, v7
	v_mul_lo_u32 v7, v3, s15
	v_sub_u32_e32 v5, v5, v7
	s_addc_u32 s3, s21, 0
	s_add_i32 s7, s7, -2
	v_mul_lo_u32 v7, v5, s19
	v_mul_lo_u32 v15, v5, s24
	;; [unrolled: 1-line block ×3, first 2 shown]
	s_cmp_lg_u32 s7, 0
	v_add3_u32 v12, v9, v12, v7
	v_add3_u32 v14, v13, v14, v5
	v_add3_u32 v16, v11, v16, v15
	s_cbranch_scc1 .LBB119_76
; %bb.77:
	s_bitcmp1_b32 s6, 0
	s_cselect_b64 s[6:7], -1, 0
	s_and_b64 vcc, exec, s[6:7]
	s_cbranch_vccnz .LBB119_80
; %bb.78:
	s_load_dwordx2 s[6:7], s[2:3], 0x18
	s_load_dword s14, s[2:3], 0x20
	s_load_dword s15, s[2:3], 0xe0
	s_load_dwordx2 s[12:13], s[2:3], 0xd8
	s_waitcnt lgkmcnt(0)
	v_mul_hi_u32 v5, s7, v3
	v_add_u32_e32 v5, v3, v5
	v_lshrrev_b32_e32 v5, s14, v5
	v_mul_lo_u32 v5, v5, s6
	v_sub_u32_e32 v3, v3, v5
	v_mad_u64_u32 v[12:13], s[2:3], v3, s12, v[12:13]
	v_mad_u64_u32 v[16:17], s[2:3], v3, s13, v[16:17]
	;; [unrolled: 1-line block ×3, first 2 shown]
	s_cbranch_execz .LBB119_81
	s_branch .LBB119_83
.LBB119_79:
                                        ; implicit-def: $vgpr14
                                        ; implicit-def: $vgpr16
                                        ; implicit-def: $vgpr12
	s_branch .LBB119_81
.LBB119_80:
	s_cbranch_execnz .LBB119_83
.LBB119_81:
	s_load_dwordx4 s[12:15], s[4:5], 0x4
	s_load_dwordx4 s[16:19], s[4:5], 0xc4
	s_cmp_lt_u32 s33, 2
	s_waitcnt lgkmcnt(0)
	v_mul_hi_u32 v3, s13, v1
	v_add_u32_e32 v3, v1, v3
	v_lshrrev_b32_e32 v3, s14, v3
	v_mul_lo_u32 v5, v3, s12
	v_sub_u32_e32 v1, v1, v5
	v_mul_lo_u32 v12, v1, s16
	v_mul_lo_u32 v14, v1, s18
	;; [unrolled: 1-line block ×3, first 2 shown]
	s_cbranch_scc1 .LBB119_83
; %bb.82:
	s_load_dwordx4 s[12:15], s[4:5], 0x10
	s_load_dwordx4 s[16:19], s[4:5], 0xd0
	s_waitcnt lgkmcnt(0)
	v_mul_hi_u32 v1, s13, v3
	v_add_u32_e32 v1, v3, v1
	v_lshrrev_b32_e32 v1, s14, v1
	v_mul_lo_u32 v1, v1, s12
	v_sub_u32_e32 v1, v3, v1
	v_mad_u64_u32 v[12:13], s[2:3], v1, s16, v[12:13]
	v_mad_u64_u32 v[16:17], s[2:3], v1, s17, v[16:17]
	;; [unrolled: 1-line block ×3, first 2 shown]
.LBB119_83:
	s_and_b64 vcc, exec, s[0:1]
	s_cbranch_vccnz .LBB119_89
; %bb.84:
	s_cmp_lg_u32 s33, 0
	v_mov_b32_e32 v20, 0
	v_mov_b32_e32 v22, 0
	;; [unrolled: 1-line block ×3, first 2 shown]
	s_cbranch_scc0 .LBB119_90
; %bb.85:
	s_min_u32 s2, s34, 15
	s_add_i32 s0, s2, 1
	s_and_b32 s3, s0, 30
	s_add_u32 s0, s4, 0xffffffec
	s_addc_u32 s1, s5, -1
	v_mov_b32_e32 v18, 0
	v_mov_b32_e32 v1, v24
	;; [unrolled: 1-line block ×4, first 2 shown]
.LBB119_86:                             ; =>This Inner Loop Header: Depth=1
	s_mov_b64 s[6:7], s[0:1]
	s_load_dwordx4 s[12:15], s[6:7], 0x18
	s_load_dwordx2 s[20:21], s[6:7], 0x28
	s_load_dwordx2 s[22:23], s[6:7], 0xe8
	s_load_dwordx4 s[16:19], s[6:7], 0xd8
	s_add_u32 s0, s6, 24
	s_waitcnt lgkmcnt(0)
	v_mul_hi_u32 v3, s13, v1
	v_add_u32_e32 v3, v1, v3
	v_lshrrev_b32_e32 v3, s14, v3
	v_mul_lo_u32 v5, v3, s12
	v_mul_hi_u32 v7, s20, v3
	v_sub_u32_e32 v1, v1, v5
	v_add_u32_e32 v5, v3, v7
	v_mul_lo_u32 v7, v1, s16
	v_mul_lo_u32 v9, v1, s17
	;; [unrolled: 1-line block ×3, first 2 shown]
	v_lshrrev_b32_e32 v1, s21, v5
	v_mul_lo_u32 v5, v1, s15
	v_sub_u32_e32 v3, v3, v5
	s_addc_u32 s1, s7, 0
	s_add_i32 s3, s3, -2
	v_mul_lo_u32 v5, v3, s19
	v_mul_lo_u32 v13, v3, s22
	;; [unrolled: 1-line block ×3, first 2 shown]
	s_cmp_lg_u32 s3, 0
	v_add3_u32 v18, v7, v18, v5
	v_add3_u32 v20, v11, v20, v3
	;; [unrolled: 1-line block ×3, first 2 shown]
	s_cbranch_scc1 .LBB119_86
; %bb.87:
	s_bitcmp1_b32 s2, 0
	s_cselect_b64 s[2:3], -1, 0
	s_and_b64 vcc, exec, s[2:3]
	s_cbranch_vccnz .LBB119_90
; %bb.88:
	s_load_dwordx2 s[2:3], s[0:1], 0x18
	s_load_dword s12, s[0:1], 0x20
	s_load_dword s13, s[0:1], 0xe0
	s_load_dwordx2 s[6:7], s[0:1], 0xd8
	s_waitcnt lgkmcnt(0)
	v_mul_hi_u32 v3, s3, v1
	v_add_u32_e32 v3, v1, v3
	v_lshrrev_b32_e32 v3, s12, v3
	v_mul_lo_u32 v3, v3, s2
	v_sub_u32_e32 v1, v1, v3
	v_mad_u64_u32 v[18:19], s[0:1], v1, s6, v[18:19]
	v_mad_u64_u32 v[22:23], s[0:1], v1, s7, v[22:23]
	;; [unrolled: 1-line block ×3, first 2 shown]
	s_cbranch_execz .LBB119_91
	s_branch .LBB119_93
.LBB119_89:
                                        ; implicit-def: $vgpr20
                                        ; implicit-def: $vgpr22
                                        ; implicit-def: $vgpr18
	s_branch .LBB119_91
.LBB119_90:
	s_cbranch_execnz .LBB119_93
.LBB119_91:
	s_load_dwordx4 s[0:3], s[4:5], 0x4
	s_load_dwordx4 s[12:15], s[4:5], 0xc4
	s_cmp_lt_u32 s33, 2
	s_waitcnt lgkmcnt(0)
	v_mul_hi_u32 v1, s1, v24
	v_add_u32_e32 v1, v24, v1
	v_lshrrev_b32_e32 v1, s2, v1
	v_mul_lo_u32 v3, v1, s0
	v_sub_u32_e32 v3, v24, v3
	v_mul_lo_u32 v18, v3, s12
	v_mul_lo_u32 v20, v3, s14
	;; [unrolled: 1-line block ×3, first 2 shown]
	s_cbranch_scc1 .LBB119_93
; %bb.92:
	s_load_dwordx4 s[0:3], s[4:5], 0x10
	s_load_dwordx4 s[12:15], s[4:5], 0xd0
	s_waitcnt lgkmcnt(0)
	v_mul_hi_u32 v3, s1, v1
	v_add_u32_e32 v3, v1, v3
	v_lshrrev_b32_e32 v3, s2, v3
	v_mul_lo_u32 v3, v3, s0
	v_sub_u32_e32 v1, v1, v3
	v_mad_u64_u32 v[18:19], s[0:1], v1, s12, v[18:19]
	v_mad_u64_u32 v[22:23], s[0:1], v1, s13, v[22:23]
	;; [unrolled: 1-line block ×3, first 2 shown]
.LBB119_93:
	s_load_dwordx4 s[0:3], s[4:5], 0x188
	s_load_dwordx2 s[6:7], s[4:5], 0x198
	s_or_b64 s[8:9], s[8:9], exec
	s_waitcnt lgkmcnt(0)
	global_load_ushort v1, v22, s[2:3]
	global_load_dword v5, v2, s[6:7]
	global_load_dword v7, v10, s[6:7]
	;; [unrolled: 1-line block ×3, first 2 shown]
	global_load_ushort v11, v4, s[2:3]
	global_load_ushort v13, v8, s[2:3]
	global_load_ushort v15, v16, s[2:3]
	global_load_dword v17, v20, s[6:7]
	s_movk_i32 s3, 0x7fff
	s_brev_b32 s2, -2
	v_mov_b32_e32 v3, s1
	v_add_co_u32_e32 v2, vcc, s0, v18
	v_addc_co_u32_e32 v3, vcc, 0, v3, vcc
	s_waitcnt vmcnt(7)
	v_cvt_f32_f16_e32 v1, v1
	s_waitcnt vmcnt(6)
	v_lshrrev_b32_e32 v4, 16, v5
	s_waitcnt vmcnt(5)
	v_lshrrev_b32_e32 v5, 16, v7
	;; [unrolled: 2-line block ×3, first 2 shown]
	s_waitcnt vmcnt(3)
	v_bfi_b32 v4, s3, v11, v4
	s_waitcnt vmcnt(2)
	v_bfi_b32 v5, s3, v13, v5
	;; [unrolled: 2-line block ×3, first 2 shown]
	global_store_short v0, v4, s[0:1]
	global_store_short v6, v5, s[0:1]
	;; [unrolled: 1-line block ×3, first 2 shown]
	s_waitcnt vmcnt(3)
	v_bfi_b32 v0, s2, v1, v17
	s_or_b64 exec, exec, s[10:11]
	s_and_saveexec_b64 s[0:1], s[8:9]
	s_cbranch_execz .LBB119_3
.LBB119_94:
	v_cvt_f16_f32_e32 v0, v0
	global_store_short v[2:3], v0, off
	s_endpgm
	.section	.rodata,"a",@progbits
	.p2align	6, 0x0
	.amdhsa_kernel _ZN2at6native32elementwise_kernel_manual_unrollILi128ELi4EZNS0_12_GLOBAL__N_142type_specialized_broadcast_kernel_launcherILi5EE5applyINS0_13BinaryFunctorIfffZZZNS0_20copysign_kernel_cudaERNS_18TensorIteratorBaseEENKUlvE_clEvENKUlvE0_clEvEUlffE_EESt5arrayIPcLm3EESD_IN3c1010ScalarTypeELm3EE16OffsetCalculatorILi3EjLb0EEEEvlT_T0_T1_T2_EUlibE_EEviSN_
		.amdhsa_group_segment_fixed_size 0
		.amdhsa_private_segment_fixed_size 0
		.amdhsa_kernarg_size 432
		.amdhsa_user_sgpr_count 6
		.amdhsa_user_sgpr_private_segment_buffer 1
		.amdhsa_user_sgpr_dispatch_ptr 0
		.amdhsa_user_sgpr_queue_ptr 0
		.amdhsa_user_sgpr_kernarg_segment_ptr 1
		.amdhsa_user_sgpr_dispatch_id 0
		.amdhsa_user_sgpr_flat_scratch_init 0
		.amdhsa_user_sgpr_kernarg_preload_length 0
		.amdhsa_user_sgpr_kernarg_preload_offset 0
		.amdhsa_user_sgpr_private_segment_size 0
		.amdhsa_uses_dynamic_stack 0
		.amdhsa_system_sgpr_private_segment_wavefront_offset 0
		.amdhsa_system_sgpr_workgroup_id_x 1
		.amdhsa_system_sgpr_workgroup_id_y 0
		.amdhsa_system_sgpr_workgroup_id_z 0
		.amdhsa_system_sgpr_workgroup_info 0
		.amdhsa_system_vgpr_workitem_id 0
		.amdhsa_next_free_vgpr 25
		.amdhsa_next_free_sgpr 52
		.amdhsa_accum_offset 28
		.amdhsa_reserve_vcc 1
		.amdhsa_reserve_flat_scratch 0
		.amdhsa_float_round_mode_32 0
		.amdhsa_float_round_mode_16_64 0
		.amdhsa_float_denorm_mode_32 3
		.amdhsa_float_denorm_mode_16_64 3
		.amdhsa_dx10_clamp 1
		.amdhsa_ieee_mode 1
		.amdhsa_fp16_overflow 0
		.amdhsa_tg_split 0
		.amdhsa_exception_fp_ieee_invalid_op 0
		.amdhsa_exception_fp_denorm_src 0
		.amdhsa_exception_fp_ieee_div_zero 0
		.amdhsa_exception_fp_ieee_overflow 0
		.amdhsa_exception_fp_ieee_underflow 0
		.amdhsa_exception_fp_ieee_inexact 0
		.amdhsa_exception_int_div_zero 0
	.end_amdhsa_kernel
	.section	.text._ZN2at6native32elementwise_kernel_manual_unrollILi128ELi4EZNS0_12_GLOBAL__N_142type_specialized_broadcast_kernel_launcherILi5EE5applyINS0_13BinaryFunctorIfffZZZNS0_20copysign_kernel_cudaERNS_18TensorIteratorBaseEENKUlvE_clEvENKUlvE0_clEvEUlffE_EESt5arrayIPcLm3EESD_IN3c1010ScalarTypeELm3EE16OffsetCalculatorILi3EjLb0EEEEvlT_T0_T1_T2_EUlibE_EEviSN_,"axG",@progbits,_ZN2at6native32elementwise_kernel_manual_unrollILi128ELi4EZNS0_12_GLOBAL__N_142type_specialized_broadcast_kernel_launcherILi5EE5applyINS0_13BinaryFunctorIfffZZZNS0_20copysign_kernel_cudaERNS_18TensorIteratorBaseEENKUlvE_clEvENKUlvE0_clEvEUlffE_EESt5arrayIPcLm3EESD_IN3c1010ScalarTypeELm3EE16OffsetCalculatorILi3EjLb0EEEEvlT_T0_T1_T2_EUlibE_EEviSN_,comdat
.Lfunc_end119:
	.size	_ZN2at6native32elementwise_kernel_manual_unrollILi128ELi4EZNS0_12_GLOBAL__N_142type_specialized_broadcast_kernel_launcherILi5EE5applyINS0_13BinaryFunctorIfffZZZNS0_20copysign_kernel_cudaERNS_18TensorIteratorBaseEENKUlvE_clEvENKUlvE0_clEvEUlffE_EESt5arrayIPcLm3EESD_IN3c1010ScalarTypeELm3EE16OffsetCalculatorILi3EjLb0EEEEvlT_T0_T1_T2_EUlibE_EEviSN_, .Lfunc_end119-_ZN2at6native32elementwise_kernel_manual_unrollILi128ELi4EZNS0_12_GLOBAL__N_142type_specialized_broadcast_kernel_launcherILi5EE5applyINS0_13BinaryFunctorIfffZZZNS0_20copysign_kernel_cudaERNS_18TensorIteratorBaseEENKUlvE_clEvENKUlvE0_clEvEUlffE_EESt5arrayIPcLm3EESD_IN3c1010ScalarTypeELm3EE16OffsetCalculatorILi3EjLb0EEEEvlT_T0_T1_T2_EUlibE_EEviSN_
                                        ; -- End function
	.section	.AMDGPU.csdata,"",@progbits
; Kernel info:
; codeLenInByte = 4828
; NumSgprs: 56
; NumVgprs: 25
; NumAgprs: 0
; TotalNumVgprs: 25
; ScratchSize: 0
; MemoryBound: 0
; FloatMode: 240
; IeeeMode: 1
; LDSByteSize: 0 bytes/workgroup (compile time only)
; SGPRBlocks: 6
; VGPRBlocks: 3
; NumSGPRsForWavesPerEU: 56
; NumVGPRsForWavesPerEU: 25
; AccumOffset: 28
; Occupancy: 8
; WaveLimiterHint : 1
; COMPUTE_PGM_RSRC2:SCRATCH_EN: 0
; COMPUTE_PGM_RSRC2:USER_SGPR: 6
; COMPUTE_PGM_RSRC2:TRAP_HANDLER: 0
; COMPUTE_PGM_RSRC2:TGID_X_EN: 1
; COMPUTE_PGM_RSRC2:TGID_Y_EN: 0
; COMPUTE_PGM_RSRC2:TGID_Z_EN: 0
; COMPUTE_PGM_RSRC2:TIDIG_COMP_CNT: 0
; COMPUTE_PGM_RSRC3_GFX90A:ACCUM_OFFSET: 6
; COMPUTE_PGM_RSRC3_GFX90A:TG_SPLIT: 0
	.section	.text._ZN2at6native32elementwise_kernel_manual_unrollILi128ELi4EZNS0_15gpu_kernel_implINS0_13BinaryFunctorIfffZZZNS0_20copysign_kernel_cudaERNS_18TensorIteratorBaseEENKUlvE_clEvENKUlvE0_clEvEUlffE_EEEEvS5_RKT_EUlibE0_EEviT1_,"axG",@progbits,_ZN2at6native32elementwise_kernel_manual_unrollILi128ELi4EZNS0_15gpu_kernel_implINS0_13BinaryFunctorIfffZZZNS0_20copysign_kernel_cudaERNS_18TensorIteratorBaseEENKUlvE_clEvENKUlvE0_clEvEUlffE_EEEEvS5_RKT_EUlibE0_EEviT1_,comdat
	.globl	_ZN2at6native32elementwise_kernel_manual_unrollILi128ELi4EZNS0_15gpu_kernel_implINS0_13BinaryFunctorIfffZZZNS0_20copysign_kernel_cudaERNS_18TensorIteratorBaseEENKUlvE_clEvENKUlvE0_clEvEUlffE_EEEEvS5_RKT_EUlibE0_EEviT1_ ; -- Begin function _ZN2at6native32elementwise_kernel_manual_unrollILi128ELi4EZNS0_15gpu_kernel_implINS0_13BinaryFunctorIfffZZZNS0_20copysign_kernel_cudaERNS_18TensorIteratorBaseEENKUlvE_clEvENKUlvE0_clEvEUlffE_EEEEvS5_RKT_EUlibE0_EEviT1_
	.p2align	8
	.type	_ZN2at6native32elementwise_kernel_manual_unrollILi128ELi4EZNS0_15gpu_kernel_implINS0_13BinaryFunctorIfffZZZNS0_20copysign_kernel_cudaERNS_18TensorIteratorBaseEENKUlvE_clEvENKUlvE0_clEvEUlffE_EEEEvS5_RKT_EUlibE0_EEviT1_,@function
_ZN2at6native32elementwise_kernel_manual_unrollILi128ELi4EZNS0_15gpu_kernel_implINS0_13BinaryFunctorIfffZZZNS0_20copysign_kernel_cudaERNS_18TensorIteratorBaseEENKUlvE_clEvENKUlvE0_clEvEUlffE_EEEEvS5_RKT_EUlibE0_EEviT1_: ; @_ZN2at6native32elementwise_kernel_manual_unrollILi128ELi4EZNS0_15gpu_kernel_implINS0_13BinaryFunctorIfffZZZNS0_20copysign_kernel_cudaERNS_18TensorIteratorBaseEENKUlvE_clEvENKUlvE0_clEvEUlffE_EEEEvS5_RKT_EUlibE0_EEviT1_
; %bb.0:
	s_load_dword s66, s[4:5], 0x0
	s_load_dword s33, s[4:5], 0x8
	s_or_b32 s2, s4, 8
	v_lshl_or_b32 v8, s6, 9, v0
	v_or_b32_e32 v24, 0x180, v8
	s_mov_b32 s3, s5
	s_waitcnt lgkmcnt(0)
	s_add_i32 s68, s33, -1
	s_cmp_gt_u32 s68, 1
	v_cmp_le_i32_e32 vcc, s66, v24
	s_cselect_b64 s[20:21], -1, 0
	s_mov_b64 s[6:7], 0
	s_mov_b64 s[12:13], 0
	s_and_saveexec_b64 s[0:1], vcc
	s_xor_b64 s[22:23], exec, s[0:1]
	s_cbranch_execz .LBB120_1585
; %bb.1:
	v_mov_b32_e32 v0, 0
	global_load_ushort v6, v0, s[2:3] offset:417
	global_load_sbyte v7, v0, s[2:3] offset:419
	s_load_dwordx4 s[16:19], s[2:3], 0x4
	s_load_dwordx2 s[28:29], s[2:3], 0x14
	s_load_dwordx4 s[12:15], s[2:3], 0xc4
	s_load_dwordx2 s[26:27], s[2:3], 0xd4
	s_load_dwordx2 s[24:25], s[2:3], 0x198
	s_load_dwordx4 s[8:11], s[2:3], 0x188
	s_cmp_lg_u32 s33, 0
	s_cselect_b64 s[34:35], -1, 0
	s_min_u32 s69, s68, 15
	s_cmp_gt_u32 s33, 1
	v_cmp_gt_i32_e32 vcc, s66, v8
	s_mov_b64 s[0:1], -1
	s_mov_b64 s[46:47], 0
	s_mov_b64 s[40:41], 0
	s_mov_b64 s[38:39], 0
	s_cselect_b64 s[30:31], -1, 0
	s_mov_b64 s[36:37], 0
	s_waitcnt vmcnt(1)
	v_lshrrev_b32_e32 v9, 8, v6
	s_and_saveexec_b64 s[42:43], vcc
	s_cbranch_execz .LBB120_393
; %bb.2:
	s_andn2_b64 vcc, exec, s[20:21]
	s_cbranch_vccnz .LBB120_9
; %bb.3:
	s_andn2_b64 vcc, exec, s[34:35]
	v_mov_b32_e32 v2, 0
	v_mov_b32_e32 v4, 0
	;; [unrolled: 1-line block ×3, first 2 shown]
	s_cbranch_vccnz .LBB120_8
; %bb.4:
	s_add_i32 s0, s69, 1
	s_and_b32 s36, s0, 30
	s_add_u32 s0, s2, 0xffffffec
	s_addc_u32 s1, s3, -1
	v_mov_b32_e32 v0, 0
	v_mov_b32_e32 v1, v8
	;; [unrolled: 1-line block ×4, first 2 shown]
.LBB120_5:                              ; =>This Inner Loop Header: Depth=1
	s_mov_b64 s[38:39], s[0:1]
	s_load_dwordx4 s[48:51], s[38:39], 0x18
	s_load_dwordx2 s[40:41], s[38:39], 0x28
	s_load_dwordx2 s[44:45], s[38:39], 0xe8
	s_load_dwordx4 s[52:55], s[38:39], 0xd8
	s_add_u32 s0, s38, 24
	s_waitcnt lgkmcnt(0)
	v_mul_hi_u32 v3, s49, v1
	v_add_u32_e32 v3, v1, v3
	v_lshrrev_b32_e32 v3, s50, v3
	v_mul_lo_u32 v5, v3, s48
	v_mul_hi_u32 v10, s40, v3
	v_sub_u32_e32 v1, v1, v5
	v_add_u32_e32 v5, v3, v10
	v_mul_lo_u32 v10, v1, s52
	v_mul_lo_u32 v11, v1, s53
	;; [unrolled: 1-line block ×3, first 2 shown]
	v_lshrrev_b32_e32 v1, s41, v5
	v_mul_lo_u32 v5, v1, s51
	v_sub_u32_e32 v3, v3, v5
	s_addc_u32 s1, s39, 0
	s_add_i32 s36, s36, -2
	v_mul_lo_u32 v5, v3, s55
	v_mul_lo_u32 v13, v3, s44
	v_mul_lo_u32 v3, v3, s45
	s_cmp_lg_u32 s36, 0
	v_add3_u32 v0, v10, v0, v5
	v_add3_u32 v2, v12, v2, v3
	;; [unrolled: 1-line block ×3, first 2 shown]
	s_cbranch_scc1 .LBB120_5
; %bb.6:
	s_bitcmp1_b32 s69, 0
	s_cselect_b64 s[36:37], -1, 0
	s_and_b64 vcc, exec, s[36:37]
	s_cbranch_vccnz .LBB120_8
; %bb.7:
	s_load_dwordx2 s[36:37], s[0:1], 0x18
	s_load_dword s38, s[0:1], 0x20
	s_load_dword s39, s[0:1], 0xe0
	s_nop 0
	s_load_dwordx2 s[0:1], s[0:1], 0xd8
	s_waitcnt lgkmcnt(0)
	v_mul_hi_u32 v3, s37, v1
	v_add_u32_e32 v3, v1, v3
	v_lshrrev_b32_e32 v3, s38, v3
	v_mul_lo_u32 v3, v3, s36
	v_sub_u32_e32 v3, v1, v3
	v_mad_u64_u32 v[0:1], s[36:37], v3, s0, v[0:1]
	v_mad_u64_u32 v[4:5], s[0:1], v3, s1, v[4:5]
	;; [unrolled: 1-line block ×3, first 2 shown]
.LBB120_8:
	s_cbranch_execz .LBB120_10
	s_branch .LBB120_12
.LBB120_9:
                                        ; implicit-def: $vgpr2
                                        ; implicit-def: $vgpr4
                                        ; implicit-def: $vgpr0
	s_andn2_b64 vcc, exec, s[0:1]
	s_cbranch_vccnz .LBB120_12
.LBB120_10:
	s_waitcnt lgkmcnt(0)
	v_mul_hi_u32 v0, s17, v8
	v_add_u32_e32 v0, v8, v0
	v_lshrrev_b32_e32 v1, s18, v0
	v_mul_lo_u32 v0, v1, s16
	v_sub_u32_e32 v3, v8, v0
	v_mul_lo_u32 v0, v3, s12
	v_mul_lo_u32 v2, v3, s14
	s_andn2_b64 vcc, exec, s[30:31]
	v_mul_lo_u32 v4, v3, s13
	s_cbranch_vccnz .LBB120_12
; %bb.11:
	v_mul_hi_u32 v3, s28, v1
	v_add_u32_e32 v3, v1, v3
	v_lshrrev_b32_e32 v3, s29, v3
	v_mul_lo_u32 v3, v3, s19
	v_sub_u32_e32 v3, v1, v3
	v_mad_u64_u32 v[0:1], s[0:1], v3, s15, v[0:1]
	v_mad_u64_u32 v[4:5], s[0:1], v3, s26, v[4:5]
	v_mad_u64_u32 v[2:3], s[0:1], v3, s27, v[2:3]
.LBB120_12:
	s_waitcnt lgkmcnt(0)
	v_mov_b32_e32 v1, s11
	v_add_co_u32_e32 v4, vcc, s10, v4
	v_addc_co_u32_e32 v5, vcc, 0, v1, vcc
	v_mov_b32_e32 v1, 11
	v_cmp_lt_i16_sdwa s[0:1], v9, v1 src0_sel:BYTE_0 src1_sel:DWORD
	s_and_b64 vcc, exec, s[0:1]
	s_cbranch_vccnz .LBB120_19
; %bb.13:
	v_mov_b32_e32 v1, 25
	v_cmp_gt_i16_sdwa s[0:1], v9, v1 src0_sel:BYTE_0 src1_sel:DWORD
	s_and_b64 vcc, exec, s[0:1]
	s_cbranch_vccz .LBB120_28
; %bb.14:
	v_mov_b32_e32 v1, 28
	v_cmp_gt_i16_sdwa s[0:1], v9, v1 src0_sel:BYTE_0 src1_sel:DWORD
	s_and_b64 vcc, exec, s[0:1]
	s_cbranch_vccz .LBB120_38
	;; [unrolled: 5-line block ×4, first 2 shown]
; %bb.17:
	v_mov_b32_e32 v1, 46
	v_cmp_eq_u16_sdwa s[0:1], v9, v1 src0_sel:BYTE_0 src1_sel:DWORD
	s_mov_b64 s[36:37], 0
	s_and_b64 vcc, exec, s[0:1]
	s_cbranch_vccz .LBB120_47
; %bb.18:
	global_load_dword v1, v[4:5], off
	s_mov_b64 s[0:1], -1
	s_mov_b64 s[40:41], 0
	s_waitcnt vmcnt(0)
	v_lshlrev_b32_e32 v10, 16, v1
	s_branch .LBB120_49
.LBB120_19:
	s_mov_b64 s[40:41], 0
                                        ; implicit-def: $vgpr10
	s_mov_b64 s[0:1], 0
	s_cbranch_execnz .LBB120_115
.LBB120_20:
	s_andn2_b64 vcc, exec, s[0:1]
	s_cbranch_vccnz .LBB120_162
.LBB120_21:
	v_mov_b32_e32 v1, s25
	v_add_co_u32_e32 v2, vcc, s24, v2
	v_addc_co_u32_e32 v3, vcc, 0, v1, vcc
	v_mov_b32_e32 v1, 11
	s_waitcnt vmcnt(0)
	v_cmp_lt_i16_sdwa s[0:1], v7, v1 src0_sel:BYTE_0 src1_sel:DWORD
	s_and_b64 vcc, exec, s[0:1]
	s_cbranch_vccnz .LBB120_29
; %bb.22:
	v_mov_b32_e32 v1, 25
	v_cmp_gt_i16_sdwa s[0:1], v7, v1 src0_sel:BYTE_0 src1_sel:DWORD
	s_and_b64 vcc, exec, s[0:1]
	s_cbranch_vccz .LBB120_39
; %bb.23:
	v_mov_b32_e32 v1, 28
	v_cmp_gt_i16_sdwa s[0:1], v7, v1 src0_sel:BYTE_0 src1_sel:DWORD
	s_and_b64 vcc, exec, s[0:1]
	s_cbranch_vccz .LBB120_42
	;; [unrolled: 5-line block ×4, first 2 shown]
; %bb.26:
	v_mov_b32_e32 v1, 46
	v_cmp_eq_u16_sdwa s[0:1], v7, v1 src0_sel:BYTE_0 src1_sel:DWORD
	s_mov_b64 s[36:37], 0
	s_and_b64 vcc, exec, s[0:1]
	s_cbranch_vccz .LBB120_163
; %bb.27:
	global_load_dword v1, v[2:3], off
	s_mov_b64 s[0:1], -1
	s_mov_b64 s[38:39], 0
	s_waitcnt vmcnt(0)
	v_lshlrev_b32_e32 v1, 16, v1
	s_branch .LBB120_165
.LBB120_28:
	s_mov_b64 s[40:41], 0
	s_mov_b64 s[0:1], 0
                                        ; implicit-def: $vgpr10
	s_cbranch_execnz .LBB120_80
	s_branch .LBB120_114
.LBB120_29:
	s_mov_b64 s[38:39], 0
                                        ; implicit-def: $vgpr1
	s_mov_b64 s[0:1], 0
	s_cbranch_execnz .LBB120_342
.LBB120_30:
	s_andn2_b64 vcc, exec, s[0:1]
	s_cbranch_vccnz .LBB120_390
.LBB120_31:
	s_brev_b32 s0, -2
	s_waitcnt vmcnt(0)
	v_bfi_b32 v2, s0, v10, v1
	v_mov_b32_e32 v1, s9
	v_add_co_u32_e32 v0, vcc, s8, v0
	v_mov_b32_e32 v3, 11
	v_addc_co_u32_e32 v1, vcc, 0, v1, vcc
	v_cmp_lt_i16_sdwa s[0:1], v6, v3 src0_sel:BYTE_0 src1_sel:DWORD
	s_and_b64 vcc, exec, s[0:1]
	s_cbranch_vccnz .LBB120_40
; %bb.32:
	v_mov_b32_e32 v3, 25
	v_cmp_gt_i16_sdwa s[0:1], v6, v3 src0_sel:BYTE_0 src1_sel:DWORD
	s_and_b64 vcc, exec, s[0:1]
	s_cbranch_vccz .LBB120_43
; %bb.33:
	v_mov_b32_e32 v3, 28
	v_cmp_gt_i16_sdwa s[0:1], v6, v3 src0_sel:BYTE_0 src1_sel:DWORD
	s_and_b64 vcc, exec, s[0:1]
	s_cbranch_vccz .LBB120_46
	;; [unrolled: 5-line block ×4, first 2 shown]
; %bb.36:
	v_mov_b32_e32 v3, 46
	v_cmp_eq_u16_sdwa s[36:37], v6, v3 src0_sel:BYTE_0 src1_sel:DWORD
	s_mov_b64 s[44:45], 0
	s_mov_b64 s[0:1], -1
	s_and_b64 vcc, exec, s[36:37]
	s_mov_b64 s[36:37], 0
	s_cbranch_vccz .LBB120_169
; %bb.37:
	v_bfe_u32 v3, v2, 16, 1
	s_movk_i32 s0, 0x7fff
	v_add3_u32 v3, v2, v3, s0
	v_lshrrev_b32_e32 v3, 16, v3
	v_mov_b32_e32 v4, 0x7fc0
	v_cmp_o_f32_e32 vcc, v2, v2
	v_cndmask_b32_e32 v3, v4, v3, vcc
	global_store_dword v[0:1], v3, off
	s_mov_b64 s[36:37], -1
	s_mov_b64 s[0:1], 0
	s_branch .LBB120_169
.LBB120_38:
	s_mov_b64 s[36:37], -1
	s_mov_b64 s[40:41], 0
	s_mov_b64 s[0:1], 0
                                        ; implicit-def: $vgpr10
	s_branch .LBB120_61
.LBB120_39:
	s_mov_b64 s[36:37], -1
	s_mov_b64 s[38:39], 0
	s_mov_b64 s[0:1], 0
                                        ; implicit-def: $vgpr1
	s_branch .LBB120_306
.LBB120_40:
	s_mov_b64 s[44:45], -1
	s_mov_b64 s[0:1], 0
	s_mov_b64 s[36:37], 0
	s_branch .LBB120_238
.LBB120_41:
	s_mov_b64 s[36:37], -1
	s_mov_b64 s[40:41], 0
	s_mov_b64 s[0:1], 0
                                        ; implicit-def: $vgpr10
	s_branch .LBB120_56
.LBB120_42:
	s_mov_b64 s[36:37], -1
	s_mov_b64 s[38:39], 0
	s_mov_b64 s[0:1], 0
                                        ; implicit-def: $vgpr1
	s_branch .LBB120_287
.LBB120_43:
	s_mov_b64 s[44:45], -1
	s_mov_b64 s[0:1], 0
	s_mov_b64 s[36:37], 0
	s_branch .LBB120_196
.LBB120_44:
	s_mov_b64 s[36:37], -1
	s_mov_b64 s[40:41], 0
	s_branch .LBB120_48
.LBB120_45:
	s_mov_b64 s[36:37], -1
	s_mov_b64 s[38:39], 0
	s_mov_b64 s[0:1], 0
                                        ; implicit-def: $vgpr1
	s_branch .LBB120_282
.LBB120_46:
	s_mov_b64 s[44:45], -1
	s_mov_b64 s[0:1], 0
	s_mov_b64 s[36:37], 0
	s_branch .LBB120_179
.LBB120_47:
	s_mov_b64 s[40:41], -1
.LBB120_48:
	s_mov_b64 s[0:1], 0
                                        ; implicit-def: $vgpr10
.LBB120_49:
	s_and_b64 vcc, exec, s[36:37]
	s_cbranch_vccz .LBB120_55
; %bb.50:
	v_mov_b32_e32 v1, 44
	v_cmp_eq_u16_sdwa s[36:37], v9, v1 src0_sel:BYTE_0 src1_sel:DWORD
	s_and_b64 vcc, exec, s[36:37]
	s_cbranch_vccz .LBB120_54
; %bb.51:
	global_load_ubyte v1, v[4:5], off
	s_movk_i32 s36, 0xff
	v_mov_b32_e32 v3, 0x7f800001
	v_mov_b32_e32 v10, 0x400000
	s_mov_b64 s[0:1], -1
	s_mov_b64 s[40:41], 0
	s_waitcnt vmcnt(0)
	v_lshlrev_b32_e32 v11, 23, v1
	v_cmp_ne_u32_e32 vcc, s36, v1
	v_cndmask_b32_e32 v3, v3, v11, vcc
	v_cmp_ne_u32_e32 vcc, 0, v1
	v_cndmask_b32_e32 v10, v10, v3, vcc
	s_branch .LBB120_55
.LBB120_52:
	s_mov_b64 s[36:37], -1
	s_mov_b64 s[38:39], 0
	s_branch .LBB120_164
.LBB120_53:
	s_mov_b64 s[44:45], -1
	s_mov_b64 s[0:1], 0
	s_mov_b64 s[36:37], 0
	s_branch .LBB120_175
.LBB120_54:
	s_mov_b64 s[40:41], -1
                                        ; implicit-def: $vgpr10
.LBB120_55:
	s_mov_b64 s[36:37], 0
.LBB120_56:
	s_and_b64 vcc, exec, s[36:37]
	s_cbranch_vccz .LBB120_60
; %bb.57:
	v_mov_b32_e32 v1, 29
	v_cmp_eq_u16_sdwa s[36:37], v9, v1 src0_sel:BYTE_0 src1_sel:DWORD
	s_and_b64 vcc, exec, s[36:37]
	s_cbranch_vccz .LBB120_59
; %bb.58:
	global_load_dwordx2 v[10:11], v[4:5], off
	s_mov_b64 s[0:1], -1
	s_mov_b64 s[40:41], 0
	s_mov_b64 s[36:37], 0
	s_waitcnt vmcnt(0)
	v_ffbh_u32_e32 v1, v11
	v_min_u32_e32 v1, 32, v1
	v_lshlrev_b64 v[10:11], v1, v[10:11]
	v_min_u32_e32 v3, 1, v10
	v_or_b32_e32 v3, v11, v3
	v_cvt_f32_u32_e32 v3, v3
	v_sub_u32_e32 v1, 32, v1
	v_ldexp_f32 v10, v3, v1
	s_branch .LBB120_61
.LBB120_59:
	s_mov_b64 s[40:41], -1
                                        ; implicit-def: $vgpr10
.LBB120_60:
	s_mov_b64 s[36:37], 0
.LBB120_61:
	s_and_b64 vcc, exec, s[36:37]
	s_cbranch_vccz .LBB120_79
; %bb.62:
	v_mov_b32_e32 v1, 27
	v_cmp_lt_i16_sdwa s[0:1], v9, v1 src0_sel:BYTE_0 src1_sel:DWORD
	s_and_b64 vcc, exec, s[0:1]
	s_cbranch_vccnz .LBB120_65
; %bb.63:
	v_cmp_gt_i16_sdwa s[0:1], v9, v1 src0_sel:BYTE_0 src1_sel:DWORD
	s_and_b64 vcc, exec, s[0:1]
	s_cbranch_vccz .LBB120_66
; %bb.64:
	global_load_dword v1, v[4:5], off
	s_mov_b64 s[0:1], 0
	s_waitcnt vmcnt(0)
	v_cvt_f32_u32_e32 v10, v1
	s_branch .LBB120_67
.LBB120_65:
	s_mov_b64 s[0:1], -1
                                        ; implicit-def: $vgpr10
	s_branch .LBB120_70
.LBB120_66:
	s_mov_b64 s[0:1], -1
                                        ; implicit-def: $vgpr10
.LBB120_67:
	s_andn2_b64 vcc, exec, s[0:1]
	s_cbranch_vccnz .LBB120_69
; %bb.68:
	global_load_ushort v1, v[4:5], off
	s_waitcnt vmcnt(0)
	v_cvt_f32_u32_e32 v10, v1
.LBB120_69:
	s_mov_b64 s[0:1], 0
.LBB120_70:
	s_andn2_b64 vcc, exec, s[0:1]
	s_cbranch_vccnz .LBB120_78
; %bb.71:
	global_load_ubyte v1, v[4:5], off
	s_movk_i32 s0, 0x7f
                                        ; implicit-def: $sgpr44
	s_waitcnt vmcnt(0)
	v_cmp_lt_i16_e32 vcc, s0, v1
	s_mov_b64 s[0:1], 0
	s_and_saveexec_b64 s[36:37], vcc
	s_xor_b64 s[36:37], exec, s[36:37]
	s_cbranch_execz .LBB120_91
; %bb.72:
	s_movk_i32 s0, 0x80
	v_cmp_eq_u16_e32 vcc, s0, v1
	s_mov_b64 s[0:1], -1
                                        ; implicit-def: $sgpr44
	s_and_saveexec_b64 s[38:39], vcc
; %bb.73:
	s_mov_b32 s44, 0x7f800001
	s_xor_b64 s[0:1], exec, -1
; %bb.74:
	s_or_b64 exec, exec, s[38:39]
	s_and_b64 s[0:1], s[0:1], exec
	s_or_saveexec_b64 s[36:37], s[36:37]
	v_mov_b32_e32 v10, s44
	s_xor_b64 exec, exec, s[36:37]
	s_cbranch_execnz .LBB120_92
.LBB120_75:
	s_or_b64 exec, exec, s[36:37]
	s_and_saveexec_b64 s[36:37], s[0:1]
	s_cbranch_execz .LBB120_77
.LBB120_76:
	v_lshlrev_b32_e32 v3, 24, v1
	v_and_b32_e32 v1, 0xffff, v1
	v_and_b32_e32 v10, 7, v1
	v_ffbh_u32_e32 v12, v10
	v_min_u32_e32 v12, 32, v12
	v_subrev_u32_e32 v13, 28, v12
	v_bfe_u32 v11, v1, 3, 4
	v_lshlrev_b32_e32 v1, v13, v1
	v_sub_u32_e32 v12, 29, v12
	v_and_b32_e32 v1, 7, v1
	v_cmp_eq_u32_e32 vcc, 0, v11
	v_cndmask_b32_e32 v11, v11, v12, vcc
	v_cndmask_b32_e32 v1, v10, v1, vcc
	v_mov_b32_e32 v10, 0x3b800000
	v_lshlrev_b32_e32 v1, 20, v1
	v_and_b32_e32 v3, 0x80000000, v3
	v_lshl_add_u32 v10, v11, 23, v10
	v_or3_b32 v10, v3, v10, v1
.LBB120_77:
	s_or_b64 exec, exec, s[36:37]
.LBB120_78:
	s_mov_b64 s[0:1], -1
.LBB120_79:
	s_branch .LBB120_114
.LBB120_80:
	v_mov_b32_e32 v1, 22
	v_cmp_gt_i16_sdwa s[36:37], v9, v1 src0_sel:BYTE_0 src1_sel:DWORD
	s_and_b64 vcc, exec, s[36:37]
	s_cbranch_vccz .LBB120_90
; %bb.81:
	v_mov_b32_e32 v1, 24
	v_cmp_lt_i16_sdwa s[0:1], v9, v1 src0_sel:BYTE_0 src1_sel:DWORD
	s_and_b64 vcc, exec, s[0:1]
	s_cbranch_vccnz .LBB120_93
; %bb.82:
	v_cmp_gt_i16_sdwa s[0:1], v9, v1 src0_sel:BYTE_0 src1_sel:DWORD
	s_and_b64 vcc, exec, s[0:1]
	s_cbranch_vccz .LBB120_94
; %bb.83:
	global_load_ubyte v1, v[4:5], off
	s_movk_i32 s0, 0x7f
                                        ; implicit-def: $sgpr44
	s_waitcnt vmcnt(0)
	v_cmp_lt_i16_e32 vcc, s0, v1
	s_mov_b64 s[0:1], 0
	s_and_saveexec_b64 s[36:37], vcc
	s_xor_b64 s[36:37], exec, s[36:37]
	s_cbranch_execz .LBB120_106
; %bb.84:
	s_movk_i32 s0, 0x80
	v_cmp_eq_u16_e32 vcc, s0, v1
	s_mov_b64 s[0:1], -1
                                        ; implicit-def: $sgpr44
	s_and_saveexec_b64 s[38:39], vcc
; %bb.85:
	s_mov_b32 s44, 0x7f800001
	s_xor_b64 s[0:1], exec, -1
; %bb.86:
	s_or_b64 exec, exec, s[38:39]
	s_and_b64 s[0:1], s[0:1], exec
	s_or_saveexec_b64 s[36:37], s[36:37]
	v_mov_b32_e32 v10, s44
	s_xor_b64 exec, exec, s[36:37]
	s_cbranch_execnz .LBB120_107
.LBB120_87:
	s_or_b64 exec, exec, s[36:37]
	s_and_saveexec_b64 s[36:37], s[0:1]
	s_cbranch_execz .LBB120_89
.LBB120_88:
	v_lshlrev_b32_e32 v3, 24, v1
	v_and_b32_e32 v1, 0xffff, v1
	v_and_b32_e32 v10, 3, v1
	v_ffbh_u32_e32 v12, v10
	v_min_u32_e32 v12, 32, v12
	v_subrev_u32_e32 v13, 29, v12
	v_bfe_u32 v11, v1, 2, 5
	v_lshlrev_b32_e32 v1, v13, v1
	v_sub_u32_e32 v12, 30, v12
	v_and_b32_e32 v1, 3, v1
	v_cmp_eq_u32_e32 vcc, 0, v11
	v_cndmask_b32_e32 v11, v11, v12, vcc
	v_cndmask_b32_e32 v1, v10, v1, vcc
	v_mov_b32_e32 v10, 0x37800000
	v_lshlrev_b32_e32 v1, 21, v1
	v_and_b32_e32 v3, 0x80000000, v3
	v_lshl_add_u32 v10, v11, 23, v10
	v_or3_b32 v10, v3, v10, v1
.LBB120_89:
	s_or_b64 exec, exec, s[36:37]
	s_mov_b64 s[0:1], 0
	s_branch .LBB120_95
.LBB120_90:
	s_mov_b64 s[36:37], -1
                                        ; implicit-def: $vgpr10
	s_branch .LBB120_101
.LBB120_91:
	s_or_saveexec_b64 s[36:37], s[36:37]
	v_mov_b32_e32 v10, s44
	s_xor_b64 exec, exec, s[36:37]
	s_cbranch_execz .LBB120_75
.LBB120_92:
	v_cmp_ne_u16_e32 vcc, 0, v1
	s_andn2_b64 s[0:1], s[0:1], exec
	s_and_b64 s[38:39], vcc, exec
	v_mov_b32_e32 v10, 0
	s_or_b64 s[0:1], s[0:1], s[38:39]
	s_or_b64 exec, exec, s[36:37]
	s_and_saveexec_b64 s[36:37], s[0:1]
	s_cbranch_execnz .LBB120_76
	s_branch .LBB120_77
.LBB120_93:
	s_mov_b64 s[0:1], -1
                                        ; implicit-def: $vgpr10
	s_branch .LBB120_98
.LBB120_94:
	s_mov_b64 s[0:1], -1
                                        ; implicit-def: $vgpr10
.LBB120_95:
	s_and_b64 vcc, exec, s[0:1]
	s_cbranch_vccz .LBB120_97
; %bb.96:
	global_load_ubyte v1, v[4:5], off
	s_mov_b32 s0, 0x7f800000
	s_waitcnt vmcnt(0)
	v_lshlrev_b32_e32 v1, 24, v1
	v_and_b32_e32 v3, 0x7f000000, v1
	v_ffbh_u32_e32 v10, v3
	v_min_u32_e32 v10, 32, v10
	v_sub_u32_e64 v10, v10, 4 clamp
	v_lshlrev_b32_e32 v12, v10, v3
	v_lshlrev_b32_e32 v10, 23, v10
	v_lshrrev_b32_e32 v12, 4, v12
	v_add_u32_e32 v11, 0x1000000, v3
	v_sub_u32_e32 v10, v12, v10
	v_ashrrev_i32_e32 v11, 8, v11
	v_add_u32_e32 v10, 0x3c000000, v10
	v_and_or_b32 v10, v11, s0, v10
	v_cmp_ne_u32_e32 vcc, 0, v3
	v_cndmask_b32_e32 v3, 0, v10, vcc
	s_brev_b32 s0, 1
	v_and_or_b32 v10, v1, s0, v3
.LBB120_97:
	s_mov_b64 s[0:1], 0
.LBB120_98:
	s_andn2_b64 vcc, exec, s[0:1]
	s_cbranch_vccnz .LBB120_100
; %bb.99:
	global_load_ubyte v1, v[4:5], off
	s_movk_i32 s0, 0x7f00
	s_brev_b32 s1, 16
	s_waitcnt vmcnt(0)
	v_lshlrev_b16_e32 v3, 8, v1
	v_lshlrev_b32_e32 v1, 25, v1
	v_lshrrev_b32_e32 v10, 4, v1
	v_and_or_b32 v11, v3, s0, 0.5
	v_or_b32_e32 v10, 0x70000000, v10
	v_add_f32_e32 v11, -0.5, v11
	v_mul_f32_e32 v10, 0x7800000, v10
	v_cmp_gt_u32_e32 vcc, s1, v1
	v_bfe_i32 v3, v3, 0, 16
	v_cndmask_b32_e32 v1, v10, v11, vcc
	s_brev_b32 s0, 1
	v_and_or_b32 v10, v3, s0, v1
.LBB120_100:
	s_mov_b64 s[36:37], 0
	s_mov_b64 s[0:1], -1
.LBB120_101:
	s_andn2_b64 vcc, exec, s[36:37]
	s_cbranch_vccnz .LBB120_114
; %bb.102:
	v_mov_b32_e32 v1, 14
	v_cmp_gt_i16_sdwa s[36:37], v9, v1 src0_sel:BYTE_0 src1_sel:DWORD
	s_and_b64 vcc, exec, s[36:37]
	s_cbranch_vccz .LBB120_105
; %bb.103:
	v_mov_b32_e32 v1, 15
	v_cmp_eq_u16_sdwa s[36:37], v9, v1 src0_sel:BYTE_0 src1_sel:DWORD
	s_and_b64 vcc, exec, s[36:37]
	s_cbranch_vccz .LBB120_108
; %bb.104:
	global_load_ushort v1, v[4:5], off
	s_mov_b64 s[0:1], -1
	s_mov_b64 s[40:41], 0
	s_waitcnt vmcnt(0)
	v_lshlrev_b32_e32 v10, 16, v1
	s_branch .LBB120_109
.LBB120_105:
	s_mov_b64 s[36:37], -1
                                        ; implicit-def: $vgpr10
	s_branch .LBB120_110
.LBB120_106:
	s_or_saveexec_b64 s[36:37], s[36:37]
	v_mov_b32_e32 v10, s44
	s_xor_b64 exec, exec, s[36:37]
	s_cbranch_execz .LBB120_87
.LBB120_107:
	v_cmp_ne_u16_e32 vcc, 0, v1
	s_andn2_b64 s[0:1], s[0:1], exec
	s_and_b64 s[38:39], vcc, exec
	v_mov_b32_e32 v10, 0
	s_or_b64 s[0:1], s[0:1], s[38:39]
	s_or_b64 exec, exec, s[36:37]
	s_and_saveexec_b64 s[36:37], s[0:1]
	s_cbranch_execnz .LBB120_88
	s_branch .LBB120_89
.LBB120_108:
	s_mov_b64 s[40:41], -1
                                        ; implicit-def: $vgpr10
.LBB120_109:
	s_mov_b64 s[36:37], 0
.LBB120_110:
	s_and_b64 vcc, exec, s[36:37]
	s_cbranch_vccz .LBB120_114
; %bb.111:
	v_mov_b32_e32 v1, 11
	v_cmp_eq_u16_sdwa s[36:37], v9, v1 src0_sel:BYTE_0 src1_sel:DWORD
	s_and_b64 vcc, exec, s[36:37]
	s_cbranch_vccz .LBB120_113
; %bb.112:
	global_load_ubyte v1, v[4:5], off
	s_mov_b64 s[0:1], -1
	s_mov_b64 s[40:41], 0
	s_waitcnt vmcnt(0)
	v_cmp_ne_u16_e32 vcc, 0, v1
	v_cndmask_b32_e64 v10, 0, 1.0, vcc
	s_branch .LBB120_114
.LBB120_113:
	s_mov_b64 s[40:41], -1
                                        ; implicit-def: $vgpr10
.LBB120_114:
	s_branch .LBB120_20
.LBB120_115:
	v_mov_b32_e32 v1, 5
	v_cmp_lt_i16_sdwa s[0:1], v9, v1 src0_sel:BYTE_0 src1_sel:DWORD
	s_and_b64 vcc, exec, s[0:1]
	s_cbranch_vccnz .LBB120_120
; %bb.116:
	v_mov_b32_e32 v1, 8
	v_cmp_lt_i16_sdwa s[0:1], v9, v1 src0_sel:BYTE_0 src1_sel:DWORD
	s_and_b64 vcc, exec, s[0:1]
	s_cbranch_vccnz .LBB120_121
; %bb.117:
	;; [unrolled: 5-line block ×3, first 2 shown]
	v_cmp_gt_i16_sdwa s[0:1], v9, v1 src0_sel:BYTE_0 src1_sel:DWORD
	s_and_b64 vcc, exec, s[0:1]
	s_cbranch_vccz .LBB120_123
; %bb.119:
	global_load_dwordx2 v[10:11], v[4:5], off
	s_mov_b64 s[0:1], 0
	s_waitcnt vmcnt(0)
	v_cvt_f32_f64_e32 v10, v[10:11]
	s_branch .LBB120_124
.LBB120_120:
                                        ; implicit-def: $vgpr10
	s_branch .LBB120_142
.LBB120_121:
	s_mov_b64 s[0:1], -1
                                        ; implicit-def: $vgpr10
	s_branch .LBB120_130
.LBB120_122:
	s_mov_b64 s[0:1], -1
                                        ; implicit-def: $vgpr10
	s_branch .LBB120_127
.LBB120_123:
	s_mov_b64 s[0:1], -1
                                        ; implicit-def: $vgpr10
.LBB120_124:
	s_andn2_b64 vcc, exec, s[0:1]
	s_cbranch_vccnz .LBB120_126
; %bb.125:
	global_load_dword v10, v[4:5], off
.LBB120_126:
	s_mov_b64 s[0:1], 0
.LBB120_127:
	s_andn2_b64 vcc, exec, s[0:1]
	s_cbranch_vccnz .LBB120_129
; %bb.128:
	global_load_dword v1, v[4:5], off
	s_waitcnt vmcnt(0)
	v_cvt_f32_f16_e32 v10, v1
.LBB120_129:
	s_mov_b64 s[0:1], 0
.LBB120_130:
	s_andn2_b64 vcc, exec, s[0:1]
	s_cbranch_vccnz .LBB120_141
; %bb.131:
	v_mov_b32_e32 v1, 6
	v_cmp_lt_i16_sdwa s[0:1], v9, v1 src0_sel:BYTE_0 src1_sel:DWORD
	s_and_b64 vcc, exec, s[0:1]
	s_cbranch_vccnz .LBB120_134
; %bb.132:
	v_cmp_gt_i16_sdwa s[0:1], v9, v1 src0_sel:BYTE_0 src1_sel:DWORD
	s_and_b64 vcc, exec, s[0:1]
	s_cbranch_vccz .LBB120_135
; %bb.133:
	global_load_dwordx2 v[10:11], v[4:5], off
	s_mov_b64 s[0:1], 0
	s_waitcnt vmcnt(0)
	v_cvt_f32_f64_e32 v10, v[10:11]
	s_branch .LBB120_136
.LBB120_134:
	s_mov_b64 s[0:1], -1
                                        ; implicit-def: $vgpr10
	s_branch .LBB120_139
.LBB120_135:
	s_mov_b64 s[0:1], -1
                                        ; implicit-def: $vgpr10
.LBB120_136:
	s_andn2_b64 vcc, exec, s[0:1]
	s_cbranch_vccnz .LBB120_138
; %bb.137:
	global_load_dword v10, v[4:5], off
.LBB120_138:
	s_mov_b64 s[0:1], 0
.LBB120_139:
	s_andn2_b64 vcc, exec, s[0:1]
	s_cbranch_vccnz .LBB120_141
; %bb.140:
	global_load_ushort v1, v[4:5], off
	s_waitcnt vmcnt(0)
	v_cvt_f32_f16_e32 v10, v1
.LBB120_141:
	s_cbranch_execnz .LBB120_161
.LBB120_142:
	v_mov_b32_e32 v1, 2
	v_cmp_lt_i16_sdwa s[0:1], v9, v1 src0_sel:BYTE_0 src1_sel:DWORD
	s_and_b64 vcc, exec, s[0:1]
	s_cbranch_vccnz .LBB120_146
; %bb.143:
	v_mov_b32_e32 v1, 3
	v_cmp_lt_i16_sdwa s[0:1], v9, v1 src0_sel:BYTE_0 src1_sel:DWORD
	s_and_b64 vcc, exec, s[0:1]
	s_cbranch_vccnz .LBB120_147
; %bb.144:
	v_cmp_gt_i16_sdwa s[0:1], v9, v1 src0_sel:BYTE_0 src1_sel:DWORD
	s_and_b64 vcc, exec, s[0:1]
	s_cbranch_vccz .LBB120_148
; %bb.145:
	global_load_dwordx2 v[10:11], v[4:5], off
	s_mov_b64 s[0:1], 0
	s_waitcnt vmcnt(0)
	v_xor_b32_e32 v3, v10, v11
	v_ffbh_i32_e32 v1, v11
	v_ashrrev_i32_e32 v3, 31, v3
	v_add_u32_e32 v1, -1, v1
	v_add_u32_e32 v3, 32, v3
	v_min_u32_e32 v1, v1, v3
	v_lshlrev_b64 v[10:11], v1, v[10:11]
	v_min_u32_e32 v3, 1, v10
	v_or_b32_e32 v3, v11, v3
	v_cvt_f32_i32_e32 v3, v3
	v_sub_u32_e32 v1, 32, v1
	v_ldexp_f32 v10, v3, v1
	s_branch .LBB120_149
.LBB120_146:
	s_mov_b64 s[0:1], -1
                                        ; implicit-def: $vgpr10
	s_branch .LBB120_155
.LBB120_147:
	s_mov_b64 s[0:1], -1
                                        ; implicit-def: $vgpr10
	s_branch .LBB120_152
.LBB120_148:
	s_mov_b64 s[0:1], -1
                                        ; implicit-def: $vgpr10
.LBB120_149:
	s_andn2_b64 vcc, exec, s[0:1]
	s_cbranch_vccnz .LBB120_151
; %bb.150:
	global_load_dword v1, v[4:5], off
	s_waitcnt vmcnt(0)
	v_cvt_f32_i32_e32 v10, v1
.LBB120_151:
	s_mov_b64 s[0:1], 0
.LBB120_152:
	s_andn2_b64 vcc, exec, s[0:1]
	s_cbranch_vccnz .LBB120_154
; %bb.153:
	global_load_sshort v1, v[4:5], off
	s_waitcnt vmcnt(0)
	v_cvt_f32_i32_e32 v10, v1
.LBB120_154:
	s_mov_b64 s[0:1], 0
.LBB120_155:
	s_andn2_b64 vcc, exec, s[0:1]
	s_cbranch_vccnz .LBB120_161
; %bb.156:
	v_mov_b32_e32 v1, 0
	v_cmp_gt_i16_sdwa s[0:1], v9, v1 src0_sel:BYTE_0 src1_sel:DWORD
	s_and_b64 vcc, exec, s[0:1]
	s_cbranch_vccz .LBB120_158
; %bb.157:
	global_load_sbyte v1, v[4:5], off
	s_mov_b64 s[0:1], 0
	s_waitcnt vmcnt(0)
	v_cvt_f32_i32_e32 v10, v1
	s_branch .LBB120_159
.LBB120_158:
	s_mov_b64 s[0:1], -1
                                        ; implicit-def: $vgpr10
.LBB120_159:
	s_andn2_b64 vcc, exec, s[0:1]
	s_cbranch_vccnz .LBB120_161
; %bb.160:
	global_load_ubyte v1, v[4:5], off
	s_waitcnt vmcnt(0)
	v_cvt_f32_ubyte0_e32 v10, v1
.LBB120_161:
	s_branch .LBB120_21
.LBB120_162:
	s_mov_b64 s[0:1], 0
	s_mov_b64 s[38:39], 0
	s_branch .LBB120_391
.LBB120_163:
	s_mov_b64 s[38:39], -1
.LBB120_164:
	s_mov_b64 s[0:1], 0
                                        ; implicit-def: $vgpr1
.LBB120_165:
	s_and_b64 vcc, exec, s[36:37]
	s_cbranch_vccz .LBB120_281
; %bb.166:
	v_mov_b32_e32 v1, 44
	v_cmp_eq_u16_sdwa s[36:37], v7, v1 src0_sel:BYTE_0 src1_sel:DWORD
	s_and_b64 vcc, exec, s[36:37]
	s_cbranch_vccz .LBB120_280
; %bb.167:
	global_load_ubyte v1, v[2:3], off
	s_movk_i32 s36, 0xff
	v_mov_b32_e32 v4, 0x7f800001
	v_mov_b32_e32 v5, 0x400000
	s_mov_b64 s[0:1], -1
	s_mov_b64 s[38:39], 0
	s_waitcnt vmcnt(0)
	v_lshlrev_b32_e32 v11, 23, v1
	v_cmp_ne_u32_e32 vcc, s36, v1
	v_cndmask_b32_e32 v4, v4, v11, vcc
	v_cmp_ne_u32_e32 vcc, 0, v1
	v_cndmask_b32_e32 v1, v5, v4, vcc
	s_branch .LBB120_281
.LBB120_168:
	s_mov_b64 s[44:45], -1
	s_mov_b64 s[0:1], 0
	s_mov_b64 s[36:37], 0
.LBB120_169:
	s_and_b64 vcc, exec, s[44:45]
	s_cbranch_vccz .LBB120_174
; %bb.170:
	v_mov_b32_e32 v3, 44
	v_cmp_eq_u16_sdwa s[44:45], v6, v3 src0_sel:BYTE_0 src1_sel:DWORD
	s_mov_b64 s[0:1], -1
	s_and_b64 vcc, exec, s[44:45]
	s_cbranch_vccz .LBB120_174
; %bb.171:
	v_bfe_u32 v3, v2, 23, 8
	s_movk_i32 s0, 0xff
	v_cmp_ne_u32_e32 vcc, s0, v3
	v_mov_b32_e32 v4, 0xff
	s_and_saveexec_b64 s[36:37], vcc
; %bb.172:
	s_mov_b32 s0, 0x3fffff
	v_and_b32_e32 v5, 0x400000, v2
	v_and_or_b32 v3, v2, s0, v3
	v_cmp_ne_u32_e32 vcc, 0, v5
	v_cmp_ne_u32_e64 s[0:1], 0, v3
	s_and_b64 s[0:1], vcc, s[0:1]
	v_lshrrev_b32_e32 v4, 23, v2
	v_cndmask_b32_e64 v3, 0, 1, s[0:1]
	v_add_u32_e32 v4, v4, v3
; %bb.173:
	s_or_b64 exec, exec, s[36:37]
	s_mov_b64 s[36:37], -1
	s_mov_b64 s[0:1], 0
	global_store_byte v[0:1], v4, off
.LBB120_174:
	s_mov_b64 s[44:45], 0
.LBB120_175:
	s_and_b64 vcc, exec, s[44:45]
	s_cbranch_vccz .LBB120_178
; %bb.176:
	v_mov_b32_e32 v3, 29
	v_cmp_eq_u16_sdwa s[44:45], v6, v3 src0_sel:BYTE_0 src1_sel:DWORD
	s_mov_b64 s[0:1], -1
	s_and_b64 vcc, exec, s[44:45]
	s_cbranch_vccz .LBB120_178
; %bb.177:
	v_trunc_f32_e32 v3, v2
	v_mul_f32_e32 v4, 0x2f800000, v3
	v_floor_f32_e32 v4, v4
	v_fmac_f32_e32 v3, 0xcf800000, v4
	v_cvt_u32_f32_e32 v5, v4
	v_cvt_u32_f32_e32 v4, v3
	s_mov_b64 s[36:37], -1
	s_mov_b64 s[0:1], 0
	s_mov_b64 s[44:45], 0
	global_store_dwordx2 v[0:1], v[4:5], off
	s_branch .LBB120_179
.LBB120_178:
	s_mov_b64 s[44:45], 0
.LBB120_179:
	s_and_b64 vcc, exec, s[44:45]
	s_cbranch_vccz .LBB120_195
; %bb.180:
	v_mov_b32_e32 v3, 27
	v_cmp_lt_i16_sdwa s[44:45], v6, v3 src0_sel:BYTE_0 src1_sel:DWORD
	s_mov_b64 s[36:37], -1
	s_and_b64 vcc, exec, s[44:45]
	s_cbranch_vccnz .LBB120_186
; %bb.181:
	v_cmp_gt_i16_sdwa s[44:45], v6, v3 src0_sel:BYTE_0 src1_sel:DWORD
	v_cvt_u32_f32_e32 v3, v2
	s_and_b64 vcc, exec, s[44:45]
	s_cbranch_vccz .LBB120_183
; %bb.182:
	s_mov_b64 s[36:37], 0
	global_store_dword v[0:1], v3, off
.LBB120_183:
	s_andn2_b64 vcc, exec, s[36:37]
	s_cbranch_vccnz .LBB120_185
; %bb.184:
	global_store_short v[0:1], v3, off
.LBB120_185:
	s_mov_b64 s[36:37], 0
.LBB120_186:
	s_andn2_b64 vcc, exec, s[36:37]
	s_cbranch_vccnz .LBB120_194
; %bb.187:
	v_and_b32_e32 v3, 0x7fffffff, v10
	s_mov_b32 s36, 0x43800000
	v_cmp_gt_u32_e32 vcc, s36, v3
	v_mov_b32_e32 v4, 0x80
	s_and_saveexec_b64 s[36:37], vcc
	s_cbranch_execz .LBB120_193
; %bb.188:
	s_mov_b32 s44, 0x3bffffff
	v_cmp_lt_u32_e32 vcc, s44, v3
	s_mov_b64 s[44:45], 0
                                        ; implicit-def: $vgpr3
	s_and_saveexec_b64 s[48:49], vcc
	s_xor_b64 s[48:49], exec, s[48:49]
	s_cbranch_execz .LBB120_432
; %bb.189:
	v_bfe_u32 v3, v2, 20, 1
	s_mov_b32 s50, 0x487ffff
	v_add3_u32 v3, v2, v3, s50
	s_mov_b64 s[44:45], exec
	v_lshrrev_b32_e32 v3, 20, v3
	s_or_saveexec_b64 s[48:49], s[48:49]
                                        ; implicit-def: $sgpr50
	s_xor_b64 exec, exec, s[48:49]
	s_cbranch_execnz .LBB120_433
.LBB120_190:
	s_or_b64 exec, exec, s[48:49]
	v_mov_b32_e32 v4, s50
	s_and_saveexec_b64 s[48:49], s[44:45]
.LBB120_191:
	v_lshrrev_b32_e32 v4, 24, v2
	s_movk_i32 s44, 0x80
	v_and_or_b32 v4, v4, s44, v3
.LBB120_192:
	s_or_b64 exec, exec, s[48:49]
.LBB120_193:
	s_or_b64 exec, exec, s[36:37]
	global_store_byte v[0:1], v4, off
.LBB120_194:
	s_mov_b64 s[36:37], -1
.LBB120_195:
	s_mov_b64 s[44:45], 0
.LBB120_196:
	s_and_b64 vcc, exec, s[44:45]
	s_cbranch_vccz .LBB120_237
; %bb.197:
	v_mov_b32_e32 v3, 22
	v_cmp_gt_i16_sdwa s[48:49], v6, v3 src0_sel:BYTE_0 src1_sel:DWORD
	s_mov_b64 s[44:45], -1
	s_and_b64 vcc, exec, s[48:49]
	s_cbranch_vccz .LBB120_229
; %bb.198:
	v_mov_b32_e32 v3, 24
	v_cmp_lt_i16_sdwa s[44:45], v6, v3 src0_sel:BYTE_0 src1_sel:DWORD
	s_mov_b64 s[36:37], -1
	s_and_b64 vcc, exec, s[44:45]
	s_cbranch_vccnz .LBB120_218
; %bb.199:
	v_cmp_gt_i16_sdwa s[44:45], v6, v3 src0_sel:BYTE_0 src1_sel:DWORD
	s_and_b64 vcc, exec, s[44:45]
	s_cbranch_vccz .LBB120_207
; %bb.200:
	v_and_b32_e32 v3, 0x7fffffff, v10
	s_mov_b32 s36, 0x47800000
	v_cmp_gt_u32_e32 vcc, s36, v3
	v_mov_b32_e32 v4, 0x80
	s_and_saveexec_b64 s[36:37], vcc
	s_cbranch_execz .LBB120_206
; %bb.201:
	s_mov_b32 s44, 0x37ffffff
	v_cmp_lt_u32_e32 vcc, s44, v3
	s_mov_b64 s[44:45], 0
                                        ; implicit-def: $vgpr3
	s_and_saveexec_b64 s[48:49], vcc
	s_xor_b64 s[48:49], exec, s[48:49]
	s_cbranch_execz .LBB120_551
; %bb.202:
	v_bfe_u32 v3, v2, 21, 1
	s_mov_b32 s50, 0x88fffff
	v_add3_u32 v3, v2, v3, s50
	s_mov_b64 s[44:45], exec
	v_lshrrev_b32_e32 v3, 21, v3
	s_or_saveexec_b64 s[48:49], s[48:49]
                                        ; implicit-def: $sgpr50
	s_xor_b64 exec, exec, s[48:49]
	s_cbranch_execnz .LBB120_552
.LBB120_203:
	s_or_b64 exec, exec, s[48:49]
	v_mov_b32_e32 v4, s50
	s_and_saveexec_b64 s[48:49], s[44:45]
.LBB120_204:
	v_lshrrev_b32_e32 v4, 24, v2
	s_movk_i32 s44, 0x80
	v_and_or_b32 v4, v4, s44, v3
.LBB120_205:
	s_or_b64 exec, exec, s[48:49]
.LBB120_206:
	s_or_b64 exec, exec, s[36:37]
	s_mov_b64 s[36:37], 0
	global_store_byte v[0:1], v4, off
.LBB120_207:
	s_and_b64 vcc, exec, s[36:37]
	s_cbranch_vccz .LBB120_217
; %bb.208:
	v_and_b32_e32 v4, 0x7fffffff, v10
	s_mov_b32 s36, 0x43f00000
	v_cmp_gt_u32_e32 vcc, s36, v4
                                        ; implicit-def: $vgpr3
	s_and_saveexec_b64 s[36:37], vcc
	s_xor_b64 s[36:37], exec, s[36:37]
	s_cbranch_execz .LBB120_214
; %bb.209:
	s_mov_b32 s44, 0x3c7fffff
	v_cmp_lt_u32_e32 vcc, s44, v4
                                        ; implicit-def: $vgpr3
	s_and_saveexec_b64 s[44:45], vcc
	s_xor_b64 s[44:45], exec, s[44:45]
; %bb.210:
	v_bfe_u32 v3, v2, 20, 1
	s_mov_b32 s48, 0x407ffff
	v_add3_u32 v3, v2, v3, s48
	v_lshrrev_b32_e32 v4, 20, v3
	v_and_b32_e32 v3, 0xff00000, v3
	s_mov_b32 s48, 0x7f00000
	v_mov_b32_e32 v5, 0x7e
	v_cmp_ne_u32_e32 vcc, s48, v3
	v_cndmask_b32_e32 v3, v5, v4, vcc
; %bb.211:
	s_andn2_saveexec_b64 s[44:45], s[44:45]
; %bb.212:
	s_mov_b32 s48, 0x46800000
	v_add_f32_e64 v3, |v10|, s48
; %bb.213:
	s_or_b64 exec, exec, s[44:45]
                                        ; implicit-def: $vgpr4
.LBB120_214:
	s_andn2_saveexec_b64 s[36:37], s[36:37]
; %bb.215:
	s_mov_b32 s44, 0x7f800000
	v_mov_b32_e32 v3, 0x7e
	v_mov_b32_e32 v5, 0x7f
	v_cmp_lt_u32_e32 vcc, s44, v4
	v_cndmask_b32_e32 v3, v3, v5, vcc
; %bb.216:
	s_or_b64 exec, exec, s[36:37]
	v_lshrrev_b32_e32 v4, 24, v2
	s_movk_i32 s36, 0x80
	v_and_or_b32 v3, v4, s36, v3
	global_store_byte v[0:1], v3, off
.LBB120_217:
	s_mov_b64 s[36:37], 0
.LBB120_218:
	s_andn2_b64 vcc, exec, s[36:37]
	s_cbranch_vccnz .LBB120_228
; %bb.219:
	v_and_b32_e32 v4, 0x7fffffff, v10
	s_mov_b32 s36, 0x47800000
	v_cmp_gt_u32_e32 vcc, s36, v4
                                        ; implicit-def: $vgpr3
	s_and_saveexec_b64 s[36:37], vcc
	s_xor_b64 s[36:37], exec, s[36:37]
	s_cbranch_execz .LBB120_225
; %bb.220:
	s_mov_b32 s44, 0x387fffff
	v_cmp_lt_u32_e32 vcc, s44, v4
                                        ; implicit-def: $vgpr3
	s_and_saveexec_b64 s[44:45], vcc
	s_xor_b64 s[44:45], exec, s[44:45]
; %bb.221:
	v_bfe_u32 v3, v2, 21, 1
	s_mov_b32 s48, 0x80fffff
	v_add3_u32 v3, v2, v3, s48
	v_lshrrev_b32_e32 v3, 21, v3
                                        ; implicit-def: $vgpr10
; %bb.222:
	s_andn2_saveexec_b64 s[44:45], s[44:45]
; %bb.223:
	s_mov_b32 s48, 0x43000000
	v_add_f32_e64 v3, |v10|, s48
; %bb.224:
	s_or_b64 exec, exec, s[44:45]
                                        ; implicit-def: $vgpr4
.LBB120_225:
	s_andn2_saveexec_b64 s[36:37], s[36:37]
; %bb.226:
	s_mov_b32 s44, 0x7f800000
	v_mov_b32_e32 v3, 0x7c
	v_mov_b32_e32 v5, 0x7f
	v_cmp_lt_u32_e32 vcc, s44, v4
	v_cndmask_b32_e32 v3, v3, v5, vcc
; %bb.227:
	s_or_b64 exec, exec, s[36:37]
	v_lshrrev_b32_e32 v4, 24, v2
	s_movk_i32 s36, 0x80
	v_and_or_b32 v3, v4, s36, v3
	global_store_byte v[0:1], v3, off
.LBB120_228:
	s_mov_b64 s[44:45], 0
	s_mov_b64 s[36:37], -1
.LBB120_229:
	s_andn2_b64 vcc, exec, s[44:45]
	s_cbranch_vccnz .LBB120_237
; %bb.230:
	v_mov_b32_e32 v3, 14
	v_cmp_gt_i16_sdwa s[48:49], v6, v3 src0_sel:BYTE_0 src1_sel:DWORD
	s_mov_b64 s[44:45], -1
	s_and_b64 vcc, exec, s[48:49]
	s_cbranch_vccz .LBB120_234
; %bb.231:
	v_mov_b32_e32 v3, 15
	v_cmp_eq_u16_sdwa s[44:45], v6, v3 src0_sel:BYTE_0 src1_sel:DWORD
	s_mov_b64 s[0:1], -1
	s_and_b64 vcc, exec, s[44:45]
	s_cbranch_vccz .LBB120_233
; %bb.232:
	v_bfe_u32 v3, v2, 16, 1
	s_movk_i32 s0, 0x7fff
	v_add3_u32 v3, v2, v3, s0
	v_lshrrev_b32_e32 v3, 16, v3
	v_mov_b32_e32 v4, 0x7fc0
	v_cmp_o_f32_e32 vcc, v2, v2
	v_cndmask_b32_e32 v3, v4, v3, vcc
	global_store_short v[0:1], v3, off
	s_mov_b64 s[36:37], -1
	s_mov_b64 s[0:1], 0
.LBB120_233:
	s_mov_b64 s[44:45], 0
.LBB120_234:
	s_and_b64 vcc, exec, s[44:45]
	s_cbranch_vccz .LBB120_237
; %bb.235:
	v_mov_b32_e32 v3, 11
	v_cmp_eq_u16_sdwa s[44:45], v6, v3 src0_sel:BYTE_0 src1_sel:DWORD
	s_mov_b64 s[0:1], -1
	s_and_b64 vcc, exec, s[44:45]
	s_cbranch_vccz .LBB120_237
; %bb.236:
	v_cmp_neq_f32_e32 vcc, 0, v2
	v_cndmask_b32_e64 v3, 0, 1, vcc
	s_mov_b64 s[36:37], -1
	s_mov_b64 s[0:1], 0
	global_store_byte v[0:1], v3, off
.LBB120_237:
	s_mov_b64 s[44:45], 0
.LBB120_238:
	s_and_b64 vcc, exec, s[44:45]
	s_cbranch_vccz .LBB120_277
; %bb.239:
	v_mov_b32_e32 v3, 5
	v_cmp_lt_i16_sdwa s[44:45], v6, v3 src0_sel:BYTE_0 src1_sel:DWORD
	s_mov_b64 s[36:37], -1
	s_and_b64 vcc, exec, s[44:45]
	s_cbranch_vccnz .LBB120_260
; %bb.240:
	v_mov_b32_e32 v3, 8
	v_cmp_lt_i16_sdwa s[44:45], v6, v3 src0_sel:BYTE_0 src1_sel:DWORD
	s_and_b64 vcc, exec, s[44:45]
	s_cbranch_vccnz .LBB120_250
; %bb.241:
	v_mov_b32_e32 v3, 9
	v_cmp_lt_i16_sdwa s[44:45], v6, v3 src0_sel:BYTE_0 src1_sel:DWORD
	s_and_b64 vcc, exec, s[44:45]
	s_cbranch_vccnz .LBB120_247
; %bb.242:
	v_cmp_gt_i16_sdwa s[44:45], v6, v3 src0_sel:BYTE_0 src1_sel:DWORD
	s_and_b64 vcc, exec, s[44:45]
	s_cbranch_vccz .LBB120_244
; %bb.243:
	v_mov_b32_e32 v12, 0
	v_cvt_f64_f32_e32 v[10:11], v2
	v_mov_b32_e32 v13, v12
	global_store_dwordx4 v[0:1], v[10:13], off
	s_mov_b64 s[36:37], 0
.LBB120_244:
	s_andn2_b64 vcc, exec, s[36:37]
	s_cbranch_vccnz .LBB120_246
; %bb.245:
	v_mov_b32_e32 v3, 0
	global_store_dwordx2 v[0:1], v[2:3], off
.LBB120_246:
	s_mov_b64 s[36:37], 0
.LBB120_247:
	s_andn2_b64 vcc, exec, s[36:37]
	s_cbranch_vccnz .LBB120_249
; %bb.248:
	v_cvt_f16_f32_e32 v3, v2
	global_store_dword v[0:1], v3, off
.LBB120_249:
	s_mov_b64 s[36:37], 0
.LBB120_250:
	s_andn2_b64 vcc, exec, s[36:37]
	s_cbranch_vccnz .LBB120_259
; %bb.251:
	v_mov_b32_e32 v3, 6
	v_cmp_lt_i16_sdwa s[44:45], v6, v3 src0_sel:BYTE_0 src1_sel:DWORD
	s_mov_b64 s[36:37], -1
	s_and_b64 vcc, exec, s[44:45]
	s_cbranch_vccnz .LBB120_257
; %bb.252:
	v_cmp_gt_i16_sdwa s[44:45], v6, v3 src0_sel:BYTE_0 src1_sel:DWORD
	s_and_b64 vcc, exec, s[44:45]
	s_cbranch_vccz .LBB120_254
; %bb.253:
	v_cvt_f64_f32_e32 v[4:5], v2
	global_store_dwordx2 v[0:1], v[4:5], off
	s_mov_b64 s[36:37], 0
.LBB120_254:
	s_andn2_b64 vcc, exec, s[36:37]
	s_cbranch_vccnz .LBB120_256
; %bb.255:
	global_store_dword v[0:1], v2, off
.LBB120_256:
	s_mov_b64 s[36:37], 0
.LBB120_257:
	s_andn2_b64 vcc, exec, s[36:37]
	s_cbranch_vccnz .LBB120_259
; %bb.258:
	v_cvt_f16_f32_e32 v3, v2
	global_store_short v[0:1], v3, off
.LBB120_259:
	s_mov_b64 s[36:37], 0
.LBB120_260:
	s_andn2_b64 vcc, exec, s[36:37]
	s_cbranch_vccnz .LBB120_276
; %bb.261:
	v_mov_b32_e32 v3, 2
	v_cmp_lt_i16_sdwa s[44:45], v6, v3 src0_sel:BYTE_0 src1_sel:DWORD
	s_mov_b64 s[36:37], -1
	s_and_b64 vcc, exec, s[44:45]
	s_cbranch_vccnz .LBB120_271
; %bb.262:
	v_mov_b32_e32 v3, 3
	v_cmp_lt_i16_sdwa s[44:45], v6, v3 src0_sel:BYTE_0 src1_sel:DWORD
	s_and_b64 vcc, exec, s[44:45]
	s_cbranch_vccnz .LBB120_268
; %bb.263:
	v_cmp_gt_i16_sdwa s[44:45], v6, v3 src0_sel:BYTE_0 src1_sel:DWORD
	s_and_b64 vcc, exec, s[44:45]
	s_cbranch_vccz .LBB120_265
; %bb.264:
	v_trunc_f32_e32 v3, v2
	s_mov_b32 s36, 0x2f800000
	v_mul_f32_e64 v4, |v3|, s36
	v_floor_f32_e32 v4, v4
	s_mov_b32 s36, 0xcf800000
	v_cvt_u32_f32_e32 v5, v4
	v_fma_f32 v4, v4, s36, |v3|
	v_cvt_u32_f32_e32 v4, v4
	v_ashrrev_i32_e32 v3, 31, v3
	v_xor_b32_e32 v5, v5, v3
	s_mov_b64 s[36:37], 0
	v_xor_b32_e32 v4, v4, v3
	v_sub_co_u32_e32 v4, vcc, v4, v3
	v_subb_co_u32_e32 v5, vcc, v5, v3, vcc
	global_store_dwordx2 v[0:1], v[4:5], off
.LBB120_265:
	s_andn2_b64 vcc, exec, s[36:37]
	s_cbranch_vccnz .LBB120_267
; %bb.266:
	v_cvt_i32_f32_e32 v3, v2
	global_store_dword v[0:1], v3, off
.LBB120_267:
	s_mov_b64 s[36:37], 0
.LBB120_268:
	s_andn2_b64 vcc, exec, s[36:37]
	s_cbranch_vccnz .LBB120_270
; %bb.269:
	v_cvt_i32_f32_e32 v3, v2
	global_store_short v[0:1], v3, off
.LBB120_270:
	s_mov_b64 s[36:37], 0
.LBB120_271:
	s_andn2_b64 vcc, exec, s[36:37]
	s_cbranch_vccnz .LBB120_276
; %bb.272:
	v_mov_b32_e32 v3, 0
	v_cmp_gt_i16_sdwa s[44:45], v6, v3 src0_sel:BYTE_0 src1_sel:DWORD
	s_mov_b64 s[36:37], -1
	s_and_b64 vcc, exec, s[44:45]
	s_cbranch_vccz .LBB120_274
; %bb.273:
	v_cvt_i32_f32_e32 v3, v2
	s_mov_b64 s[36:37], 0
	global_store_byte v[0:1], v3, off
.LBB120_274:
	s_andn2_b64 vcc, exec, s[36:37]
	s_cbranch_vccnz .LBB120_276
; %bb.275:
	v_trunc_f32_e32 v2, v2
	s_mov_b32 s36, 0x2f800000
	v_mul_f32_e64 v3, |v2|, s36
	v_floor_f32_e32 v3, v3
	s_mov_b32 s36, 0xcf800000
	v_fma_f32 v3, v3, s36, |v2|
	v_cvt_u32_f32_e32 v3, v3
	v_ashrrev_i32_e32 v2, 31, v2
	v_xor_b32_e32 v3, v3, v2
	v_sub_u32_e32 v2, v3, v2
	global_store_byte v[0:1], v2, off
.LBB120_276:
	s_mov_b64 s[36:37], -1
.LBB120_277:
	s_andn2_b64 vcc, exec, s[36:37]
	s_cbranch_vccnz .LBB120_279
; %bb.278:
	v_add_u32_e32 v8, 0x80, v8
	s_mov_b64 s[44:45], -1
	s_branch .LBB120_392
.LBB120_279:
	s_mov_b64 s[44:45], 0
                                        ; implicit-def: $vgpr8
	s_branch .LBB120_392
.LBB120_280:
	s_mov_b64 s[38:39], -1
                                        ; implicit-def: $vgpr1
.LBB120_281:
	s_mov_b64 s[36:37], 0
.LBB120_282:
	s_and_b64 vcc, exec, s[36:37]
	s_cbranch_vccz .LBB120_286
; %bb.283:
	v_mov_b32_e32 v1, 29
	v_cmp_eq_u16_sdwa s[36:37], v7, v1 src0_sel:BYTE_0 src1_sel:DWORD
	s_and_b64 vcc, exec, s[36:37]
	s_cbranch_vccz .LBB120_285
; %bb.284:
	global_load_dwordx2 v[4:5], v[2:3], off
	s_mov_b64 s[0:1], -1
	s_mov_b64 s[38:39], 0
	s_mov_b64 s[36:37], 0
	s_waitcnt vmcnt(0)
	v_ffbh_u32_e32 v1, v5
	v_min_u32_e32 v1, 32, v1
	v_lshlrev_b64 v[4:5], v1, v[4:5]
	v_min_u32_e32 v4, 1, v4
	v_or_b32_e32 v4, v5, v4
	v_cvt_f32_u32_e32 v4, v4
	v_sub_u32_e32 v1, 32, v1
	v_ldexp_f32 v1, v4, v1
	s_branch .LBB120_287
.LBB120_285:
	s_mov_b64 s[38:39], -1
                                        ; implicit-def: $vgpr1
.LBB120_286:
	s_mov_b64 s[36:37], 0
.LBB120_287:
	s_and_b64 vcc, exec, s[36:37]
	s_cbranch_vccz .LBB120_305
; %bb.288:
	v_mov_b32_e32 v1, 27
	v_cmp_lt_i16_sdwa s[0:1], v7, v1 src0_sel:BYTE_0 src1_sel:DWORD
	s_and_b64 vcc, exec, s[0:1]
	s_cbranch_vccnz .LBB120_291
; %bb.289:
	v_cmp_gt_i16_sdwa s[0:1], v7, v1 src0_sel:BYTE_0 src1_sel:DWORD
	s_and_b64 vcc, exec, s[0:1]
	s_cbranch_vccz .LBB120_292
; %bb.290:
	global_load_dword v1, v[2:3], off
	s_mov_b64 s[0:1], 0
	s_waitcnt vmcnt(0)
	v_cvt_f32_u32_e32 v1, v1
	s_branch .LBB120_293
.LBB120_291:
	s_mov_b64 s[0:1], -1
                                        ; implicit-def: $vgpr1
	s_branch .LBB120_296
.LBB120_292:
	s_mov_b64 s[0:1], -1
                                        ; implicit-def: $vgpr1
.LBB120_293:
	s_andn2_b64 vcc, exec, s[0:1]
	s_cbranch_vccnz .LBB120_295
; %bb.294:
	global_load_ushort v1, v[2:3], off
	s_waitcnt vmcnt(0)
	v_cvt_f32_u32_e32 v1, v1
.LBB120_295:
	s_mov_b64 s[0:1], 0
.LBB120_296:
	s_andn2_b64 vcc, exec, s[0:1]
	s_cbranch_vccnz .LBB120_304
; %bb.297:
	global_load_ubyte v4, v[2:3], off
	s_movk_i32 s0, 0x7f
                                        ; implicit-def: $sgpr48
	s_waitcnt vmcnt(0)
	v_cmp_lt_i16_e32 vcc, s0, v4
	s_mov_b64 s[0:1], 0
	s_and_saveexec_b64 s[36:37], vcc
	s_xor_b64 s[36:37], exec, s[36:37]
	s_cbranch_execz .LBB120_318
; %bb.298:
	s_movk_i32 s0, 0x80
	v_cmp_eq_u16_e32 vcc, s0, v4
	s_mov_b64 s[0:1], -1
                                        ; implicit-def: $sgpr48
	s_and_saveexec_b64 s[44:45], vcc
; %bb.299:
	s_mov_b32 s48, 0x7f800001
	s_xor_b64 s[0:1], exec, -1
; %bb.300:
	s_or_b64 exec, exec, s[44:45]
	s_and_b64 s[0:1], s[0:1], exec
	s_or_saveexec_b64 s[36:37], s[36:37]
	v_mov_b32_e32 v1, s48
	s_xor_b64 exec, exec, s[36:37]
	s_cbranch_execnz .LBB120_319
.LBB120_301:
	s_or_b64 exec, exec, s[36:37]
	s_and_saveexec_b64 s[36:37], s[0:1]
	s_cbranch_execz .LBB120_303
.LBB120_302:
	v_lshlrev_b32_e32 v1, 24, v4
	v_and_b32_e32 v4, 0xffff, v4
	v_and_b32_e32 v5, 7, v4
	v_ffbh_u32_e32 v12, v5
	v_min_u32_e32 v12, 32, v12
	v_subrev_u32_e32 v13, 28, v12
	v_bfe_u32 v11, v4, 3, 4
	v_lshlrev_b32_e32 v4, v13, v4
	v_sub_u32_e32 v12, 29, v12
	v_and_b32_e32 v4, 7, v4
	v_cmp_eq_u32_e32 vcc, 0, v11
	v_cndmask_b32_e32 v11, v11, v12, vcc
	v_cndmask_b32_e32 v4, v5, v4, vcc
	v_mov_b32_e32 v5, 0x3b800000
	v_lshlrev_b32_e32 v4, 20, v4
	v_and_b32_e32 v1, 0x80000000, v1
	v_lshl_add_u32 v5, v11, 23, v5
	v_or3_b32 v1, v1, v5, v4
.LBB120_303:
	s_or_b64 exec, exec, s[36:37]
.LBB120_304:
	s_mov_b64 s[0:1], -1
.LBB120_305:
	s_mov_b64 s[36:37], 0
.LBB120_306:
	s_and_b64 vcc, exec, s[36:37]
	s_cbranch_vccz .LBB120_341
; %bb.307:
	v_mov_b32_e32 v1, 22
	v_cmp_gt_i16_sdwa s[36:37], v7, v1 src0_sel:BYTE_0 src1_sel:DWORD
	s_and_b64 vcc, exec, s[36:37]
	s_cbranch_vccz .LBB120_317
; %bb.308:
	v_mov_b32_e32 v1, 24
	v_cmp_lt_i16_sdwa s[0:1], v7, v1 src0_sel:BYTE_0 src1_sel:DWORD
	s_and_b64 vcc, exec, s[0:1]
	s_cbranch_vccnz .LBB120_320
; %bb.309:
	v_cmp_gt_i16_sdwa s[0:1], v7, v1 src0_sel:BYTE_0 src1_sel:DWORD
	s_and_b64 vcc, exec, s[0:1]
	s_cbranch_vccz .LBB120_321
; %bb.310:
	global_load_ubyte v4, v[2:3], off
	s_movk_i32 s0, 0x7f
                                        ; implicit-def: $sgpr48
	s_waitcnt vmcnt(0)
	v_cmp_lt_i16_e32 vcc, s0, v4
	s_mov_b64 s[0:1], 0
	s_and_saveexec_b64 s[36:37], vcc
	s_xor_b64 s[36:37], exec, s[36:37]
	s_cbranch_execz .LBB120_333
; %bb.311:
	s_movk_i32 s0, 0x80
	v_cmp_eq_u16_e32 vcc, s0, v4
	s_mov_b64 s[0:1], -1
                                        ; implicit-def: $sgpr48
	s_and_saveexec_b64 s[44:45], vcc
; %bb.312:
	s_mov_b32 s48, 0x7f800001
	s_xor_b64 s[0:1], exec, -1
; %bb.313:
	s_or_b64 exec, exec, s[44:45]
	s_and_b64 s[0:1], s[0:1], exec
	s_or_saveexec_b64 s[36:37], s[36:37]
	v_mov_b32_e32 v1, s48
	s_xor_b64 exec, exec, s[36:37]
	s_cbranch_execnz .LBB120_334
.LBB120_314:
	s_or_b64 exec, exec, s[36:37]
	s_and_saveexec_b64 s[36:37], s[0:1]
	s_cbranch_execz .LBB120_316
.LBB120_315:
	v_lshlrev_b32_e32 v1, 24, v4
	v_and_b32_e32 v4, 0xffff, v4
	v_and_b32_e32 v5, 3, v4
	v_ffbh_u32_e32 v12, v5
	v_min_u32_e32 v12, 32, v12
	v_subrev_u32_e32 v13, 29, v12
	v_bfe_u32 v11, v4, 2, 5
	v_lshlrev_b32_e32 v4, v13, v4
	v_sub_u32_e32 v12, 30, v12
	v_and_b32_e32 v4, 3, v4
	v_cmp_eq_u32_e32 vcc, 0, v11
	v_cndmask_b32_e32 v11, v11, v12, vcc
	v_cndmask_b32_e32 v4, v5, v4, vcc
	v_mov_b32_e32 v5, 0x37800000
	v_lshlrev_b32_e32 v4, 21, v4
	v_and_b32_e32 v1, 0x80000000, v1
	v_lshl_add_u32 v5, v11, 23, v5
	v_or3_b32 v1, v1, v5, v4
.LBB120_316:
	s_or_b64 exec, exec, s[36:37]
	s_mov_b64 s[0:1], 0
	s_branch .LBB120_322
.LBB120_317:
	s_mov_b64 s[36:37], -1
                                        ; implicit-def: $vgpr1
	s_branch .LBB120_328
.LBB120_318:
	s_or_saveexec_b64 s[36:37], s[36:37]
	v_mov_b32_e32 v1, s48
	s_xor_b64 exec, exec, s[36:37]
	s_cbranch_execz .LBB120_301
.LBB120_319:
	v_cmp_ne_u16_e32 vcc, 0, v4
	s_andn2_b64 s[0:1], s[0:1], exec
	s_and_b64 s[44:45], vcc, exec
	v_mov_b32_e32 v1, 0
	s_or_b64 s[0:1], s[0:1], s[44:45]
	s_or_b64 exec, exec, s[36:37]
	s_and_saveexec_b64 s[36:37], s[0:1]
	s_cbranch_execnz .LBB120_302
	s_branch .LBB120_303
.LBB120_320:
	s_mov_b64 s[0:1], -1
                                        ; implicit-def: $vgpr1
	s_branch .LBB120_325
.LBB120_321:
	s_mov_b64 s[0:1], -1
                                        ; implicit-def: $vgpr1
.LBB120_322:
	s_and_b64 vcc, exec, s[0:1]
	s_cbranch_vccz .LBB120_324
; %bb.323:
	global_load_ubyte v1, v[2:3], off
	s_mov_b32 s0, 0x7f800000
	s_waitcnt vmcnt(0)
	v_lshlrev_b32_e32 v1, 24, v1
	v_and_b32_e32 v4, 0x7f000000, v1
	v_ffbh_u32_e32 v5, v4
	v_min_u32_e32 v5, 32, v5
	v_sub_u32_e64 v5, v5, 4 clamp
	v_lshlrev_b32_e32 v12, v5, v4
	v_lshlrev_b32_e32 v5, 23, v5
	v_lshrrev_b32_e32 v12, 4, v12
	v_add_u32_e32 v11, 0x1000000, v4
	v_sub_u32_e32 v5, v12, v5
	v_ashrrev_i32_e32 v11, 8, v11
	v_add_u32_e32 v5, 0x3c000000, v5
	v_and_or_b32 v5, v11, s0, v5
	v_cmp_ne_u32_e32 vcc, 0, v4
	v_cndmask_b32_e32 v4, 0, v5, vcc
	s_brev_b32 s0, 1
	v_and_or_b32 v1, v1, s0, v4
.LBB120_324:
	s_mov_b64 s[0:1], 0
.LBB120_325:
	s_andn2_b64 vcc, exec, s[0:1]
	s_cbranch_vccnz .LBB120_327
; %bb.326:
	global_load_ubyte v1, v[2:3], off
	s_movk_i32 s0, 0x7f00
	s_brev_b32 s1, 16
	s_waitcnt vmcnt(0)
	v_lshlrev_b16_e32 v4, 8, v1
	v_lshlrev_b32_e32 v1, 25, v1
	v_lshrrev_b32_e32 v5, 4, v1
	v_and_or_b32 v11, v4, s0, 0.5
	v_or_b32_e32 v5, 0x70000000, v5
	v_add_f32_e32 v11, -0.5, v11
	v_mul_f32_e32 v5, 0x7800000, v5
	v_cmp_gt_u32_e32 vcc, s1, v1
	v_bfe_i32 v4, v4, 0, 16
	v_cndmask_b32_e32 v1, v5, v11, vcc
	s_brev_b32 s0, 1
	v_and_or_b32 v1, v4, s0, v1
.LBB120_327:
	s_mov_b64 s[36:37], 0
	s_mov_b64 s[0:1], -1
.LBB120_328:
	s_andn2_b64 vcc, exec, s[36:37]
	s_cbranch_vccnz .LBB120_341
; %bb.329:
	v_mov_b32_e32 v1, 14
	v_cmp_gt_i16_sdwa s[36:37], v7, v1 src0_sel:BYTE_0 src1_sel:DWORD
	s_and_b64 vcc, exec, s[36:37]
	s_cbranch_vccz .LBB120_332
; %bb.330:
	v_mov_b32_e32 v1, 15
	v_cmp_eq_u16_sdwa s[36:37], v7, v1 src0_sel:BYTE_0 src1_sel:DWORD
	s_and_b64 vcc, exec, s[36:37]
	s_cbranch_vccz .LBB120_335
; %bb.331:
	global_load_ushort v1, v[2:3], off
	s_mov_b64 s[0:1], -1
	s_mov_b64 s[38:39], 0
	s_waitcnt vmcnt(0)
	v_lshlrev_b32_e32 v1, 16, v1
	s_branch .LBB120_336
.LBB120_332:
	s_mov_b64 s[36:37], -1
                                        ; implicit-def: $vgpr1
	s_branch .LBB120_337
.LBB120_333:
	s_or_saveexec_b64 s[36:37], s[36:37]
	v_mov_b32_e32 v1, s48
	s_xor_b64 exec, exec, s[36:37]
	s_cbranch_execz .LBB120_314
.LBB120_334:
	v_cmp_ne_u16_e32 vcc, 0, v4
	s_andn2_b64 s[0:1], s[0:1], exec
	s_and_b64 s[44:45], vcc, exec
	v_mov_b32_e32 v1, 0
	s_or_b64 s[0:1], s[0:1], s[44:45]
	s_or_b64 exec, exec, s[36:37]
	s_and_saveexec_b64 s[36:37], s[0:1]
	s_cbranch_execnz .LBB120_315
	s_branch .LBB120_316
.LBB120_335:
	s_mov_b64 s[38:39], -1
                                        ; implicit-def: $vgpr1
.LBB120_336:
	s_mov_b64 s[36:37], 0
.LBB120_337:
	s_and_b64 vcc, exec, s[36:37]
	s_cbranch_vccz .LBB120_341
; %bb.338:
	v_mov_b32_e32 v1, 11
	v_cmp_eq_u16_sdwa s[36:37], v7, v1 src0_sel:BYTE_0 src1_sel:DWORD
	s_and_b64 vcc, exec, s[36:37]
	s_cbranch_vccz .LBB120_340
; %bb.339:
	global_load_ubyte v1, v[2:3], off
	s_mov_b64 s[0:1], -1
	s_mov_b64 s[38:39], 0
	s_waitcnt vmcnt(0)
	v_cmp_ne_u16_e32 vcc, 0, v1
	v_cndmask_b32_e64 v1, 0, 1.0, vcc
	s_branch .LBB120_341
.LBB120_340:
	s_mov_b64 s[38:39], -1
                                        ; implicit-def: $vgpr1
.LBB120_341:
	s_branch .LBB120_30
.LBB120_342:
	v_mov_b32_e32 v1, 5
	v_cmp_lt_i16_sdwa s[0:1], v7, v1 src0_sel:BYTE_0 src1_sel:DWORD
	s_and_b64 vcc, exec, s[0:1]
	s_cbranch_vccnz .LBB120_347
; %bb.343:
	v_mov_b32_e32 v1, 8
	v_cmp_lt_i16_sdwa s[0:1], v7, v1 src0_sel:BYTE_0 src1_sel:DWORD
	s_and_b64 vcc, exec, s[0:1]
	s_cbranch_vccnz .LBB120_348
; %bb.344:
	;; [unrolled: 5-line block ×3, first 2 shown]
	v_cmp_gt_i16_sdwa s[0:1], v7, v1 src0_sel:BYTE_0 src1_sel:DWORD
	s_and_b64 vcc, exec, s[0:1]
	s_cbranch_vccz .LBB120_350
; %bb.346:
	global_load_dwordx2 v[4:5], v[2:3], off
	s_mov_b64 s[0:1], 0
	s_waitcnt vmcnt(0)
	v_cvt_f32_f64_e32 v1, v[4:5]
	s_branch .LBB120_351
.LBB120_347:
	s_mov_b64 s[0:1], -1
                                        ; implicit-def: $vgpr1
	s_branch .LBB120_369
.LBB120_348:
	s_mov_b64 s[0:1], -1
                                        ; implicit-def: $vgpr1
	s_branch .LBB120_357
.LBB120_349:
	s_mov_b64 s[0:1], -1
                                        ; implicit-def: $vgpr1
	s_branch .LBB120_354
.LBB120_350:
	s_mov_b64 s[0:1], -1
                                        ; implicit-def: $vgpr1
.LBB120_351:
	s_andn2_b64 vcc, exec, s[0:1]
	s_cbranch_vccnz .LBB120_353
; %bb.352:
	global_load_dword v1, v[2:3], off
.LBB120_353:
	s_mov_b64 s[0:1], 0
.LBB120_354:
	s_andn2_b64 vcc, exec, s[0:1]
	s_cbranch_vccnz .LBB120_356
; %bb.355:
	global_load_dword v1, v[2:3], off
	s_waitcnt vmcnt(0)
	v_cvt_f32_f16_e32 v1, v1
.LBB120_356:
	s_mov_b64 s[0:1], 0
.LBB120_357:
	s_andn2_b64 vcc, exec, s[0:1]
	s_cbranch_vccnz .LBB120_368
; %bb.358:
	s_waitcnt vmcnt(0)
	v_mov_b32_e32 v1, 6
	v_cmp_lt_i16_sdwa s[0:1], v7, v1 src0_sel:BYTE_0 src1_sel:DWORD
	s_and_b64 vcc, exec, s[0:1]
	s_cbranch_vccnz .LBB120_361
; %bb.359:
	v_cmp_gt_i16_sdwa s[0:1], v7, v1 src0_sel:BYTE_0 src1_sel:DWORD
	s_and_b64 vcc, exec, s[0:1]
	s_cbranch_vccz .LBB120_362
; %bb.360:
	global_load_dwordx2 v[4:5], v[2:3], off
	s_mov_b64 s[0:1], 0
	s_waitcnt vmcnt(0)
	v_cvt_f32_f64_e32 v1, v[4:5]
	s_branch .LBB120_363
.LBB120_361:
	s_mov_b64 s[0:1], -1
                                        ; implicit-def: $vgpr1
	s_branch .LBB120_366
.LBB120_362:
	s_mov_b64 s[0:1], -1
                                        ; implicit-def: $vgpr1
.LBB120_363:
	s_andn2_b64 vcc, exec, s[0:1]
	s_cbranch_vccnz .LBB120_365
; %bb.364:
	global_load_dword v1, v[2:3], off
.LBB120_365:
	s_mov_b64 s[0:1], 0
.LBB120_366:
	s_andn2_b64 vcc, exec, s[0:1]
	s_cbranch_vccnz .LBB120_368
; %bb.367:
	global_load_ushort v1, v[2:3], off
	s_waitcnt vmcnt(0)
	v_cvt_f32_f16_e32 v1, v1
.LBB120_368:
	s_mov_b64 s[0:1], 0
.LBB120_369:
	s_andn2_b64 vcc, exec, s[0:1]
	s_cbranch_vccnz .LBB120_389
; %bb.370:
	s_waitcnt vmcnt(0)
	v_mov_b32_e32 v1, 2
	v_cmp_lt_i16_sdwa s[0:1], v7, v1 src0_sel:BYTE_0 src1_sel:DWORD
	s_and_b64 vcc, exec, s[0:1]
	s_cbranch_vccnz .LBB120_374
; %bb.371:
	v_mov_b32_e32 v1, 3
	v_cmp_lt_i16_sdwa s[0:1], v7, v1 src0_sel:BYTE_0 src1_sel:DWORD
	s_and_b64 vcc, exec, s[0:1]
	s_cbranch_vccnz .LBB120_375
; %bb.372:
	v_cmp_gt_i16_sdwa s[0:1], v7, v1 src0_sel:BYTE_0 src1_sel:DWORD
	s_and_b64 vcc, exec, s[0:1]
	s_cbranch_vccz .LBB120_376
; %bb.373:
	global_load_dwordx2 v[4:5], v[2:3], off
	s_mov_b64 s[0:1], 0
	s_waitcnt vmcnt(0)
	v_xor_b32_e32 v11, v4, v5
	v_ffbh_i32_e32 v1, v5
	v_ashrrev_i32_e32 v11, 31, v11
	v_add_u32_e32 v1, -1, v1
	v_add_u32_e32 v11, 32, v11
	v_min_u32_e32 v1, v1, v11
	v_lshlrev_b64 v[4:5], v1, v[4:5]
	v_min_u32_e32 v4, 1, v4
	v_or_b32_e32 v4, v5, v4
	v_cvt_f32_i32_e32 v4, v4
	v_sub_u32_e32 v1, 32, v1
	v_ldexp_f32 v1, v4, v1
	s_branch .LBB120_377
.LBB120_374:
	s_mov_b64 s[0:1], -1
                                        ; implicit-def: $vgpr1
	s_branch .LBB120_383
.LBB120_375:
	s_mov_b64 s[0:1], -1
                                        ; implicit-def: $vgpr1
	s_branch .LBB120_380
.LBB120_376:
	s_mov_b64 s[0:1], -1
                                        ; implicit-def: $vgpr1
.LBB120_377:
	s_andn2_b64 vcc, exec, s[0:1]
	s_cbranch_vccnz .LBB120_379
; %bb.378:
	global_load_dword v1, v[2:3], off
	s_waitcnt vmcnt(0)
	v_cvt_f32_i32_e32 v1, v1
.LBB120_379:
	s_mov_b64 s[0:1], 0
.LBB120_380:
	s_andn2_b64 vcc, exec, s[0:1]
	s_cbranch_vccnz .LBB120_382
; %bb.381:
	global_load_sshort v1, v[2:3], off
	s_waitcnt vmcnt(0)
	v_cvt_f32_i32_e32 v1, v1
.LBB120_382:
	s_mov_b64 s[0:1], 0
.LBB120_383:
	s_andn2_b64 vcc, exec, s[0:1]
	s_cbranch_vccnz .LBB120_389
; %bb.384:
	v_mov_b32_e32 v1, 0
	v_cmp_gt_i16_sdwa s[0:1], v7, v1 src0_sel:BYTE_0 src1_sel:DWORD
	s_and_b64 vcc, exec, s[0:1]
	s_cbranch_vccz .LBB120_386
; %bb.385:
	global_load_sbyte v1, v[2:3], off
	s_mov_b64 s[0:1], 0
	s_waitcnt vmcnt(0)
	v_cvt_f32_i32_e32 v1, v1
	s_branch .LBB120_387
.LBB120_386:
	s_mov_b64 s[0:1], -1
                                        ; implicit-def: $vgpr1
.LBB120_387:
	s_andn2_b64 vcc, exec, s[0:1]
	s_cbranch_vccnz .LBB120_389
; %bb.388:
	global_load_ubyte v1, v[2:3], off
	s_waitcnt vmcnt(0)
	v_cvt_f32_ubyte0_e32 v1, v1
.LBB120_389:
	s_branch .LBB120_31
.LBB120_390:
	s_mov_b64 s[0:1], 0
.LBB120_391:
                                        ; implicit-def: $vgpr8
	s_mov_b64 s[44:45], 0
.LBB120_392:
	s_and_b64 s[36:37], s[0:1], exec
	s_and_b64 s[38:39], s[38:39], exec
	;; [unrolled: 1-line block ×3, first 2 shown]
	s_orn2_b64 s[0:1], s[44:45], exec
.LBB120_393:
	s_or_b64 exec, exec, s[42:43]
	s_mov_b64 s[50:51], 0
	s_mov_b64 s[48:49], 0
                                        ; implicit-def: $vgpr3
                                        ; implicit-def: $vgpr4_vgpr5
                                        ; implicit-def: $vgpr2
                                        ; implicit-def: $vgpr0
                                        ; implicit-def: $vgpr1
	s_and_saveexec_b64 s[42:43], s[0:1]
	s_cbranch_execz .LBB120_402
; %bb.394:
	v_cmp_gt_i32_e32 vcc, s66, v8
	s_mov_b64 s[0:1], -1
	s_mov_b64 s[44:45], s[40:41]
	s_mov_b64 s[46:47], s[38:39]
	;; [unrolled: 1-line block ×3, first 2 shown]
	s_and_saveexec_b64 s[50:51], vcc
	s_cbranch_execz .LBB120_793
; %bb.395:
	s_andn2_b64 vcc, exec, s[20:21]
	s_cbranch_vccnz .LBB120_405
; %bb.396:
	s_andn2_b64 vcc, exec, s[34:35]
	v_mov_b32_e32 v2, 0
	v_mov_b32_e32 v4, 0
	;; [unrolled: 1-line block ×3, first 2 shown]
	s_cbranch_vccnz .LBB120_401
; %bb.397:
	s_add_i32 s0, s69, 1
	s_and_b32 s44, s0, 30
	s_add_u32 s0, s2, 0xffffffec
	s_addc_u32 s1, s3, -1
	v_mov_b32_e32 v0, 0
	s_waitcnt vmcnt(0)
	v_mov_b32_e32 v1, v8
	v_mov_b32_e32 v4, 0
	;; [unrolled: 1-line block ×3, first 2 shown]
.LBB120_398:                            ; =>This Inner Loop Header: Depth=1
	s_mov_b64 s[46:47], s[0:1]
	s_load_dwordx4 s[52:55], s[46:47], 0x18
	s_load_dwordx2 s[48:49], s[46:47], 0x28
	s_load_dwordx2 s[60:61], s[46:47], 0xe8
	s_load_dwordx4 s[56:59], s[46:47], 0xd8
	s_add_u32 s0, s46, 24
	s_waitcnt lgkmcnt(0)
	v_mul_hi_u32 v3, s53, v1
	v_add_u32_e32 v3, v1, v3
	v_lshrrev_b32_e32 v3, s54, v3
	v_mul_lo_u32 v5, v3, s52
	v_mul_hi_u32 v10, s48, v3
	v_sub_u32_e32 v1, v1, v5
	v_add_u32_e32 v5, v3, v10
	v_mul_lo_u32 v10, v1, s56
	v_mul_lo_u32 v11, v1, s57
	;; [unrolled: 1-line block ×3, first 2 shown]
	v_lshrrev_b32_e32 v1, s49, v5
	v_mul_lo_u32 v5, v1, s55
	v_sub_u32_e32 v3, v3, v5
	s_addc_u32 s1, s47, 0
	s_add_i32 s44, s44, -2
	v_mul_lo_u32 v5, v3, s59
	v_mul_lo_u32 v13, v3, s60
	;; [unrolled: 1-line block ×3, first 2 shown]
	s_cmp_eq_u32 s44, 0
	v_add3_u32 v0, v10, v0, v5
	v_add3_u32 v2, v12, v2, v3
	;; [unrolled: 1-line block ×3, first 2 shown]
	s_cbranch_scc0 .LBB120_398
; %bb.399:
	s_bitcmp1_b32 s69, 0
	s_cselect_b64 s[44:45], -1, 0
	s_and_b64 vcc, exec, s[44:45]
	s_cbranch_vccnz .LBB120_401
; %bb.400:
	s_load_dwordx2 s[44:45], s[0:1], 0x18
	s_load_dword s46, s[0:1], 0x20
	s_load_dword s47, s[0:1], 0xe0
	s_nop 0
	s_load_dwordx2 s[0:1], s[0:1], 0xd8
	s_waitcnt lgkmcnt(0)
	v_mul_hi_u32 v3, s45, v1
	v_add_u32_e32 v3, v1, v3
	v_lshrrev_b32_e32 v3, s46, v3
	v_mul_lo_u32 v3, v3, s44
	v_sub_u32_e32 v3, v1, v3
	v_mad_u64_u32 v[0:1], s[44:45], v3, s0, v[0:1]
	v_mad_u64_u32 v[4:5], s[0:1], v3, s1, v[4:5]
	;; [unrolled: 1-line block ×3, first 2 shown]
.LBB120_401:
	s_cbranch_execz .LBB120_406
	s_branch .LBB120_408
.LBB120_402:
	s_or_b64 exec, exec, s[42:43]
	s_waitcnt lgkmcnt(0)
	s_mov_b64 s[10:11], 0
	s_and_saveexec_b64 s[0:1], s[40:41]
	s_cbranch_execnz .LBB120_1289
.LBB120_403:
	s_or_b64 exec, exec, s[0:1]
	s_and_saveexec_b64 s[0:1], s[46:47]
	s_xor_b64 s[0:1], exec, s[0:1]
	s_cbranch_execz .LBB120_1290
.LBB120_404:
	global_load_ubyte v1, v[4:5], off
	s_or_b64 s[48:49], s[48:49], exec
	s_waitcnt vmcnt(0)
	v_cmp_ne_u16_e32 vcc, 0, v1
	v_cndmask_b32_e64 v1, 0, 1.0, vcc
	s_or_b64 exec, exec, s[0:1]
	s_and_saveexec_b64 s[0:1], s[50:51]
	s_cbranch_execz .LBB120_1336
	s_branch .LBB120_1291
.LBB120_405:
                                        ; implicit-def: $vgpr2
                                        ; implicit-def: $vgpr4
                                        ; implicit-def: $vgpr0
	s_andn2_b64 vcc, exec, s[0:1]
	s_cbranch_vccnz .LBB120_408
.LBB120_406:
	s_waitcnt lgkmcnt(0)
	v_mul_hi_u32 v0, s17, v8
	v_add_u32_e32 v0, v8, v0
	s_waitcnt vmcnt(0)
	v_lshrrev_b32_e32 v1, s18, v0
	v_mul_lo_u32 v0, v1, s16
	v_sub_u32_e32 v3, v8, v0
	v_mul_lo_u32 v0, v3, s12
	v_mul_lo_u32 v2, v3, s14
	s_andn2_b64 vcc, exec, s[30:31]
	v_mul_lo_u32 v4, v3, s13
	s_cbranch_vccnz .LBB120_408
; %bb.407:
	v_mul_hi_u32 v3, s28, v1
	v_add_u32_e32 v3, v1, v3
	v_lshrrev_b32_e32 v3, s29, v3
	v_mul_lo_u32 v3, v3, s19
	v_sub_u32_e32 v3, v1, v3
	v_mad_u64_u32 v[0:1], s[0:1], v3, s15, v[0:1]
	v_mad_u64_u32 v[4:5], s[0:1], v3, s26, v[4:5]
	;; [unrolled: 1-line block ×3, first 2 shown]
.LBB120_408:
	s_waitcnt vmcnt(0) lgkmcnt(0)
	v_mov_b32_e32 v1, s11
	v_add_co_u32_e32 v4, vcc, s10, v4
	v_addc_co_u32_e32 v5, vcc, 0, v1, vcc
	v_mov_b32_e32 v1, 11
	v_cmp_lt_i16_sdwa s[0:1], v9, v1 src0_sel:BYTE_0 src1_sel:DWORD
	s_and_b64 vcc, exec, s[0:1]
	s_cbranch_vccnz .LBB120_415
; %bb.409:
	v_mov_b32_e32 v1, 25
	v_cmp_gt_i16_sdwa s[0:1], v9, v1 src0_sel:BYTE_0 src1_sel:DWORD
	s_and_b64 vcc, exec, s[0:1]
	s_cbranch_vccz .LBB120_424
; %bb.410:
	v_mov_b32_e32 v1, 28
	v_cmp_gt_i16_sdwa s[0:1], v9, v1 src0_sel:BYTE_0 src1_sel:DWORD
	s_and_b64 vcc, exec, s[0:1]
	s_cbranch_vccz .LBB120_426
	;; [unrolled: 5-line block ×4, first 2 shown]
; %bb.413:
	v_mov_b32_e32 v1, 46
	v_cmp_eq_u16_sdwa s[0:1], v9, v1 src0_sel:BYTE_0 src1_sel:DWORD
	s_mov_b64 s[46:47], 0
	s_and_b64 vcc, exec, s[0:1]
	s_cbranch_vccz .LBB120_434
; %bb.414:
	global_load_dword v1, v[4:5], off
	s_mov_b64 s[0:1], -1
	s_mov_b64 s[44:45], 0
	s_waitcnt vmcnt(0)
	v_lshlrev_b32_e32 v10, 16, v1
	s_branch .LBB120_435
.LBB120_415:
	s_mov_b64 s[0:1], 0
                                        ; implicit-def: $vgpr10
	s_mov_b64 s[44:45], s[40:41]
	s_cbranch_execnz .LBB120_501
.LBB120_416:
	s_andn2_b64 vcc, exec, s[0:1]
	s_cbranch_vccnz .LBB120_549
.LBB120_417:
	v_mov_b32_e32 v1, s25
	v_add_co_u32_e32 v2, vcc, s24, v2
	v_addc_co_u32_e32 v3, vcc, 0, v1, vcc
	v_mov_b32_e32 v1, 11
	v_cmp_lt_i16_sdwa s[0:1], v7, v1 src0_sel:BYTE_0 src1_sel:DWORD
	s_and_b64 vcc, exec, s[0:1]
	s_cbranch_vccnz .LBB120_425
; %bb.418:
	v_mov_b32_e32 v1, 25
	v_cmp_gt_i16_sdwa s[0:1], v7, v1 src0_sel:BYTE_0 src1_sel:DWORD
	s_and_b64 vcc, exec, s[0:1]
	s_cbranch_vccz .LBB120_427
; %bb.419:
	v_mov_b32_e32 v1, 28
	v_cmp_gt_i16_sdwa s[0:1], v7, v1 src0_sel:BYTE_0 src1_sel:DWORD
	s_and_b64 vcc, exec, s[0:1]
	s_cbranch_vccz .LBB120_429
	;; [unrolled: 5-line block ×4, first 2 shown]
; %bb.422:
	v_mov_b32_e32 v1, 46
	v_cmp_eq_u16_sdwa s[0:1], v7, v1 src0_sel:BYTE_0 src1_sel:DWORD
	s_mov_b64 s[48:49], 0
	s_and_b64 vcc, exec, s[0:1]
	s_cbranch_vccz .LBB120_553
; %bb.423:
	global_load_dword v1, v[2:3], off
	s_mov_b64 s[0:1], -1
	s_mov_b64 s[46:47], 0
	s_waitcnt vmcnt(0)
	v_lshlrev_b32_e32 v1, 16, v1
	s_branch .LBB120_554
.LBB120_424:
	s_mov_b64 s[46:47], -1
	s_mov_b64 s[0:1], 0
	s_mov_b64 s[44:45], s[40:41]
                                        ; implicit-def: $vgpr10
	s_branch .LBB120_465
.LBB120_425:
	s_mov_b64 s[48:49], -1
	s_mov_b64 s[0:1], 0
                                        ; implicit-def: $vgpr1
	s_mov_b64 s[46:47], s[38:39]
	s_branch .LBB120_619
.LBB120_426:
	s_mov_b64 s[46:47], -1
	s_mov_b64 s[0:1], 0
	s_mov_b64 s[44:45], s[40:41]
                                        ; implicit-def: $vgpr10
	s_branch .LBB120_446
.LBB120_427:
	s_mov_b64 s[48:49], -1
	s_mov_b64 s[0:1], 0
	s_mov_b64 s[46:47], s[38:39]
                                        ; implicit-def: $vgpr1
	s_branch .LBB120_583
.LBB120_428:
	s_mov_b64 s[46:47], -1
	s_mov_b64 s[0:1], 0
	s_mov_b64 s[44:45], s[40:41]
                                        ; implicit-def: $vgpr10
	s_branch .LBB120_441
.LBB120_429:
	s_mov_b64 s[48:49], -1
	s_mov_b64 s[0:1], 0
	s_mov_b64 s[46:47], s[38:39]
                                        ; implicit-def: $vgpr1
	s_branch .LBB120_564
.LBB120_430:
	s_mov_b64 s[46:47], -1
	s_mov_b64 s[0:1], 0
	s_mov_b64 s[44:45], s[40:41]
                                        ; implicit-def: $vgpr10
	s_branch .LBB120_435
.LBB120_431:
	s_mov_b64 s[48:49], -1
	s_mov_b64 s[0:1], 0
	s_mov_b64 s[46:47], s[38:39]
                                        ; implicit-def: $vgpr1
	s_branch .LBB120_559
.LBB120_432:
	s_or_saveexec_b64 s[48:49], s[48:49]
                                        ; implicit-def: $sgpr50
	s_xor_b64 exec, exec, s[48:49]
	s_cbranch_execz .LBB120_190
.LBB120_433:
	s_mov_b32 s50, 0x46000000
	v_add_f32_e64 v3, |v10|, s50
	v_and_b32_e32 v3, 0xff, v3
	v_cmp_ne_u32_e32 vcc, 0, v3
	s_andn2_b64 s[44:45], s[44:45], exec
	s_and_b64 s[52:53], vcc, exec
	s_mov_b32 s50, 0
	s_or_b64 s[44:45], s[44:45], s[52:53]
	s_or_b64 exec, exec, s[48:49]
	v_mov_b32_e32 v4, s50
	s_and_saveexec_b64 s[48:49], s[44:45]
	s_cbranch_execnz .LBB120_191
	s_branch .LBB120_192
.LBB120_434:
	s_mov_b64 s[44:45], -1
                                        ; implicit-def: $vgpr10
	s_mov_b64 s[0:1], 0
.LBB120_435:
	s_and_b64 vcc, exec, s[46:47]
	s_cbranch_vccz .LBB120_440
; %bb.436:
	v_mov_b32_e32 v1, 44
	v_cmp_eq_u16_sdwa s[44:45], v9, v1 src0_sel:BYTE_0 src1_sel:DWORD
	s_and_b64 vcc, exec, s[44:45]
	s_cbranch_vccz .LBB120_439
; %bb.437:
	global_load_ubyte v1, v[4:5], off
	s_movk_i32 s44, 0xff
	v_mov_b32_e32 v3, 0x7f800001
	v_mov_b32_e32 v10, 0x400000
	s_mov_b64 s[0:1], -1
	s_waitcnt vmcnt(0)
	v_lshlrev_b32_e32 v11, 23, v1
	v_cmp_ne_u32_e32 vcc, s44, v1
	v_cndmask_b32_e32 v3, v3, v11, vcc
	v_cmp_ne_u32_e32 vcc, 0, v1
	v_cndmask_b32_e32 v10, v10, v3, vcc
	s_mov_b64 s[44:45], 0
	s_branch .LBB120_440
.LBB120_438:
	s_mov_b64 s[48:49], -1
	s_mov_b64 s[0:1], 0
	s_mov_b64 s[46:47], s[38:39]
                                        ; implicit-def: $vgpr1
	s_branch .LBB120_554
.LBB120_439:
	s_mov_b64 s[44:45], -1
                                        ; implicit-def: $vgpr10
.LBB120_440:
	s_mov_b64 s[46:47], 0
.LBB120_441:
	s_and_b64 vcc, exec, s[46:47]
	s_cbranch_vccz .LBB120_445
; %bb.442:
	v_mov_b32_e32 v1, 29
	v_cmp_eq_u16_sdwa s[44:45], v9, v1 src0_sel:BYTE_0 src1_sel:DWORD
	s_and_b64 vcc, exec, s[44:45]
	s_cbranch_vccz .LBB120_444
; %bb.443:
	global_load_dwordx2 v[10:11], v[4:5], off
	s_mov_b64 s[0:1], -1
	s_mov_b64 s[44:45], 0
	s_mov_b64 s[46:47], 0
	s_waitcnt vmcnt(0)
	v_ffbh_u32_e32 v1, v11
	v_min_u32_e32 v1, 32, v1
	v_lshlrev_b64 v[10:11], v1, v[10:11]
	v_min_u32_e32 v3, 1, v10
	v_or_b32_e32 v3, v11, v3
	v_cvt_f32_u32_e32 v3, v3
	v_sub_u32_e32 v1, 32, v1
	v_ldexp_f32 v10, v3, v1
	s_branch .LBB120_446
.LBB120_444:
	s_mov_b64 s[44:45], -1
                                        ; implicit-def: $vgpr10
.LBB120_445:
	s_mov_b64 s[46:47], 0
.LBB120_446:
	s_and_b64 vcc, exec, s[46:47]
	s_cbranch_vccz .LBB120_464
; %bb.447:
	v_mov_b32_e32 v1, 27
	v_cmp_lt_i16_sdwa s[0:1], v9, v1 src0_sel:BYTE_0 src1_sel:DWORD
	s_and_b64 vcc, exec, s[0:1]
	s_cbranch_vccnz .LBB120_450
; %bb.448:
	v_cmp_gt_i16_sdwa s[0:1], v9, v1 src0_sel:BYTE_0 src1_sel:DWORD
	s_and_b64 vcc, exec, s[0:1]
	s_cbranch_vccz .LBB120_451
; %bb.449:
	global_load_dword v1, v[4:5], off
	s_mov_b64 s[0:1], 0
	s_waitcnt vmcnt(0)
	v_cvt_f32_u32_e32 v10, v1
	s_branch .LBB120_452
.LBB120_450:
	s_mov_b64 s[0:1], -1
                                        ; implicit-def: $vgpr10
	s_branch .LBB120_455
.LBB120_451:
	s_mov_b64 s[0:1], -1
                                        ; implicit-def: $vgpr10
.LBB120_452:
	s_andn2_b64 vcc, exec, s[0:1]
	s_cbranch_vccnz .LBB120_454
; %bb.453:
	global_load_ushort v1, v[4:5], off
	s_waitcnt vmcnt(0)
	v_cvt_f32_u32_e32 v10, v1
.LBB120_454:
	s_mov_b64 s[0:1], 0
.LBB120_455:
	s_andn2_b64 vcc, exec, s[0:1]
	s_cbranch_vccnz .LBB120_463
; %bb.456:
	global_load_ubyte v1, v[4:5], off
	s_movk_i32 s0, 0x7f
                                        ; implicit-def: $sgpr52
	s_waitcnt vmcnt(0)
	v_cmp_lt_i16_e32 vcc, s0, v1
	s_mov_b64 s[0:1], 0
	s_and_saveexec_b64 s[46:47], vcc
	s_xor_b64 s[46:47], exec, s[46:47]
	s_cbranch_execz .LBB120_477
; %bb.457:
	s_movk_i32 s0, 0x80
	v_cmp_eq_u16_e32 vcc, s0, v1
	s_mov_b64 s[0:1], -1
                                        ; implicit-def: $sgpr52
	s_and_saveexec_b64 s[48:49], vcc
; %bb.458:
	s_mov_b32 s52, 0x7f800001
	s_xor_b64 s[0:1], exec, -1
; %bb.459:
	s_or_b64 exec, exec, s[48:49]
	s_and_b64 s[0:1], s[0:1], exec
	s_or_saveexec_b64 s[46:47], s[46:47]
	v_mov_b32_e32 v10, s52
	s_xor_b64 exec, exec, s[46:47]
	s_cbranch_execnz .LBB120_478
.LBB120_460:
	s_or_b64 exec, exec, s[46:47]
	s_and_saveexec_b64 s[46:47], s[0:1]
	s_cbranch_execz .LBB120_462
.LBB120_461:
	v_lshlrev_b32_e32 v3, 24, v1
	v_and_b32_e32 v1, 0xffff, v1
	v_and_b32_e32 v10, 7, v1
	v_ffbh_u32_e32 v12, v10
	v_min_u32_e32 v12, 32, v12
	v_subrev_u32_e32 v13, 28, v12
	v_bfe_u32 v11, v1, 3, 4
	v_lshlrev_b32_e32 v1, v13, v1
	v_sub_u32_e32 v12, 29, v12
	v_and_b32_e32 v1, 7, v1
	v_cmp_eq_u32_e32 vcc, 0, v11
	v_cndmask_b32_e32 v11, v11, v12, vcc
	v_cndmask_b32_e32 v1, v10, v1, vcc
	v_mov_b32_e32 v10, 0x3b800000
	v_lshlrev_b32_e32 v1, 20, v1
	v_and_b32_e32 v3, 0x80000000, v3
	v_lshl_add_u32 v10, v11, 23, v10
	v_or3_b32 v10, v3, v10, v1
.LBB120_462:
	s_or_b64 exec, exec, s[46:47]
.LBB120_463:
	s_mov_b64 s[0:1], -1
.LBB120_464:
	s_mov_b64 s[46:47], 0
.LBB120_465:
	s_and_b64 vcc, exec, s[46:47]
	s_cbranch_vccz .LBB120_500
; %bb.466:
	v_mov_b32_e32 v1, 22
	v_cmp_gt_i16_sdwa s[46:47], v9, v1 src0_sel:BYTE_0 src1_sel:DWORD
	s_and_b64 vcc, exec, s[46:47]
	s_cbranch_vccz .LBB120_476
; %bb.467:
	v_mov_b32_e32 v1, 24
	v_cmp_lt_i16_sdwa s[0:1], v9, v1 src0_sel:BYTE_0 src1_sel:DWORD
	s_and_b64 vcc, exec, s[0:1]
	s_cbranch_vccnz .LBB120_479
; %bb.468:
	v_cmp_gt_i16_sdwa s[0:1], v9, v1 src0_sel:BYTE_0 src1_sel:DWORD
	s_and_b64 vcc, exec, s[0:1]
	s_cbranch_vccz .LBB120_480
; %bb.469:
	global_load_ubyte v1, v[4:5], off
	s_movk_i32 s0, 0x7f
                                        ; implicit-def: $sgpr52
	s_waitcnt vmcnt(0)
	v_cmp_lt_i16_e32 vcc, s0, v1
	s_mov_b64 s[0:1], 0
	s_and_saveexec_b64 s[46:47], vcc
	s_xor_b64 s[46:47], exec, s[46:47]
	s_cbranch_execz .LBB120_492
; %bb.470:
	s_movk_i32 s0, 0x80
	v_cmp_eq_u16_e32 vcc, s0, v1
	s_mov_b64 s[0:1], -1
                                        ; implicit-def: $sgpr52
	s_and_saveexec_b64 s[48:49], vcc
; %bb.471:
	s_mov_b32 s52, 0x7f800001
	s_xor_b64 s[0:1], exec, -1
; %bb.472:
	s_or_b64 exec, exec, s[48:49]
	s_and_b64 s[0:1], s[0:1], exec
	s_or_saveexec_b64 s[46:47], s[46:47]
	v_mov_b32_e32 v10, s52
	s_xor_b64 exec, exec, s[46:47]
	s_cbranch_execnz .LBB120_493
.LBB120_473:
	s_or_b64 exec, exec, s[46:47]
	s_and_saveexec_b64 s[46:47], s[0:1]
	s_cbranch_execz .LBB120_475
.LBB120_474:
	v_lshlrev_b32_e32 v3, 24, v1
	v_and_b32_e32 v1, 0xffff, v1
	v_and_b32_e32 v10, 3, v1
	v_ffbh_u32_e32 v12, v10
	v_min_u32_e32 v12, 32, v12
	v_subrev_u32_e32 v13, 29, v12
	v_bfe_u32 v11, v1, 2, 5
	v_lshlrev_b32_e32 v1, v13, v1
	v_sub_u32_e32 v12, 30, v12
	v_and_b32_e32 v1, 3, v1
	v_cmp_eq_u32_e32 vcc, 0, v11
	v_cndmask_b32_e32 v11, v11, v12, vcc
	v_cndmask_b32_e32 v1, v10, v1, vcc
	v_mov_b32_e32 v10, 0x37800000
	v_lshlrev_b32_e32 v1, 21, v1
	v_and_b32_e32 v3, 0x80000000, v3
	v_lshl_add_u32 v10, v11, 23, v10
	v_or3_b32 v10, v3, v10, v1
.LBB120_475:
	s_or_b64 exec, exec, s[46:47]
	s_mov_b64 s[0:1], 0
	s_branch .LBB120_481
.LBB120_476:
	s_mov_b64 s[46:47], -1
                                        ; implicit-def: $vgpr10
	s_branch .LBB120_487
.LBB120_477:
	s_or_saveexec_b64 s[46:47], s[46:47]
	v_mov_b32_e32 v10, s52
	s_xor_b64 exec, exec, s[46:47]
	s_cbranch_execz .LBB120_460
.LBB120_478:
	v_cmp_ne_u16_e32 vcc, 0, v1
	s_andn2_b64 s[0:1], s[0:1], exec
	s_and_b64 s[48:49], vcc, exec
	v_mov_b32_e32 v10, 0
	s_or_b64 s[0:1], s[0:1], s[48:49]
	s_or_b64 exec, exec, s[46:47]
	s_and_saveexec_b64 s[46:47], s[0:1]
	s_cbranch_execnz .LBB120_461
	s_branch .LBB120_462
.LBB120_479:
	s_mov_b64 s[0:1], -1
                                        ; implicit-def: $vgpr10
	s_branch .LBB120_484
.LBB120_480:
	s_mov_b64 s[0:1], -1
                                        ; implicit-def: $vgpr10
.LBB120_481:
	s_and_b64 vcc, exec, s[0:1]
	s_cbranch_vccz .LBB120_483
; %bb.482:
	global_load_ubyte v1, v[4:5], off
	s_mov_b32 s0, 0x7f800000
	s_waitcnt vmcnt(0)
	v_lshlrev_b32_e32 v1, 24, v1
	v_and_b32_e32 v3, 0x7f000000, v1
	v_ffbh_u32_e32 v10, v3
	v_min_u32_e32 v10, 32, v10
	v_sub_u32_e64 v10, v10, 4 clamp
	v_lshlrev_b32_e32 v12, v10, v3
	v_lshlrev_b32_e32 v10, 23, v10
	v_lshrrev_b32_e32 v12, 4, v12
	v_add_u32_e32 v11, 0x1000000, v3
	v_sub_u32_e32 v10, v12, v10
	v_ashrrev_i32_e32 v11, 8, v11
	v_add_u32_e32 v10, 0x3c000000, v10
	v_and_or_b32 v10, v11, s0, v10
	v_cmp_ne_u32_e32 vcc, 0, v3
	v_cndmask_b32_e32 v3, 0, v10, vcc
	s_brev_b32 s0, 1
	v_and_or_b32 v10, v1, s0, v3
.LBB120_483:
	s_mov_b64 s[0:1], 0
.LBB120_484:
	s_andn2_b64 vcc, exec, s[0:1]
	s_cbranch_vccnz .LBB120_486
; %bb.485:
	global_load_ubyte v1, v[4:5], off
	s_movk_i32 s0, 0x7f00
	s_brev_b32 s1, 16
	s_waitcnt vmcnt(0)
	v_lshlrev_b16_e32 v3, 8, v1
	v_lshlrev_b32_e32 v1, 25, v1
	v_lshrrev_b32_e32 v10, 4, v1
	v_and_or_b32 v11, v3, s0, 0.5
	v_or_b32_e32 v10, 0x70000000, v10
	v_add_f32_e32 v11, -0.5, v11
	v_mul_f32_e32 v10, 0x7800000, v10
	v_cmp_gt_u32_e32 vcc, s1, v1
	v_bfe_i32 v3, v3, 0, 16
	v_cndmask_b32_e32 v1, v10, v11, vcc
	s_brev_b32 s0, 1
	v_and_or_b32 v10, v3, s0, v1
.LBB120_486:
	s_mov_b64 s[46:47], 0
	s_mov_b64 s[0:1], -1
.LBB120_487:
	s_andn2_b64 vcc, exec, s[46:47]
	s_cbranch_vccnz .LBB120_500
; %bb.488:
	v_mov_b32_e32 v1, 14
	v_cmp_gt_i16_sdwa s[46:47], v9, v1 src0_sel:BYTE_0 src1_sel:DWORD
	s_and_b64 vcc, exec, s[46:47]
	s_cbranch_vccz .LBB120_491
; %bb.489:
	v_mov_b32_e32 v1, 15
	v_cmp_eq_u16_sdwa s[44:45], v9, v1 src0_sel:BYTE_0 src1_sel:DWORD
	s_and_b64 vcc, exec, s[44:45]
	s_cbranch_vccz .LBB120_494
; %bb.490:
	global_load_ushort v1, v[4:5], off
	s_mov_b64 s[0:1], -1
	s_mov_b64 s[44:45], 0
	s_waitcnt vmcnt(0)
	v_lshlrev_b32_e32 v10, 16, v1
	s_branch .LBB120_495
.LBB120_491:
	s_mov_b64 s[46:47], -1
                                        ; implicit-def: $vgpr10
	s_branch .LBB120_496
.LBB120_492:
	s_or_saveexec_b64 s[46:47], s[46:47]
	v_mov_b32_e32 v10, s52
	s_xor_b64 exec, exec, s[46:47]
	s_cbranch_execz .LBB120_473
.LBB120_493:
	v_cmp_ne_u16_e32 vcc, 0, v1
	s_andn2_b64 s[0:1], s[0:1], exec
	s_and_b64 s[48:49], vcc, exec
	v_mov_b32_e32 v10, 0
	s_or_b64 s[0:1], s[0:1], s[48:49]
	s_or_b64 exec, exec, s[46:47]
	s_and_saveexec_b64 s[46:47], s[0:1]
	s_cbranch_execnz .LBB120_474
	s_branch .LBB120_475
.LBB120_494:
	s_mov_b64 s[44:45], -1
                                        ; implicit-def: $vgpr10
.LBB120_495:
	s_mov_b64 s[46:47], 0
.LBB120_496:
	s_and_b64 vcc, exec, s[46:47]
	s_cbranch_vccz .LBB120_500
; %bb.497:
	v_mov_b32_e32 v1, 11
	v_cmp_eq_u16_sdwa s[44:45], v9, v1 src0_sel:BYTE_0 src1_sel:DWORD
	s_and_b64 vcc, exec, s[44:45]
	s_cbranch_vccz .LBB120_499
; %bb.498:
	global_load_ubyte v1, v[4:5], off
	s_mov_b64 s[0:1], -1
	s_mov_b64 s[44:45], 0
	s_waitcnt vmcnt(0)
	v_cmp_ne_u16_e32 vcc, 0, v1
	v_cndmask_b32_e64 v10, 0, 1.0, vcc
	s_branch .LBB120_500
.LBB120_499:
	s_mov_b64 s[44:45], -1
                                        ; implicit-def: $vgpr10
.LBB120_500:
	s_branch .LBB120_416
.LBB120_501:
	v_mov_b32_e32 v1, 5
	v_cmp_lt_i16_sdwa s[0:1], v9, v1 src0_sel:BYTE_0 src1_sel:DWORD
	s_and_b64 vcc, exec, s[0:1]
	s_cbranch_vccnz .LBB120_506
; %bb.502:
	v_mov_b32_e32 v1, 8
	v_cmp_lt_i16_sdwa s[0:1], v9, v1 src0_sel:BYTE_0 src1_sel:DWORD
	s_and_b64 vcc, exec, s[0:1]
	s_cbranch_vccnz .LBB120_507
; %bb.503:
	;; [unrolled: 5-line block ×3, first 2 shown]
	v_cmp_gt_i16_sdwa s[0:1], v9, v1 src0_sel:BYTE_0 src1_sel:DWORD
	s_and_b64 vcc, exec, s[0:1]
	s_cbranch_vccz .LBB120_509
; %bb.505:
	global_load_dwordx2 v[10:11], v[4:5], off
	s_mov_b64 s[0:1], 0
	s_waitcnt vmcnt(0)
	v_cvt_f32_f64_e32 v10, v[10:11]
	s_branch .LBB120_510
.LBB120_506:
	s_mov_b64 s[0:1], -1
                                        ; implicit-def: $vgpr10
	s_branch .LBB120_528
.LBB120_507:
	s_mov_b64 s[0:1], -1
                                        ; implicit-def: $vgpr10
	s_branch .LBB120_516
.LBB120_508:
	s_mov_b64 s[0:1], -1
                                        ; implicit-def: $vgpr10
	s_branch .LBB120_513
.LBB120_509:
	s_mov_b64 s[0:1], -1
                                        ; implicit-def: $vgpr10
.LBB120_510:
	s_andn2_b64 vcc, exec, s[0:1]
	s_cbranch_vccnz .LBB120_512
; %bb.511:
	global_load_dword v10, v[4:5], off
.LBB120_512:
	s_mov_b64 s[0:1], 0
.LBB120_513:
	s_andn2_b64 vcc, exec, s[0:1]
	s_cbranch_vccnz .LBB120_515
; %bb.514:
	global_load_dword v1, v[4:5], off
	s_waitcnt vmcnt(0)
	v_cvt_f32_f16_e32 v10, v1
.LBB120_515:
	s_mov_b64 s[0:1], 0
.LBB120_516:
	s_andn2_b64 vcc, exec, s[0:1]
	s_cbranch_vccnz .LBB120_527
; %bb.517:
	v_mov_b32_e32 v1, 6
	v_cmp_lt_i16_sdwa s[0:1], v9, v1 src0_sel:BYTE_0 src1_sel:DWORD
	s_and_b64 vcc, exec, s[0:1]
	s_cbranch_vccnz .LBB120_520
; %bb.518:
	v_cmp_gt_i16_sdwa s[0:1], v9, v1 src0_sel:BYTE_0 src1_sel:DWORD
	s_and_b64 vcc, exec, s[0:1]
	s_cbranch_vccz .LBB120_521
; %bb.519:
	global_load_dwordx2 v[10:11], v[4:5], off
	s_mov_b64 s[0:1], 0
	s_waitcnt vmcnt(0)
	v_cvt_f32_f64_e32 v10, v[10:11]
	s_branch .LBB120_522
.LBB120_520:
	s_mov_b64 s[0:1], -1
                                        ; implicit-def: $vgpr10
	s_branch .LBB120_525
.LBB120_521:
	s_mov_b64 s[0:1], -1
                                        ; implicit-def: $vgpr10
.LBB120_522:
	s_andn2_b64 vcc, exec, s[0:1]
	s_cbranch_vccnz .LBB120_524
; %bb.523:
	global_load_dword v10, v[4:5], off
.LBB120_524:
	s_mov_b64 s[0:1], 0
.LBB120_525:
	s_andn2_b64 vcc, exec, s[0:1]
	s_cbranch_vccnz .LBB120_527
; %bb.526:
	global_load_ushort v1, v[4:5], off
	s_waitcnt vmcnt(0)
	v_cvt_f32_f16_e32 v10, v1
.LBB120_527:
	s_mov_b64 s[0:1], 0
.LBB120_528:
	s_andn2_b64 vcc, exec, s[0:1]
	s_cbranch_vccnz .LBB120_548
; %bb.529:
	v_mov_b32_e32 v1, 2
	v_cmp_lt_i16_sdwa s[0:1], v9, v1 src0_sel:BYTE_0 src1_sel:DWORD
	s_and_b64 vcc, exec, s[0:1]
	s_cbranch_vccnz .LBB120_533
; %bb.530:
	v_mov_b32_e32 v1, 3
	v_cmp_lt_i16_sdwa s[0:1], v9, v1 src0_sel:BYTE_0 src1_sel:DWORD
	s_and_b64 vcc, exec, s[0:1]
	s_cbranch_vccnz .LBB120_534
; %bb.531:
	v_cmp_gt_i16_sdwa s[0:1], v9, v1 src0_sel:BYTE_0 src1_sel:DWORD
	s_and_b64 vcc, exec, s[0:1]
	s_cbranch_vccz .LBB120_535
; %bb.532:
	global_load_dwordx2 v[10:11], v[4:5], off
	s_mov_b64 s[0:1], 0
	s_waitcnt vmcnt(0)
	v_xor_b32_e32 v3, v10, v11
	v_ffbh_i32_e32 v1, v11
	v_ashrrev_i32_e32 v3, 31, v3
	v_add_u32_e32 v1, -1, v1
	v_add_u32_e32 v3, 32, v3
	v_min_u32_e32 v1, v1, v3
	v_lshlrev_b64 v[10:11], v1, v[10:11]
	v_min_u32_e32 v3, 1, v10
	v_or_b32_e32 v3, v11, v3
	v_cvt_f32_i32_e32 v3, v3
	v_sub_u32_e32 v1, 32, v1
	v_ldexp_f32 v10, v3, v1
	s_branch .LBB120_536
.LBB120_533:
	s_mov_b64 s[0:1], -1
                                        ; implicit-def: $vgpr10
	s_branch .LBB120_542
.LBB120_534:
	s_mov_b64 s[0:1], -1
                                        ; implicit-def: $vgpr10
	s_branch .LBB120_539
.LBB120_535:
	s_mov_b64 s[0:1], -1
                                        ; implicit-def: $vgpr10
.LBB120_536:
	s_andn2_b64 vcc, exec, s[0:1]
	s_cbranch_vccnz .LBB120_538
; %bb.537:
	global_load_dword v1, v[4:5], off
	s_waitcnt vmcnt(0)
	v_cvt_f32_i32_e32 v10, v1
.LBB120_538:
	s_mov_b64 s[0:1], 0
.LBB120_539:
	s_andn2_b64 vcc, exec, s[0:1]
	s_cbranch_vccnz .LBB120_541
; %bb.540:
	global_load_sshort v1, v[4:5], off
	s_waitcnt vmcnt(0)
	v_cvt_f32_i32_e32 v10, v1
.LBB120_541:
	s_mov_b64 s[0:1], 0
.LBB120_542:
	s_andn2_b64 vcc, exec, s[0:1]
	s_cbranch_vccnz .LBB120_548
; %bb.543:
	v_mov_b32_e32 v1, 0
	v_cmp_gt_i16_sdwa s[0:1], v9, v1 src0_sel:BYTE_0 src1_sel:DWORD
	s_and_b64 vcc, exec, s[0:1]
	s_cbranch_vccz .LBB120_545
; %bb.544:
	global_load_sbyte v1, v[4:5], off
	s_mov_b64 s[0:1], 0
	s_waitcnt vmcnt(0)
	v_cvt_f32_i32_e32 v10, v1
	s_branch .LBB120_546
.LBB120_545:
	s_mov_b64 s[0:1], -1
                                        ; implicit-def: $vgpr10
.LBB120_546:
	s_andn2_b64 vcc, exec, s[0:1]
	s_cbranch_vccnz .LBB120_548
; %bb.547:
	global_load_ubyte v1, v[4:5], off
	s_waitcnt vmcnt(0)
	v_cvt_f32_ubyte0_e32 v10, v1
.LBB120_548:
	s_branch .LBB120_417
.LBB120_549:
	s_mov_b64 s[52:53], 0
	s_mov_b64 s[0:1], s[36:37]
	;; [unrolled: 1-line block ×3, first 2 shown]
.LBB120_550:
                                        ; implicit-def: $vgpr8
	s_branch .LBB120_792
.LBB120_551:
	s_or_saveexec_b64 s[48:49], s[48:49]
                                        ; implicit-def: $sgpr50
	s_xor_b64 exec, exec, s[48:49]
	s_cbranch_execz .LBB120_203
.LBB120_552:
	s_mov_b32 s50, 0x42800000
	v_add_f32_e64 v3, |v10|, s50
	v_and_b32_e32 v3, 0xff, v3
	v_cmp_ne_u32_e32 vcc, 0, v3
	s_andn2_b64 s[44:45], s[44:45], exec
	s_and_b64 s[52:53], vcc, exec
	s_mov_b32 s50, 0
	s_or_b64 s[44:45], s[44:45], s[52:53]
	s_or_b64 exec, exec, s[48:49]
	v_mov_b32_e32 v4, s50
	s_and_saveexec_b64 s[48:49], s[44:45]
	s_cbranch_execnz .LBB120_204
	s_branch .LBB120_205
.LBB120_553:
	s_mov_b64 s[46:47], -1
                                        ; implicit-def: $vgpr1
	s_mov_b64 s[0:1], 0
.LBB120_554:
	s_and_b64 vcc, exec, s[48:49]
	s_cbranch_vccz .LBB120_558
; %bb.555:
	v_mov_b32_e32 v1, 44
	v_cmp_eq_u16_sdwa s[46:47], v7, v1 src0_sel:BYTE_0 src1_sel:DWORD
	s_and_b64 vcc, exec, s[46:47]
	s_cbranch_vccz .LBB120_557
; %bb.556:
	global_load_ubyte v1, v[2:3], off
	s_movk_i32 s46, 0xff
	v_mov_b32_e32 v4, 0x7f800001
	v_mov_b32_e32 v5, 0x400000
	s_mov_b64 s[0:1], -1
	s_waitcnt vmcnt(0)
	v_lshlrev_b32_e32 v11, 23, v1
	v_cmp_ne_u32_e32 vcc, s46, v1
	v_cndmask_b32_e32 v4, v4, v11, vcc
	v_cmp_ne_u32_e32 vcc, 0, v1
	v_cndmask_b32_e32 v1, v5, v4, vcc
	s_mov_b64 s[46:47], 0
	s_branch .LBB120_558
.LBB120_557:
	s_mov_b64 s[46:47], -1
                                        ; implicit-def: $vgpr1
.LBB120_558:
	s_mov_b64 s[48:49], 0
.LBB120_559:
	s_and_b64 vcc, exec, s[48:49]
	s_cbranch_vccz .LBB120_563
; %bb.560:
	v_mov_b32_e32 v1, 29
	v_cmp_eq_u16_sdwa s[46:47], v7, v1 src0_sel:BYTE_0 src1_sel:DWORD
	s_and_b64 vcc, exec, s[46:47]
	s_cbranch_vccz .LBB120_562
; %bb.561:
	global_load_dwordx2 v[4:5], v[2:3], off
	s_mov_b64 s[0:1], -1
	s_mov_b64 s[46:47], 0
	s_mov_b64 s[48:49], 0
	s_waitcnt vmcnt(0)
	v_ffbh_u32_e32 v1, v5
	v_min_u32_e32 v1, 32, v1
	v_lshlrev_b64 v[4:5], v1, v[4:5]
	v_min_u32_e32 v4, 1, v4
	v_or_b32_e32 v4, v5, v4
	v_cvt_f32_u32_e32 v4, v4
	v_sub_u32_e32 v1, 32, v1
	v_ldexp_f32 v1, v4, v1
	s_branch .LBB120_564
.LBB120_562:
	s_mov_b64 s[46:47], -1
                                        ; implicit-def: $vgpr1
.LBB120_563:
	s_mov_b64 s[48:49], 0
.LBB120_564:
	s_and_b64 vcc, exec, s[48:49]
	s_cbranch_vccz .LBB120_582
; %bb.565:
	v_mov_b32_e32 v1, 27
	v_cmp_lt_i16_sdwa s[0:1], v7, v1 src0_sel:BYTE_0 src1_sel:DWORD
	s_and_b64 vcc, exec, s[0:1]
	s_cbranch_vccnz .LBB120_568
; %bb.566:
	v_cmp_gt_i16_sdwa s[0:1], v7, v1 src0_sel:BYTE_0 src1_sel:DWORD
	s_and_b64 vcc, exec, s[0:1]
	s_cbranch_vccz .LBB120_569
; %bb.567:
	global_load_dword v1, v[2:3], off
	s_mov_b64 s[0:1], 0
	s_waitcnt vmcnt(0)
	v_cvt_f32_u32_e32 v1, v1
	s_branch .LBB120_570
.LBB120_568:
	s_mov_b64 s[0:1], -1
                                        ; implicit-def: $vgpr1
	s_branch .LBB120_573
.LBB120_569:
	s_mov_b64 s[0:1], -1
                                        ; implicit-def: $vgpr1
.LBB120_570:
	s_andn2_b64 vcc, exec, s[0:1]
	s_cbranch_vccnz .LBB120_572
; %bb.571:
	global_load_ushort v1, v[2:3], off
	s_waitcnt vmcnt(0)
	v_cvt_f32_u32_e32 v1, v1
.LBB120_572:
	s_mov_b64 s[0:1], 0
.LBB120_573:
	s_andn2_b64 vcc, exec, s[0:1]
	s_cbranch_vccnz .LBB120_581
; %bb.574:
	global_load_ubyte v4, v[2:3], off
	s_movk_i32 s0, 0x7f
                                        ; implicit-def: $sgpr54
	s_waitcnt vmcnt(0)
	v_cmp_lt_i16_e32 vcc, s0, v4
	s_mov_b64 s[0:1], 0
	s_and_saveexec_b64 s[48:49], vcc
	s_xor_b64 s[48:49], exec, s[48:49]
	s_cbranch_execz .LBB120_595
; %bb.575:
	s_movk_i32 s0, 0x80
	v_cmp_eq_u16_e32 vcc, s0, v4
	s_mov_b64 s[0:1], -1
                                        ; implicit-def: $sgpr54
	s_and_saveexec_b64 s[52:53], vcc
; %bb.576:
	s_mov_b32 s54, 0x7f800001
	s_xor_b64 s[0:1], exec, -1
; %bb.577:
	s_or_b64 exec, exec, s[52:53]
	s_and_b64 s[0:1], s[0:1], exec
	s_or_saveexec_b64 s[48:49], s[48:49]
	v_mov_b32_e32 v1, s54
	s_xor_b64 exec, exec, s[48:49]
	s_cbranch_execnz .LBB120_596
.LBB120_578:
	s_or_b64 exec, exec, s[48:49]
	s_and_saveexec_b64 s[48:49], s[0:1]
	s_cbranch_execz .LBB120_580
.LBB120_579:
	v_lshlrev_b32_e32 v1, 24, v4
	v_and_b32_e32 v4, 0xffff, v4
	v_and_b32_e32 v5, 7, v4
	v_ffbh_u32_e32 v12, v5
	v_min_u32_e32 v12, 32, v12
	v_subrev_u32_e32 v13, 28, v12
	v_bfe_u32 v11, v4, 3, 4
	v_lshlrev_b32_e32 v4, v13, v4
	v_sub_u32_e32 v12, 29, v12
	v_and_b32_e32 v4, 7, v4
	v_cmp_eq_u32_e32 vcc, 0, v11
	v_cndmask_b32_e32 v11, v11, v12, vcc
	v_cndmask_b32_e32 v4, v5, v4, vcc
	v_mov_b32_e32 v5, 0x3b800000
	v_lshlrev_b32_e32 v4, 20, v4
	v_and_b32_e32 v1, 0x80000000, v1
	v_lshl_add_u32 v5, v11, 23, v5
	v_or3_b32 v1, v1, v5, v4
.LBB120_580:
	s_or_b64 exec, exec, s[48:49]
.LBB120_581:
	s_mov_b64 s[0:1], -1
.LBB120_582:
	s_mov_b64 s[48:49], 0
.LBB120_583:
	s_and_b64 vcc, exec, s[48:49]
	s_cbranch_vccz .LBB120_618
; %bb.584:
	v_mov_b32_e32 v1, 22
	v_cmp_gt_i16_sdwa s[48:49], v7, v1 src0_sel:BYTE_0 src1_sel:DWORD
	s_and_b64 vcc, exec, s[48:49]
	s_cbranch_vccz .LBB120_594
; %bb.585:
	v_mov_b32_e32 v1, 24
	v_cmp_lt_i16_sdwa s[0:1], v7, v1 src0_sel:BYTE_0 src1_sel:DWORD
	s_and_b64 vcc, exec, s[0:1]
	s_cbranch_vccnz .LBB120_597
; %bb.586:
	v_cmp_gt_i16_sdwa s[0:1], v7, v1 src0_sel:BYTE_0 src1_sel:DWORD
	s_and_b64 vcc, exec, s[0:1]
	s_cbranch_vccz .LBB120_598
; %bb.587:
	global_load_ubyte v4, v[2:3], off
	s_movk_i32 s0, 0x7f
                                        ; implicit-def: $sgpr54
	s_waitcnt vmcnt(0)
	v_cmp_lt_i16_e32 vcc, s0, v4
	s_mov_b64 s[0:1], 0
	s_and_saveexec_b64 s[48:49], vcc
	s_xor_b64 s[48:49], exec, s[48:49]
	s_cbranch_execz .LBB120_610
; %bb.588:
	s_movk_i32 s0, 0x80
	v_cmp_eq_u16_e32 vcc, s0, v4
	s_mov_b64 s[0:1], -1
                                        ; implicit-def: $sgpr54
	s_and_saveexec_b64 s[52:53], vcc
; %bb.589:
	s_mov_b32 s54, 0x7f800001
	s_xor_b64 s[0:1], exec, -1
; %bb.590:
	s_or_b64 exec, exec, s[52:53]
	s_and_b64 s[0:1], s[0:1], exec
	s_or_saveexec_b64 s[48:49], s[48:49]
	v_mov_b32_e32 v1, s54
	s_xor_b64 exec, exec, s[48:49]
	s_cbranch_execnz .LBB120_611
.LBB120_591:
	s_or_b64 exec, exec, s[48:49]
	s_and_saveexec_b64 s[48:49], s[0:1]
	s_cbranch_execz .LBB120_593
.LBB120_592:
	v_lshlrev_b32_e32 v1, 24, v4
	v_and_b32_e32 v4, 0xffff, v4
	v_and_b32_e32 v5, 3, v4
	v_ffbh_u32_e32 v12, v5
	v_min_u32_e32 v12, 32, v12
	v_subrev_u32_e32 v13, 29, v12
	v_bfe_u32 v11, v4, 2, 5
	v_lshlrev_b32_e32 v4, v13, v4
	v_sub_u32_e32 v12, 30, v12
	v_and_b32_e32 v4, 3, v4
	v_cmp_eq_u32_e32 vcc, 0, v11
	v_cndmask_b32_e32 v11, v11, v12, vcc
	v_cndmask_b32_e32 v4, v5, v4, vcc
	v_mov_b32_e32 v5, 0x37800000
	v_lshlrev_b32_e32 v4, 21, v4
	v_and_b32_e32 v1, 0x80000000, v1
	v_lshl_add_u32 v5, v11, 23, v5
	v_or3_b32 v1, v1, v5, v4
.LBB120_593:
	s_or_b64 exec, exec, s[48:49]
	s_mov_b64 s[0:1], 0
	s_branch .LBB120_599
.LBB120_594:
	s_mov_b64 s[48:49], -1
                                        ; implicit-def: $vgpr1
	s_branch .LBB120_605
.LBB120_595:
	s_or_saveexec_b64 s[48:49], s[48:49]
	v_mov_b32_e32 v1, s54
	s_xor_b64 exec, exec, s[48:49]
	s_cbranch_execz .LBB120_578
.LBB120_596:
	v_cmp_ne_u16_e32 vcc, 0, v4
	s_andn2_b64 s[0:1], s[0:1], exec
	s_and_b64 s[52:53], vcc, exec
	v_mov_b32_e32 v1, 0
	s_or_b64 s[0:1], s[0:1], s[52:53]
	s_or_b64 exec, exec, s[48:49]
	s_and_saveexec_b64 s[48:49], s[0:1]
	s_cbranch_execnz .LBB120_579
	s_branch .LBB120_580
.LBB120_597:
	s_mov_b64 s[0:1], -1
                                        ; implicit-def: $vgpr1
	s_branch .LBB120_602
.LBB120_598:
	s_mov_b64 s[0:1], -1
                                        ; implicit-def: $vgpr1
.LBB120_599:
	s_and_b64 vcc, exec, s[0:1]
	s_cbranch_vccz .LBB120_601
; %bb.600:
	global_load_ubyte v1, v[2:3], off
	s_mov_b32 s0, 0x7f800000
	s_waitcnt vmcnt(0)
	v_lshlrev_b32_e32 v1, 24, v1
	v_and_b32_e32 v4, 0x7f000000, v1
	v_ffbh_u32_e32 v5, v4
	v_min_u32_e32 v5, 32, v5
	v_sub_u32_e64 v5, v5, 4 clamp
	v_lshlrev_b32_e32 v12, v5, v4
	v_lshlrev_b32_e32 v5, 23, v5
	v_lshrrev_b32_e32 v12, 4, v12
	v_add_u32_e32 v11, 0x1000000, v4
	v_sub_u32_e32 v5, v12, v5
	v_ashrrev_i32_e32 v11, 8, v11
	v_add_u32_e32 v5, 0x3c000000, v5
	v_and_or_b32 v5, v11, s0, v5
	v_cmp_ne_u32_e32 vcc, 0, v4
	v_cndmask_b32_e32 v4, 0, v5, vcc
	s_brev_b32 s0, 1
	v_and_or_b32 v1, v1, s0, v4
.LBB120_601:
	s_mov_b64 s[0:1], 0
.LBB120_602:
	s_andn2_b64 vcc, exec, s[0:1]
	s_cbranch_vccnz .LBB120_604
; %bb.603:
	global_load_ubyte v1, v[2:3], off
	s_movk_i32 s0, 0x7f00
	s_brev_b32 s1, 16
	s_waitcnt vmcnt(0)
	v_lshlrev_b16_e32 v4, 8, v1
	v_lshlrev_b32_e32 v1, 25, v1
	v_lshrrev_b32_e32 v5, 4, v1
	v_and_or_b32 v11, v4, s0, 0.5
	v_or_b32_e32 v5, 0x70000000, v5
	v_add_f32_e32 v11, -0.5, v11
	v_mul_f32_e32 v5, 0x7800000, v5
	v_cmp_gt_u32_e32 vcc, s1, v1
	v_bfe_i32 v4, v4, 0, 16
	v_cndmask_b32_e32 v1, v5, v11, vcc
	s_brev_b32 s0, 1
	v_and_or_b32 v1, v4, s0, v1
.LBB120_604:
	s_mov_b64 s[48:49], 0
	s_mov_b64 s[0:1], -1
.LBB120_605:
	s_andn2_b64 vcc, exec, s[48:49]
	s_cbranch_vccnz .LBB120_618
; %bb.606:
	v_mov_b32_e32 v1, 14
	v_cmp_gt_i16_sdwa s[48:49], v7, v1 src0_sel:BYTE_0 src1_sel:DWORD
	s_and_b64 vcc, exec, s[48:49]
	s_cbranch_vccz .LBB120_609
; %bb.607:
	v_mov_b32_e32 v1, 15
	v_cmp_eq_u16_sdwa s[46:47], v7, v1 src0_sel:BYTE_0 src1_sel:DWORD
	s_and_b64 vcc, exec, s[46:47]
	s_cbranch_vccz .LBB120_612
; %bb.608:
	global_load_ushort v1, v[2:3], off
	s_mov_b64 s[0:1], -1
	s_mov_b64 s[46:47], 0
	s_waitcnt vmcnt(0)
	v_lshlrev_b32_e32 v1, 16, v1
	s_branch .LBB120_613
.LBB120_609:
	s_mov_b64 s[48:49], -1
                                        ; implicit-def: $vgpr1
	s_branch .LBB120_614
.LBB120_610:
	s_or_saveexec_b64 s[48:49], s[48:49]
	v_mov_b32_e32 v1, s54
	s_xor_b64 exec, exec, s[48:49]
	s_cbranch_execz .LBB120_591
.LBB120_611:
	v_cmp_ne_u16_e32 vcc, 0, v4
	s_andn2_b64 s[0:1], s[0:1], exec
	s_and_b64 s[52:53], vcc, exec
	v_mov_b32_e32 v1, 0
	s_or_b64 s[0:1], s[0:1], s[52:53]
	s_or_b64 exec, exec, s[48:49]
	s_and_saveexec_b64 s[48:49], s[0:1]
	s_cbranch_execnz .LBB120_592
	s_branch .LBB120_593
.LBB120_612:
	s_mov_b64 s[46:47], -1
                                        ; implicit-def: $vgpr1
.LBB120_613:
	s_mov_b64 s[48:49], 0
.LBB120_614:
	s_and_b64 vcc, exec, s[48:49]
	s_cbranch_vccz .LBB120_618
; %bb.615:
	v_mov_b32_e32 v1, 11
	v_cmp_eq_u16_sdwa s[46:47], v7, v1 src0_sel:BYTE_0 src1_sel:DWORD
	s_and_b64 vcc, exec, s[46:47]
	s_cbranch_vccz .LBB120_617
; %bb.616:
	global_load_ubyte v1, v[2:3], off
	s_mov_b64 s[0:1], -1
	s_mov_b64 s[46:47], 0
	s_waitcnt vmcnt(0)
	v_cmp_ne_u16_e32 vcc, 0, v1
	v_cndmask_b32_e64 v1, 0, 1.0, vcc
	s_branch .LBB120_618
.LBB120_617:
	s_mov_b64 s[46:47], -1
                                        ; implicit-def: $vgpr1
.LBB120_618:
	s_mov_b64 s[48:49], 0
.LBB120_619:
	s_and_b64 vcc, exec, s[48:49]
	s_cbranch_vccz .LBB120_668
; %bb.620:
	v_mov_b32_e32 v1, 5
	v_cmp_lt_i16_sdwa s[0:1], v7, v1 src0_sel:BYTE_0 src1_sel:DWORD
	s_and_b64 vcc, exec, s[0:1]
	s_cbranch_vccnz .LBB120_625
; %bb.621:
	v_mov_b32_e32 v1, 8
	v_cmp_lt_i16_sdwa s[0:1], v7, v1 src0_sel:BYTE_0 src1_sel:DWORD
	s_and_b64 vcc, exec, s[0:1]
	s_cbranch_vccnz .LBB120_626
	;; [unrolled: 5-line block ×3, first 2 shown]
; %bb.623:
	v_cmp_gt_i16_sdwa s[0:1], v7, v1 src0_sel:BYTE_0 src1_sel:DWORD
	s_and_b64 vcc, exec, s[0:1]
	s_cbranch_vccz .LBB120_628
; %bb.624:
	global_load_dwordx2 v[4:5], v[2:3], off
	s_mov_b64 s[0:1], 0
	s_waitcnt vmcnt(0)
	v_cvt_f32_f64_e32 v1, v[4:5]
	s_branch .LBB120_629
.LBB120_625:
	s_mov_b64 s[0:1], -1
                                        ; implicit-def: $vgpr1
	s_branch .LBB120_647
.LBB120_626:
	s_mov_b64 s[0:1], -1
                                        ; implicit-def: $vgpr1
	s_branch .LBB120_635
.LBB120_627:
	s_mov_b64 s[0:1], -1
                                        ; implicit-def: $vgpr1
	s_branch .LBB120_632
.LBB120_628:
	s_mov_b64 s[0:1], -1
                                        ; implicit-def: $vgpr1
.LBB120_629:
	s_andn2_b64 vcc, exec, s[0:1]
	s_cbranch_vccnz .LBB120_631
; %bb.630:
	global_load_dword v1, v[2:3], off
.LBB120_631:
	s_mov_b64 s[0:1], 0
.LBB120_632:
	s_andn2_b64 vcc, exec, s[0:1]
	s_cbranch_vccnz .LBB120_634
; %bb.633:
	global_load_dword v1, v[2:3], off
	s_waitcnt vmcnt(0)
	v_cvt_f32_f16_e32 v1, v1
.LBB120_634:
	s_mov_b64 s[0:1], 0
.LBB120_635:
	s_andn2_b64 vcc, exec, s[0:1]
	s_cbranch_vccnz .LBB120_646
; %bb.636:
	s_waitcnt vmcnt(0)
	v_mov_b32_e32 v1, 6
	v_cmp_lt_i16_sdwa s[0:1], v7, v1 src0_sel:BYTE_0 src1_sel:DWORD
	s_and_b64 vcc, exec, s[0:1]
	s_cbranch_vccnz .LBB120_639
; %bb.637:
	v_cmp_gt_i16_sdwa s[0:1], v7, v1 src0_sel:BYTE_0 src1_sel:DWORD
	s_and_b64 vcc, exec, s[0:1]
	s_cbranch_vccz .LBB120_640
; %bb.638:
	global_load_dwordx2 v[4:5], v[2:3], off
	s_mov_b64 s[0:1], 0
	s_waitcnt vmcnt(0)
	v_cvt_f32_f64_e32 v1, v[4:5]
	s_branch .LBB120_641
.LBB120_639:
	s_mov_b64 s[0:1], -1
                                        ; implicit-def: $vgpr1
	s_branch .LBB120_644
.LBB120_640:
	s_mov_b64 s[0:1], -1
                                        ; implicit-def: $vgpr1
.LBB120_641:
	s_andn2_b64 vcc, exec, s[0:1]
	s_cbranch_vccnz .LBB120_643
; %bb.642:
	global_load_dword v1, v[2:3], off
.LBB120_643:
	s_mov_b64 s[0:1], 0
.LBB120_644:
	s_andn2_b64 vcc, exec, s[0:1]
	s_cbranch_vccnz .LBB120_646
; %bb.645:
	global_load_ushort v1, v[2:3], off
	s_waitcnt vmcnt(0)
	v_cvt_f32_f16_e32 v1, v1
.LBB120_646:
	s_mov_b64 s[0:1], 0
.LBB120_647:
	s_andn2_b64 vcc, exec, s[0:1]
	s_cbranch_vccnz .LBB120_667
; %bb.648:
	s_waitcnt vmcnt(0)
	v_mov_b32_e32 v1, 2
	v_cmp_lt_i16_sdwa s[0:1], v7, v1 src0_sel:BYTE_0 src1_sel:DWORD
	s_and_b64 vcc, exec, s[0:1]
	s_cbranch_vccnz .LBB120_652
; %bb.649:
	v_mov_b32_e32 v1, 3
	v_cmp_lt_i16_sdwa s[0:1], v7, v1 src0_sel:BYTE_0 src1_sel:DWORD
	s_and_b64 vcc, exec, s[0:1]
	s_cbranch_vccnz .LBB120_653
; %bb.650:
	v_cmp_gt_i16_sdwa s[0:1], v7, v1 src0_sel:BYTE_0 src1_sel:DWORD
	s_and_b64 vcc, exec, s[0:1]
	s_cbranch_vccz .LBB120_654
; %bb.651:
	global_load_dwordx2 v[4:5], v[2:3], off
	s_mov_b64 s[0:1], 0
	s_waitcnt vmcnt(0)
	v_xor_b32_e32 v11, v4, v5
	v_ffbh_i32_e32 v1, v5
	v_ashrrev_i32_e32 v11, 31, v11
	v_add_u32_e32 v1, -1, v1
	v_add_u32_e32 v11, 32, v11
	v_min_u32_e32 v1, v1, v11
	v_lshlrev_b64 v[4:5], v1, v[4:5]
	v_min_u32_e32 v4, 1, v4
	v_or_b32_e32 v4, v5, v4
	v_cvt_f32_i32_e32 v4, v4
	v_sub_u32_e32 v1, 32, v1
	v_ldexp_f32 v1, v4, v1
	s_branch .LBB120_655
.LBB120_652:
	s_mov_b64 s[0:1], -1
                                        ; implicit-def: $vgpr1
	s_branch .LBB120_661
.LBB120_653:
	s_mov_b64 s[0:1], -1
                                        ; implicit-def: $vgpr1
	s_branch .LBB120_658
.LBB120_654:
	s_mov_b64 s[0:1], -1
                                        ; implicit-def: $vgpr1
.LBB120_655:
	s_andn2_b64 vcc, exec, s[0:1]
	s_cbranch_vccnz .LBB120_657
; %bb.656:
	global_load_dword v1, v[2:3], off
	s_waitcnt vmcnt(0)
	v_cvt_f32_i32_e32 v1, v1
.LBB120_657:
	s_mov_b64 s[0:1], 0
.LBB120_658:
	s_andn2_b64 vcc, exec, s[0:1]
	s_cbranch_vccnz .LBB120_660
; %bb.659:
	global_load_sshort v1, v[2:3], off
	s_waitcnt vmcnt(0)
	v_cvt_f32_i32_e32 v1, v1
.LBB120_660:
	s_mov_b64 s[0:1], 0
.LBB120_661:
	s_andn2_b64 vcc, exec, s[0:1]
	s_cbranch_vccnz .LBB120_667
; %bb.662:
	v_mov_b32_e32 v1, 0
	v_cmp_gt_i16_sdwa s[0:1], v7, v1 src0_sel:BYTE_0 src1_sel:DWORD
	s_and_b64 vcc, exec, s[0:1]
	s_cbranch_vccz .LBB120_664
; %bb.663:
	global_load_sbyte v1, v[2:3], off
	s_mov_b64 s[0:1], 0
	s_waitcnt vmcnt(0)
	v_cvt_f32_i32_e32 v1, v1
	s_branch .LBB120_665
.LBB120_664:
	s_mov_b64 s[0:1], -1
                                        ; implicit-def: $vgpr1
.LBB120_665:
	s_andn2_b64 vcc, exec, s[0:1]
	s_cbranch_vccnz .LBB120_667
; %bb.666:
	global_load_ubyte v1, v[2:3], off
	s_waitcnt vmcnt(0)
	v_cvt_f32_ubyte0_e32 v1, v1
.LBB120_667:
	s_mov_b64 s[0:1], -1
.LBB120_668:
	s_andn2_b64 vcc, exec, s[0:1]
	s_cbranch_vccnz .LBB120_676
; %bb.669:
	s_brev_b32 s0, -2
	s_waitcnt vmcnt(0)
	v_bfi_b32 v2, s0, v10, v1
	v_mov_b32_e32 v1, s9
	v_add_co_u32_e32 v0, vcc, s8, v0
	v_mov_b32_e32 v3, 11
	v_addc_co_u32_e32 v1, vcc, 0, v1, vcc
	v_cmp_lt_i16_sdwa s[0:1], v6, v3 src0_sel:BYTE_0 src1_sel:DWORD
	s_and_b64 vcc, exec, s[0:1]
	s_cbranch_vccnz .LBB120_677
; %bb.670:
	v_mov_b32_e32 v3, 25
	v_cmp_gt_i16_sdwa s[0:1], v6, v3 src0_sel:BYTE_0 src1_sel:DWORD
	s_and_b64 vcc, exec, s[0:1]
	s_cbranch_vccz .LBB120_678
; %bb.671:
	v_mov_b32_e32 v3, 28
	v_cmp_gt_i16_sdwa s[0:1], v6, v3 src0_sel:BYTE_0 src1_sel:DWORD
	s_and_b64 vcc, exec, s[0:1]
	s_cbranch_vccz .LBB120_679
; %bb.672:
	v_mov_b32_e32 v3, 43
	v_cmp_gt_i16_sdwa s[0:1], v6, v3 src0_sel:BYTE_0 src1_sel:DWORD
	s_and_b64 vcc, exec, s[0:1]
	s_cbranch_vccz .LBB120_680
; %bb.673:
	v_mov_b32_e32 v3, 45
	v_cmp_gt_i16_sdwa s[0:1], v6, v3 src0_sel:BYTE_0 src1_sel:DWORD
	s_and_b64 vcc, exec, s[0:1]
	s_cbranch_vccz .LBB120_681
; %bb.674:
	v_mov_b32_e32 v3, 46
	v_cmp_eq_u16_sdwa s[48:49], v6, v3 src0_sel:BYTE_0 src1_sel:DWORD
	s_mov_b64 s[52:53], 0
	s_mov_b64 s[0:1], -1
	s_and_b64 vcc, exec, s[48:49]
	s_mov_b64 s[48:49], 0
	s_cbranch_vccz .LBB120_682
; %bb.675:
	v_bfe_u32 v3, v2, 16, 1
	s_movk_i32 s0, 0x7fff
	v_add3_u32 v3, v2, v3, s0
	v_lshrrev_b32_e32 v3, 16, v3
	v_mov_b32_e32 v4, 0x7fc0
	v_cmp_o_f32_e32 vcc, v2, v2
	v_cndmask_b32_e32 v3, v4, v3, vcc
	global_store_dword v[0:1], v3, off
	s_mov_b64 s[48:49], -1
	s_mov_b64 s[0:1], 0
	s_branch .LBB120_682
.LBB120_676:
	s_mov_b64 s[52:53], 0
                                        ; implicit-def: $vgpr8
	s_mov_b64 s[0:1], s[36:37]
	s_branch .LBB120_792
.LBB120_677:
	s_mov_b64 s[52:53], -1
	s_mov_b64 s[48:49], 0
	s_mov_b64 s[0:1], s[36:37]
	s_branch .LBB120_751
.LBB120_678:
	s_mov_b64 s[52:53], -1
	s_mov_b64 s[48:49], 0
	s_mov_b64 s[0:1], s[36:37]
	s_branch .LBB120_709
.LBB120_679:
	s_mov_b64 s[52:53], -1
	s_mov_b64 s[48:49], 0
	s_mov_b64 s[0:1], s[36:37]
	s_branch .LBB120_692
.LBB120_680:
	s_mov_b64 s[52:53], -1
	s_mov_b64 s[48:49], 0
	s_mov_b64 s[0:1], s[36:37]
	s_branch .LBB120_688
.LBB120_681:
	s_mov_b64 s[52:53], -1
	s_mov_b64 s[48:49], 0
	s_mov_b64 s[0:1], s[36:37]
.LBB120_682:
	s_and_b64 vcc, exec, s[52:53]
	s_cbranch_vccz .LBB120_687
; %bb.683:
	v_mov_b32_e32 v3, 44
	v_cmp_eq_u16_sdwa s[52:53], v6, v3 src0_sel:BYTE_0 src1_sel:DWORD
	s_mov_b64 s[0:1], -1
	s_and_b64 vcc, exec, s[52:53]
	s_cbranch_vccz .LBB120_687
; %bb.684:
	v_bfe_u32 v3, v2, 23, 8
	s_movk_i32 s0, 0xff
	v_cmp_ne_u32_e32 vcc, s0, v3
	v_mov_b32_e32 v4, 0xff
	s_and_saveexec_b64 s[48:49], vcc
; %bb.685:
	s_mov_b32 s0, 0x3fffff
	v_and_b32_e32 v5, 0x400000, v2
	v_and_or_b32 v3, v2, s0, v3
	v_cmp_ne_u32_e32 vcc, 0, v5
	v_cmp_ne_u32_e64 s[0:1], 0, v3
	s_and_b64 s[0:1], vcc, s[0:1]
	v_lshrrev_b32_e32 v4, 23, v2
	v_cndmask_b32_e64 v3, 0, 1, s[0:1]
	v_add_u32_e32 v4, v4, v3
; %bb.686:
	s_or_b64 exec, exec, s[48:49]
	s_mov_b64 s[48:49], -1
	s_mov_b64 s[0:1], 0
	global_store_byte v[0:1], v4, off
.LBB120_687:
	s_mov_b64 s[52:53], 0
.LBB120_688:
	s_and_b64 vcc, exec, s[52:53]
	s_cbranch_vccz .LBB120_691
; %bb.689:
	v_mov_b32_e32 v3, 29
	v_cmp_eq_u16_sdwa s[52:53], v6, v3 src0_sel:BYTE_0 src1_sel:DWORD
	s_mov_b64 s[0:1], -1
	s_and_b64 vcc, exec, s[52:53]
	s_cbranch_vccz .LBB120_691
; %bb.690:
	v_trunc_f32_e32 v3, v2
	v_mul_f32_e32 v4, 0x2f800000, v3
	v_floor_f32_e32 v4, v4
	v_fmac_f32_e32 v3, 0xcf800000, v4
	v_cvt_u32_f32_e32 v5, v4
	v_cvt_u32_f32_e32 v4, v3
	s_mov_b64 s[48:49], -1
	s_mov_b64 s[0:1], 0
	s_mov_b64 s[52:53], 0
	global_store_dwordx2 v[0:1], v[4:5], off
	s_branch .LBB120_692
.LBB120_691:
	s_mov_b64 s[52:53], 0
.LBB120_692:
	s_and_b64 vcc, exec, s[52:53]
	s_cbranch_vccz .LBB120_708
; %bb.693:
	v_mov_b32_e32 v3, 27
	v_cmp_lt_i16_sdwa s[52:53], v6, v3 src0_sel:BYTE_0 src1_sel:DWORD
	s_mov_b64 s[48:49], -1
	s_and_b64 vcc, exec, s[52:53]
	s_cbranch_vccnz .LBB120_699
; %bb.694:
	v_cmp_gt_i16_sdwa s[52:53], v6, v3 src0_sel:BYTE_0 src1_sel:DWORD
	v_cvt_u32_f32_e32 v3, v2
	s_and_b64 vcc, exec, s[52:53]
	s_cbranch_vccz .LBB120_696
; %bb.695:
	s_mov_b64 s[48:49], 0
	global_store_dword v[0:1], v3, off
.LBB120_696:
	s_andn2_b64 vcc, exec, s[48:49]
	s_cbranch_vccnz .LBB120_698
; %bb.697:
	global_store_short v[0:1], v3, off
.LBB120_698:
	s_mov_b64 s[48:49], 0
.LBB120_699:
	s_andn2_b64 vcc, exec, s[48:49]
	s_cbranch_vccnz .LBB120_707
; %bb.700:
	v_and_b32_e32 v3, 0x7fffffff, v10
	s_mov_b32 s48, 0x43800000
	v_cmp_gt_u32_e32 vcc, s48, v3
	v_mov_b32_e32 v4, 0x80
	s_and_saveexec_b64 s[48:49], vcc
	s_cbranch_execz .LBB120_706
; %bb.701:
	s_mov_b32 s52, 0x3bffffff
	v_cmp_lt_u32_e32 vcc, s52, v3
	s_mov_b64 s[52:53], 0
                                        ; implicit-def: $vgpr3
	s_and_saveexec_b64 s[54:55], vcc
	s_xor_b64 s[54:55], exec, s[54:55]
	s_cbranch_execz .LBB120_819
; %bb.702:
	v_bfe_u32 v3, v2, 20, 1
	s_mov_b32 s56, 0x487ffff
	v_add3_u32 v3, v2, v3, s56
	s_mov_b64 s[52:53], exec
	v_lshrrev_b32_e32 v3, 20, v3
	s_or_saveexec_b64 s[54:55], s[54:55]
                                        ; implicit-def: $sgpr56
	s_xor_b64 exec, exec, s[54:55]
	s_cbranch_execnz .LBB120_820
.LBB120_703:
	s_or_b64 exec, exec, s[54:55]
	v_mov_b32_e32 v4, s56
	s_and_saveexec_b64 s[54:55], s[52:53]
.LBB120_704:
	v_lshrrev_b32_e32 v4, 24, v2
	s_movk_i32 s52, 0x80
	v_and_or_b32 v4, v4, s52, v3
.LBB120_705:
	s_or_b64 exec, exec, s[54:55]
.LBB120_706:
	s_or_b64 exec, exec, s[48:49]
	global_store_byte v[0:1], v4, off
.LBB120_707:
	s_mov_b64 s[48:49], -1
.LBB120_708:
	s_mov_b64 s[52:53], 0
.LBB120_709:
	s_and_b64 vcc, exec, s[52:53]
	s_cbranch_vccz .LBB120_750
; %bb.710:
	v_mov_b32_e32 v3, 22
	v_cmp_gt_i16_sdwa s[54:55], v6, v3 src0_sel:BYTE_0 src1_sel:DWORD
	s_mov_b64 s[52:53], -1
	s_and_b64 vcc, exec, s[54:55]
	s_cbranch_vccz .LBB120_742
; %bb.711:
	v_mov_b32_e32 v3, 24
	v_cmp_lt_i16_sdwa s[52:53], v6, v3 src0_sel:BYTE_0 src1_sel:DWORD
	s_mov_b64 s[48:49], -1
	s_and_b64 vcc, exec, s[52:53]
	s_cbranch_vccnz .LBB120_731
; %bb.712:
	v_cmp_gt_i16_sdwa s[52:53], v6, v3 src0_sel:BYTE_0 src1_sel:DWORD
	s_and_b64 vcc, exec, s[52:53]
	s_cbranch_vccz .LBB120_720
; %bb.713:
	v_and_b32_e32 v3, 0x7fffffff, v10
	s_mov_b32 s48, 0x47800000
	v_cmp_gt_u32_e32 vcc, s48, v3
	v_mov_b32_e32 v4, 0x80
	s_and_saveexec_b64 s[48:49], vcc
	s_cbranch_execz .LBB120_719
; %bb.714:
	s_mov_b32 s52, 0x37ffffff
	v_cmp_lt_u32_e32 vcc, s52, v3
	s_mov_b64 s[52:53], 0
                                        ; implicit-def: $vgpr3
	s_and_saveexec_b64 s[54:55], vcc
	s_xor_b64 s[54:55], exec, s[54:55]
	s_cbranch_execz .LBB120_951
; %bb.715:
	v_bfe_u32 v3, v2, 21, 1
	s_mov_b32 s56, 0x88fffff
	v_add3_u32 v3, v2, v3, s56
	s_mov_b64 s[52:53], exec
	v_lshrrev_b32_e32 v3, 21, v3
	s_or_saveexec_b64 s[54:55], s[54:55]
                                        ; implicit-def: $sgpr56
	s_xor_b64 exec, exec, s[54:55]
	s_cbranch_execnz .LBB120_952
.LBB120_716:
	s_or_b64 exec, exec, s[54:55]
	v_mov_b32_e32 v4, s56
	s_and_saveexec_b64 s[54:55], s[52:53]
.LBB120_717:
	v_lshrrev_b32_e32 v4, 24, v2
	s_movk_i32 s52, 0x80
	v_and_or_b32 v4, v4, s52, v3
.LBB120_718:
	s_or_b64 exec, exec, s[54:55]
.LBB120_719:
	s_or_b64 exec, exec, s[48:49]
	s_mov_b64 s[48:49], 0
	global_store_byte v[0:1], v4, off
.LBB120_720:
	s_and_b64 vcc, exec, s[48:49]
	s_cbranch_vccz .LBB120_730
; %bb.721:
	v_and_b32_e32 v4, 0x7fffffff, v10
	s_mov_b32 s48, 0x43f00000
	v_cmp_gt_u32_e32 vcc, s48, v4
                                        ; implicit-def: $vgpr3
	s_and_saveexec_b64 s[48:49], vcc
	s_xor_b64 s[48:49], exec, s[48:49]
	s_cbranch_execz .LBB120_727
; %bb.722:
	s_mov_b32 s52, 0x3c7fffff
	v_cmp_lt_u32_e32 vcc, s52, v4
                                        ; implicit-def: $vgpr3
	s_and_saveexec_b64 s[52:53], vcc
	s_xor_b64 s[52:53], exec, s[52:53]
; %bb.723:
	v_bfe_u32 v3, v2, 20, 1
	s_mov_b32 s54, 0x407ffff
	v_add3_u32 v3, v2, v3, s54
	v_lshrrev_b32_e32 v4, 20, v3
	v_and_b32_e32 v3, 0xff00000, v3
	s_mov_b32 s54, 0x7f00000
	v_mov_b32_e32 v5, 0x7e
	v_cmp_ne_u32_e32 vcc, s54, v3
	v_cndmask_b32_e32 v3, v5, v4, vcc
; %bb.724:
	s_andn2_saveexec_b64 s[52:53], s[52:53]
; %bb.725:
	s_mov_b32 s54, 0x46800000
	v_add_f32_e64 v3, |v10|, s54
; %bb.726:
	s_or_b64 exec, exec, s[52:53]
                                        ; implicit-def: $vgpr4
.LBB120_727:
	s_andn2_saveexec_b64 s[48:49], s[48:49]
; %bb.728:
	s_mov_b32 s52, 0x7f800000
	v_mov_b32_e32 v3, 0x7e
	v_mov_b32_e32 v5, 0x7f
	v_cmp_lt_u32_e32 vcc, s52, v4
	v_cndmask_b32_e32 v3, v3, v5, vcc
; %bb.729:
	s_or_b64 exec, exec, s[48:49]
	v_lshrrev_b32_e32 v4, 24, v2
	s_movk_i32 s48, 0x80
	v_and_or_b32 v3, v4, s48, v3
	global_store_byte v[0:1], v3, off
.LBB120_730:
	s_mov_b64 s[48:49], 0
.LBB120_731:
	s_andn2_b64 vcc, exec, s[48:49]
	s_cbranch_vccnz .LBB120_741
; %bb.732:
	v_and_b32_e32 v4, 0x7fffffff, v10
	s_mov_b32 s48, 0x47800000
	v_cmp_gt_u32_e32 vcc, s48, v4
                                        ; implicit-def: $vgpr3
	s_and_saveexec_b64 s[48:49], vcc
	s_xor_b64 s[48:49], exec, s[48:49]
	s_cbranch_execz .LBB120_738
; %bb.733:
	s_mov_b32 s52, 0x387fffff
	v_cmp_lt_u32_e32 vcc, s52, v4
                                        ; implicit-def: $vgpr3
	s_and_saveexec_b64 s[52:53], vcc
	s_xor_b64 s[52:53], exec, s[52:53]
; %bb.734:
	v_bfe_u32 v3, v2, 21, 1
	s_mov_b32 s54, 0x80fffff
	v_add3_u32 v3, v2, v3, s54
	v_lshrrev_b32_e32 v3, 21, v3
                                        ; implicit-def: $vgpr10
; %bb.735:
	s_andn2_saveexec_b64 s[52:53], s[52:53]
; %bb.736:
	s_mov_b32 s54, 0x43000000
	v_add_f32_e64 v3, |v10|, s54
; %bb.737:
	s_or_b64 exec, exec, s[52:53]
                                        ; implicit-def: $vgpr4
.LBB120_738:
	s_andn2_saveexec_b64 s[48:49], s[48:49]
; %bb.739:
	s_mov_b32 s52, 0x7f800000
	v_mov_b32_e32 v3, 0x7c
	v_mov_b32_e32 v5, 0x7f
	v_cmp_lt_u32_e32 vcc, s52, v4
	v_cndmask_b32_e32 v3, v3, v5, vcc
; %bb.740:
	s_or_b64 exec, exec, s[48:49]
	v_lshrrev_b32_e32 v4, 24, v2
	s_movk_i32 s48, 0x80
	v_and_or_b32 v3, v4, s48, v3
	global_store_byte v[0:1], v3, off
.LBB120_741:
	s_mov_b64 s[52:53], 0
	s_mov_b64 s[48:49], -1
.LBB120_742:
	s_andn2_b64 vcc, exec, s[52:53]
	s_cbranch_vccnz .LBB120_750
; %bb.743:
	v_mov_b32_e32 v3, 14
	v_cmp_gt_i16_sdwa s[54:55], v6, v3 src0_sel:BYTE_0 src1_sel:DWORD
	s_mov_b64 s[52:53], -1
	s_and_b64 vcc, exec, s[54:55]
	s_cbranch_vccz .LBB120_747
; %bb.744:
	v_mov_b32_e32 v3, 15
	v_cmp_eq_u16_sdwa s[52:53], v6, v3 src0_sel:BYTE_0 src1_sel:DWORD
	s_mov_b64 s[0:1], -1
	s_and_b64 vcc, exec, s[52:53]
	s_cbranch_vccz .LBB120_746
; %bb.745:
	v_bfe_u32 v3, v2, 16, 1
	s_movk_i32 s0, 0x7fff
	v_add3_u32 v3, v2, v3, s0
	v_lshrrev_b32_e32 v3, 16, v3
	v_mov_b32_e32 v4, 0x7fc0
	v_cmp_o_f32_e32 vcc, v2, v2
	v_cndmask_b32_e32 v3, v4, v3, vcc
	global_store_short v[0:1], v3, off
	s_mov_b64 s[48:49], -1
	s_mov_b64 s[0:1], 0
.LBB120_746:
	s_mov_b64 s[52:53], 0
.LBB120_747:
	s_and_b64 vcc, exec, s[52:53]
	s_cbranch_vccz .LBB120_750
; %bb.748:
	v_mov_b32_e32 v3, 11
	v_cmp_eq_u16_sdwa s[52:53], v6, v3 src0_sel:BYTE_0 src1_sel:DWORD
	s_mov_b64 s[0:1], -1
	s_and_b64 vcc, exec, s[52:53]
	s_cbranch_vccz .LBB120_750
; %bb.749:
	v_cmp_neq_f32_e32 vcc, 0, v2
	v_cndmask_b32_e64 v3, 0, 1, vcc
	s_mov_b64 s[48:49], -1
	s_mov_b64 s[0:1], 0
	global_store_byte v[0:1], v3, off
.LBB120_750:
	s_mov_b64 s[52:53], 0
.LBB120_751:
	s_and_b64 vcc, exec, s[52:53]
	s_cbranch_vccz .LBB120_790
; %bb.752:
	v_mov_b32_e32 v3, 5
	v_cmp_lt_i16_sdwa s[52:53], v6, v3 src0_sel:BYTE_0 src1_sel:DWORD
	s_mov_b64 s[48:49], -1
	s_and_b64 vcc, exec, s[52:53]
	s_cbranch_vccnz .LBB120_773
; %bb.753:
	v_mov_b32_e32 v3, 8
	v_cmp_lt_i16_sdwa s[52:53], v6, v3 src0_sel:BYTE_0 src1_sel:DWORD
	s_and_b64 vcc, exec, s[52:53]
	s_cbranch_vccnz .LBB120_763
; %bb.754:
	v_mov_b32_e32 v3, 9
	v_cmp_lt_i16_sdwa s[52:53], v6, v3 src0_sel:BYTE_0 src1_sel:DWORD
	s_and_b64 vcc, exec, s[52:53]
	s_cbranch_vccnz .LBB120_760
; %bb.755:
	v_cmp_gt_i16_sdwa s[52:53], v6, v3 src0_sel:BYTE_0 src1_sel:DWORD
	s_and_b64 vcc, exec, s[52:53]
	s_cbranch_vccz .LBB120_757
; %bb.756:
	v_mov_b32_e32 v12, 0
	v_cvt_f64_f32_e32 v[10:11], v2
	v_mov_b32_e32 v13, v12
	s_mov_b64 s[48:49], 0
	global_store_dwordx4 v[0:1], v[10:13], off
.LBB120_757:
	s_andn2_b64 vcc, exec, s[48:49]
	s_cbranch_vccnz .LBB120_759
; %bb.758:
	v_mov_b32_e32 v3, 0
	global_store_dwordx2 v[0:1], v[2:3], off
.LBB120_759:
	s_mov_b64 s[48:49], 0
.LBB120_760:
	s_andn2_b64 vcc, exec, s[48:49]
	s_cbranch_vccnz .LBB120_762
; %bb.761:
	v_cvt_f16_f32_e32 v3, v2
	global_store_dword v[0:1], v3, off
.LBB120_762:
	s_mov_b64 s[48:49], 0
.LBB120_763:
	s_andn2_b64 vcc, exec, s[48:49]
	s_cbranch_vccnz .LBB120_772
; %bb.764:
	v_mov_b32_e32 v3, 6
	v_cmp_lt_i16_sdwa s[52:53], v6, v3 src0_sel:BYTE_0 src1_sel:DWORD
	s_mov_b64 s[48:49], -1
	s_and_b64 vcc, exec, s[52:53]
	s_cbranch_vccnz .LBB120_770
; %bb.765:
	v_cmp_gt_i16_sdwa s[52:53], v6, v3 src0_sel:BYTE_0 src1_sel:DWORD
	s_and_b64 vcc, exec, s[52:53]
	s_cbranch_vccz .LBB120_767
; %bb.766:
	v_cvt_f64_f32_e32 v[4:5], v2
	s_mov_b64 s[48:49], 0
	global_store_dwordx2 v[0:1], v[4:5], off
.LBB120_767:
	s_andn2_b64 vcc, exec, s[48:49]
	s_cbranch_vccnz .LBB120_769
; %bb.768:
	global_store_dword v[0:1], v2, off
.LBB120_769:
	s_mov_b64 s[48:49], 0
.LBB120_770:
	s_andn2_b64 vcc, exec, s[48:49]
	s_cbranch_vccnz .LBB120_772
; %bb.771:
	v_cvt_f16_f32_e32 v3, v2
	global_store_short v[0:1], v3, off
.LBB120_772:
	s_mov_b64 s[48:49], 0
.LBB120_773:
	s_andn2_b64 vcc, exec, s[48:49]
	s_cbranch_vccnz .LBB120_789
; %bb.774:
	v_mov_b32_e32 v3, 2
	v_cmp_lt_i16_sdwa s[52:53], v6, v3 src0_sel:BYTE_0 src1_sel:DWORD
	s_mov_b64 s[48:49], -1
	s_and_b64 vcc, exec, s[52:53]
	s_cbranch_vccnz .LBB120_784
; %bb.775:
	v_mov_b32_e32 v3, 3
	v_cmp_lt_i16_sdwa s[52:53], v6, v3 src0_sel:BYTE_0 src1_sel:DWORD
	s_and_b64 vcc, exec, s[52:53]
	s_cbranch_vccnz .LBB120_781
; %bb.776:
	v_cmp_gt_i16_sdwa s[52:53], v6, v3 src0_sel:BYTE_0 src1_sel:DWORD
	s_and_b64 vcc, exec, s[52:53]
	s_cbranch_vccz .LBB120_778
; %bb.777:
	v_trunc_f32_e32 v3, v2
	s_mov_b32 s48, 0x2f800000
	v_mul_f32_e64 v4, |v3|, s48
	v_floor_f32_e32 v4, v4
	s_mov_b32 s48, 0xcf800000
	v_cvt_u32_f32_e32 v5, v4
	v_fma_f32 v4, v4, s48, |v3|
	v_cvt_u32_f32_e32 v4, v4
	v_ashrrev_i32_e32 v3, 31, v3
	v_xor_b32_e32 v5, v5, v3
	s_mov_b64 s[48:49], 0
	v_xor_b32_e32 v4, v4, v3
	v_sub_co_u32_e32 v4, vcc, v4, v3
	v_subb_co_u32_e32 v5, vcc, v5, v3, vcc
	global_store_dwordx2 v[0:1], v[4:5], off
.LBB120_778:
	s_andn2_b64 vcc, exec, s[48:49]
	s_cbranch_vccnz .LBB120_780
; %bb.779:
	v_cvt_i32_f32_e32 v3, v2
	global_store_dword v[0:1], v3, off
.LBB120_780:
	s_mov_b64 s[48:49], 0
.LBB120_781:
	s_andn2_b64 vcc, exec, s[48:49]
	s_cbranch_vccnz .LBB120_783
; %bb.782:
	v_cvt_i32_f32_e32 v3, v2
	global_store_short v[0:1], v3, off
.LBB120_783:
	s_mov_b64 s[48:49], 0
.LBB120_784:
	s_andn2_b64 vcc, exec, s[48:49]
	s_cbranch_vccnz .LBB120_789
; %bb.785:
	v_mov_b32_e32 v3, 0
	v_cmp_gt_i16_sdwa s[52:53], v6, v3 src0_sel:BYTE_0 src1_sel:DWORD
	s_mov_b64 s[48:49], -1
	s_and_b64 vcc, exec, s[52:53]
	s_cbranch_vccz .LBB120_787
; %bb.786:
	v_cvt_i32_f32_e32 v3, v2
	s_mov_b64 s[48:49], 0
	global_store_byte v[0:1], v3, off
.LBB120_787:
	s_andn2_b64 vcc, exec, s[48:49]
	s_cbranch_vccnz .LBB120_789
; %bb.788:
	v_trunc_f32_e32 v2, v2
	s_mov_b32 s48, 0x2f800000
	v_mul_f32_e64 v3, |v2|, s48
	v_floor_f32_e32 v3, v3
	s_mov_b32 s48, 0xcf800000
	v_fma_f32 v3, v3, s48, |v2|
	v_cvt_u32_f32_e32 v3, v3
	v_ashrrev_i32_e32 v2, 31, v2
	v_xor_b32_e32 v3, v3, v2
	v_sub_u32_e32 v2, v3, v2
	global_store_byte v[0:1], v2, off
.LBB120_789:
	s_mov_b64 s[48:49], -1
.LBB120_790:
	s_andn2_b64 vcc, exec, s[48:49]
	s_cbranch_vccnz .LBB120_814
; %bb.791:
	v_add_u32_e32 v8, 0x80, v8
	s_mov_b64 s[52:53], -1
.LBB120_792:
	s_andn2_b64 s[48:49], s[36:37], exec
	s_and_b64 s[0:1], s[0:1], exec
	s_or_b64 s[48:49], s[48:49], s[0:1]
	s_andn2_b64 s[0:1], s[38:39], exec
	s_and_b64 s[46:47], s[46:47], exec
	s_or_b64 s[46:47], s[0:1], s[46:47]
	;; [unrolled: 3-line block ×3, first 2 shown]
	s_orn2_b64 s[0:1], s[52:53], exec
.LBB120_793:
	s_or_b64 exec, exec, s[50:51]
	s_mov_b64 s[52:53], 0
	s_mov_b64 s[54:55], 0
	;; [unrolled: 1-line block ×3, first 2 shown]
                                        ; implicit-def: $vgpr3
                                        ; implicit-def: $vgpr4_vgpr5
                                        ; implicit-def: $vgpr2
                                        ; implicit-def: $vgpr0
                                        ; implicit-def: $vgpr1
	s_and_saveexec_b64 s[50:51], s[0:1]
	s_cbranch_execz .LBB120_1288
; %bb.794:
	v_cmp_gt_i32_e32 vcc, s66, v8
	s_mov_b64 s[64:65], -1
	s_mov_b64 s[0:1], s[44:45]
	s_mov_b64 s[56:57], s[46:47]
	;; [unrolled: 1-line block ×3, first 2 shown]
	s_and_saveexec_b64 s[52:53], vcc
	s_cbranch_execz .LBB120_1193
; %bb.795:
	s_andn2_b64 vcc, exec, s[20:21]
	s_cbranch_vccnz .LBB120_802
; %bb.796:
	s_andn2_b64 vcc, exec, s[34:35]
	v_mov_b32_e32 v2, 0
	v_mov_b32_e32 v4, 0
	;; [unrolled: 1-line block ×3, first 2 shown]
	s_cbranch_vccnz .LBB120_801
; %bb.797:
	s_add_i32 s0, s69, 1
	s_and_b32 s54, s0, 30
	s_add_u32 s0, s2, 0xffffffec
	s_addc_u32 s1, s3, -1
	v_mov_b32_e32 v0, 0
	s_waitcnt vmcnt(0)
	v_mov_b32_e32 v1, v8
	v_mov_b32_e32 v4, 0
	;; [unrolled: 1-line block ×3, first 2 shown]
.LBB120_798:                            ; =>This Inner Loop Header: Depth=1
	s_mov_b64 s[64:65], s[0:1]
	s_load_dwordx4 s[56:59], s[64:65], 0x18
	s_load_dwordx2 s[70:71], s[64:65], 0x28
	s_load_dwordx2 s[72:73], s[64:65], 0xe8
	s_load_dwordx4 s[60:63], s[64:65], 0xd8
	s_add_u32 s0, s64, 24
	s_waitcnt lgkmcnt(0)
	v_mul_hi_u32 v3, s57, v1
	v_add_u32_e32 v3, v1, v3
	v_lshrrev_b32_e32 v3, s58, v3
	v_mul_lo_u32 v5, v3, s56
	v_mul_hi_u32 v10, s70, v3
	v_sub_u32_e32 v1, v1, v5
	v_add_u32_e32 v5, v3, v10
	v_mul_lo_u32 v10, v1, s60
	v_mul_lo_u32 v11, v1, s61
	;; [unrolled: 1-line block ×3, first 2 shown]
	v_lshrrev_b32_e32 v1, s71, v5
	v_mul_lo_u32 v5, v1, s59
	v_sub_u32_e32 v3, v3, v5
	s_addc_u32 s1, s65, 0
	s_add_i32 s54, s54, -2
	v_mul_lo_u32 v5, v3, s63
	v_mul_lo_u32 v13, v3, s72
	;; [unrolled: 1-line block ×3, first 2 shown]
	s_cmp_eq_u32 s54, 0
	v_add3_u32 v0, v10, v0, v5
	v_add3_u32 v2, v12, v2, v3
	;; [unrolled: 1-line block ×3, first 2 shown]
	s_cbranch_scc0 .LBB120_798
; %bb.799:
	s_bitcmp1_b32 s69, 0
	s_cselect_b64 s[54:55], -1, 0
	s_and_b64 vcc, exec, s[54:55]
	s_cbranch_vccnz .LBB120_801
; %bb.800:
	s_load_dwordx2 s[54:55], s[0:1], 0x18
	s_load_dword s56, s[0:1], 0x20
	s_load_dword s57, s[0:1], 0xe0
	s_nop 0
	s_load_dwordx2 s[0:1], s[0:1], 0xd8
	s_waitcnt lgkmcnt(0)
	v_mul_hi_u32 v3, s55, v1
	v_add_u32_e32 v3, v1, v3
	v_lshrrev_b32_e32 v3, s56, v3
	v_mul_lo_u32 v3, v3, s54
	v_sub_u32_e32 v3, v1, v3
	v_mad_u64_u32 v[0:1], s[54:55], v3, s0, v[0:1]
	v_mad_u64_u32 v[4:5], s[0:1], v3, s1, v[4:5]
	;; [unrolled: 1-line block ×3, first 2 shown]
.LBB120_801:
	s_mov_b64 s[0:1], 0
	s_branch .LBB120_803
.LBB120_802:
	s_mov_b64 s[0:1], -1
                                        ; implicit-def: $vgpr2
                                        ; implicit-def: $vgpr4
                                        ; implicit-def: $vgpr0
.LBB120_803:
	s_andn2_b64 vcc, exec, s[0:1]
	s_cbranch_vccnz .LBB120_806
; %bb.804:
	s_waitcnt lgkmcnt(0)
	v_mul_hi_u32 v0, s17, v8
	v_add_u32_e32 v0, v8, v0
	s_waitcnt vmcnt(0)
	v_lshrrev_b32_e32 v1, s18, v0
	v_mul_lo_u32 v0, v1, s16
	v_sub_u32_e32 v3, v8, v0
	v_mul_lo_u32 v0, v3, s12
	v_mul_lo_u32 v2, v3, s14
	s_andn2_b64 vcc, exec, s[30:31]
	v_mul_lo_u32 v4, v3, s13
	s_cbranch_vccnz .LBB120_806
; %bb.805:
	v_mul_hi_u32 v3, s28, v1
	v_add_u32_e32 v3, v1, v3
	v_lshrrev_b32_e32 v3, s29, v3
	v_mul_lo_u32 v3, v3, s19
	v_sub_u32_e32 v3, v1, v3
	v_mad_u64_u32 v[0:1], s[0:1], v3, s15, v[0:1]
	v_mad_u64_u32 v[4:5], s[0:1], v3, s26, v[4:5]
	;; [unrolled: 1-line block ×3, first 2 shown]
.LBB120_806:
	s_waitcnt vmcnt(0) lgkmcnt(0)
	v_mov_b32_e32 v1, s11
	v_add_co_u32_e32 v4, vcc, s10, v4
	v_addc_co_u32_e32 v5, vcc, 0, v1, vcc
	v_mov_b32_e32 v1, 11
	v_cmp_lt_i16_sdwa s[0:1], v9, v1 src0_sel:BYTE_0 src1_sel:DWORD
	s_and_b64 vcc, exec, s[0:1]
	s_cbranch_vccnz .LBB120_813
; %bb.807:
	v_mov_b32_e32 v1, 25
	v_cmp_gt_i16_sdwa s[0:1], v9, v1 src0_sel:BYTE_0 src1_sel:DWORD
	s_and_b64 vcc, exec, s[0:1]
	s_cbranch_vccz .LBB120_815
; %bb.808:
	v_mov_b32_e32 v1, 28
	v_cmp_gt_i16_sdwa s[0:1], v9, v1 src0_sel:BYTE_0 src1_sel:DWORD
	s_and_b64 vcc, exec, s[0:1]
	s_cbranch_vccz .LBB120_816
	;; [unrolled: 5-line block ×4, first 2 shown]
; %bb.811:
	v_mov_b32_e32 v1, 46
	v_cmp_eq_u16_sdwa s[0:1], v9, v1 src0_sel:BYTE_0 src1_sel:DWORD
	s_mov_b64 s[56:57], 0
	s_and_b64 vcc, exec, s[0:1]
	s_cbranch_vccz .LBB120_821
; %bb.812:
	global_load_dword v1, v[4:5], off
	s_mov_b64 s[0:1], -1
	s_mov_b64 s[54:55], 0
	s_waitcnt vmcnt(0)
	v_lshlrev_b32_e32 v10, 16, v1
	s_branch .LBB120_822
.LBB120_813:
	s_mov_b64 s[56:57], -1
	s_mov_b64 s[0:1], 0
                                        ; implicit-def: $vgpr10
	s_mov_b64 s[54:55], s[44:45]
	s_branch .LBB120_887
.LBB120_814:
	s_mov_b64 s[52:53], 0
	s_branch .LBB120_550
.LBB120_815:
	s_mov_b64 s[56:57], -1
	s_mov_b64 s[0:1], 0
	s_mov_b64 s[54:55], s[44:45]
                                        ; implicit-def: $vgpr10
	s_branch .LBB120_851
.LBB120_816:
	s_mov_b64 s[56:57], -1
	s_mov_b64 s[0:1], 0
	s_mov_b64 s[54:55], s[44:45]
                                        ; implicit-def: $vgpr10
	s_branch .LBB120_832
.LBB120_817:
	s_mov_b64 s[56:57], -1
	s_mov_b64 s[0:1], 0
	s_mov_b64 s[54:55], s[44:45]
                                        ; implicit-def: $vgpr10
	s_branch .LBB120_827
.LBB120_818:
	s_mov_b64 s[56:57], -1
	s_mov_b64 s[0:1], 0
	s_mov_b64 s[54:55], s[44:45]
                                        ; implicit-def: $vgpr10
	s_branch .LBB120_822
.LBB120_819:
	s_or_saveexec_b64 s[54:55], s[54:55]
                                        ; implicit-def: $sgpr56
	s_xor_b64 exec, exec, s[54:55]
	s_cbranch_execz .LBB120_703
.LBB120_820:
	s_mov_b32 s56, 0x46000000
	v_add_f32_e64 v3, |v10|, s56
	v_and_b32_e32 v3, 0xff, v3
	v_cmp_ne_u32_e32 vcc, 0, v3
	s_andn2_b64 s[52:53], s[52:53], exec
	s_and_b64 s[58:59], vcc, exec
	s_mov_b32 s56, 0
	s_or_b64 s[52:53], s[52:53], s[58:59]
	s_or_b64 exec, exec, s[54:55]
	v_mov_b32_e32 v4, s56
	s_and_saveexec_b64 s[54:55], s[52:53]
	s_cbranch_execnz .LBB120_704
	s_branch .LBB120_705
.LBB120_821:
	s_mov_b64 s[54:55], -1
                                        ; implicit-def: $vgpr10
	s_mov_b64 s[0:1], 0
.LBB120_822:
	s_and_b64 vcc, exec, s[56:57]
	s_cbranch_vccz .LBB120_826
; %bb.823:
	v_mov_b32_e32 v1, 44
	v_cmp_eq_u16_sdwa s[54:55], v9, v1 src0_sel:BYTE_0 src1_sel:DWORD
	s_and_b64 vcc, exec, s[54:55]
	s_cbranch_vccz .LBB120_825
; %bb.824:
	global_load_ubyte v1, v[4:5], off
	s_movk_i32 s54, 0xff
	v_mov_b32_e32 v3, 0x7f800001
	v_mov_b32_e32 v10, 0x400000
	s_mov_b64 s[0:1], -1
	s_waitcnt vmcnt(0)
	v_lshlrev_b32_e32 v11, 23, v1
	v_cmp_ne_u32_e32 vcc, s54, v1
	v_cndmask_b32_e32 v3, v3, v11, vcc
	v_cmp_ne_u32_e32 vcc, 0, v1
	v_cndmask_b32_e32 v10, v10, v3, vcc
	s_mov_b64 s[54:55], 0
	s_branch .LBB120_826
.LBB120_825:
	s_mov_b64 s[54:55], -1
                                        ; implicit-def: $vgpr10
.LBB120_826:
	s_mov_b64 s[56:57], 0
.LBB120_827:
	s_and_b64 vcc, exec, s[56:57]
	s_cbranch_vccz .LBB120_831
; %bb.828:
	v_mov_b32_e32 v1, 29
	v_cmp_eq_u16_sdwa s[54:55], v9, v1 src0_sel:BYTE_0 src1_sel:DWORD
	s_and_b64 vcc, exec, s[54:55]
	s_cbranch_vccz .LBB120_830
; %bb.829:
	global_load_dwordx2 v[10:11], v[4:5], off
	s_mov_b64 s[0:1], -1
	s_mov_b64 s[54:55], 0
	s_mov_b64 s[56:57], 0
	s_waitcnt vmcnt(0)
	v_ffbh_u32_e32 v1, v11
	v_min_u32_e32 v1, 32, v1
	v_lshlrev_b64 v[10:11], v1, v[10:11]
	v_min_u32_e32 v3, 1, v10
	v_or_b32_e32 v3, v11, v3
	v_cvt_f32_u32_e32 v3, v3
	v_sub_u32_e32 v1, 32, v1
	v_ldexp_f32 v10, v3, v1
	s_branch .LBB120_832
.LBB120_830:
	s_mov_b64 s[54:55], -1
                                        ; implicit-def: $vgpr10
.LBB120_831:
	s_mov_b64 s[56:57], 0
.LBB120_832:
	s_and_b64 vcc, exec, s[56:57]
	s_cbranch_vccz .LBB120_850
; %bb.833:
	v_mov_b32_e32 v1, 27
	v_cmp_lt_i16_sdwa s[0:1], v9, v1 src0_sel:BYTE_0 src1_sel:DWORD
	s_and_b64 vcc, exec, s[0:1]
	s_cbranch_vccnz .LBB120_836
; %bb.834:
	v_cmp_gt_i16_sdwa s[0:1], v9, v1 src0_sel:BYTE_0 src1_sel:DWORD
	s_and_b64 vcc, exec, s[0:1]
	s_cbranch_vccz .LBB120_837
; %bb.835:
	global_load_dword v1, v[4:5], off
	s_mov_b64 s[0:1], 0
	s_waitcnt vmcnt(0)
	v_cvt_f32_u32_e32 v10, v1
	s_branch .LBB120_838
.LBB120_836:
	s_mov_b64 s[0:1], -1
                                        ; implicit-def: $vgpr10
	s_branch .LBB120_841
.LBB120_837:
	s_mov_b64 s[0:1], -1
                                        ; implicit-def: $vgpr10
.LBB120_838:
	s_andn2_b64 vcc, exec, s[0:1]
	s_cbranch_vccnz .LBB120_840
; %bb.839:
	global_load_ushort v1, v[4:5], off
	s_waitcnt vmcnt(0)
	v_cvt_f32_u32_e32 v10, v1
.LBB120_840:
	s_mov_b64 s[0:1], 0
.LBB120_841:
	s_andn2_b64 vcc, exec, s[0:1]
	s_cbranch_vccnz .LBB120_849
; %bb.842:
	global_load_ubyte v1, v[4:5], off
	s_movk_i32 s0, 0x7f
                                        ; implicit-def: $sgpr60
	s_waitcnt vmcnt(0)
	v_cmp_lt_i16_e32 vcc, s0, v1
	s_mov_b64 s[0:1], 0
	s_and_saveexec_b64 s[56:57], vcc
	s_xor_b64 s[56:57], exec, s[56:57]
	s_cbranch_execz .LBB120_863
; %bb.843:
	s_movk_i32 s0, 0x80
	v_cmp_eq_u16_e32 vcc, s0, v1
	s_mov_b64 s[0:1], -1
                                        ; implicit-def: $sgpr60
	s_and_saveexec_b64 s[58:59], vcc
; %bb.844:
	s_mov_b32 s60, 0x7f800001
	s_xor_b64 s[0:1], exec, -1
; %bb.845:
	s_or_b64 exec, exec, s[58:59]
	s_and_b64 s[0:1], s[0:1], exec
	s_or_saveexec_b64 s[56:57], s[56:57]
	v_mov_b32_e32 v10, s60
	s_xor_b64 exec, exec, s[56:57]
	s_cbranch_execnz .LBB120_864
.LBB120_846:
	s_or_b64 exec, exec, s[56:57]
	s_and_saveexec_b64 s[56:57], s[0:1]
	s_cbranch_execz .LBB120_848
.LBB120_847:
	v_lshlrev_b32_e32 v3, 24, v1
	v_and_b32_e32 v1, 0xffff, v1
	v_and_b32_e32 v10, 7, v1
	v_ffbh_u32_e32 v12, v10
	v_min_u32_e32 v12, 32, v12
	v_subrev_u32_e32 v13, 28, v12
	v_bfe_u32 v11, v1, 3, 4
	v_lshlrev_b32_e32 v1, v13, v1
	v_sub_u32_e32 v12, 29, v12
	v_and_b32_e32 v1, 7, v1
	v_cmp_eq_u32_e32 vcc, 0, v11
	v_cndmask_b32_e32 v11, v11, v12, vcc
	v_cndmask_b32_e32 v1, v10, v1, vcc
	v_mov_b32_e32 v10, 0x3b800000
	v_lshlrev_b32_e32 v1, 20, v1
	v_and_b32_e32 v3, 0x80000000, v3
	v_lshl_add_u32 v10, v11, 23, v10
	v_or3_b32 v10, v3, v10, v1
.LBB120_848:
	s_or_b64 exec, exec, s[56:57]
.LBB120_849:
	s_mov_b64 s[0:1], -1
.LBB120_850:
	s_mov_b64 s[56:57], 0
.LBB120_851:
	s_and_b64 vcc, exec, s[56:57]
	s_cbranch_vccz .LBB120_886
; %bb.852:
	v_mov_b32_e32 v1, 22
	v_cmp_gt_i16_sdwa s[56:57], v9, v1 src0_sel:BYTE_0 src1_sel:DWORD
	s_and_b64 vcc, exec, s[56:57]
	s_cbranch_vccz .LBB120_862
; %bb.853:
	v_mov_b32_e32 v1, 24
	v_cmp_lt_i16_sdwa s[0:1], v9, v1 src0_sel:BYTE_0 src1_sel:DWORD
	s_and_b64 vcc, exec, s[0:1]
	s_cbranch_vccnz .LBB120_865
; %bb.854:
	v_cmp_gt_i16_sdwa s[0:1], v9, v1 src0_sel:BYTE_0 src1_sel:DWORD
	s_and_b64 vcc, exec, s[0:1]
	s_cbranch_vccz .LBB120_866
; %bb.855:
	global_load_ubyte v1, v[4:5], off
	s_movk_i32 s0, 0x7f
                                        ; implicit-def: $sgpr60
	s_waitcnt vmcnt(0)
	v_cmp_lt_i16_e32 vcc, s0, v1
	s_mov_b64 s[0:1], 0
	s_and_saveexec_b64 s[56:57], vcc
	s_xor_b64 s[56:57], exec, s[56:57]
	s_cbranch_execz .LBB120_878
; %bb.856:
	s_movk_i32 s0, 0x80
	v_cmp_eq_u16_e32 vcc, s0, v1
	s_mov_b64 s[0:1], -1
                                        ; implicit-def: $sgpr60
	s_and_saveexec_b64 s[58:59], vcc
; %bb.857:
	s_mov_b32 s60, 0x7f800001
	s_xor_b64 s[0:1], exec, -1
; %bb.858:
	s_or_b64 exec, exec, s[58:59]
	s_and_b64 s[0:1], s[0:1], exec
	s_or_saveexec_b64 s[56:57], s[56:57]
	v_mov_b32_e32 v10, s60
	s_xor_b64 exec, exec, s[56:57]
	s_cbranch_execnz .LBB120_879
.LBB120_859:
	s_or_b64 exec, exec, s[56:57]
	s_and_saveexec_b64 s[56:57], s[0:1]
	s_cbranch_execz .LBB120_861
.LBB120_860:
	v_lshlrev_b32_e32 v3, 24, v1
	v_and_b32_e32 v1, 0xffff, v1
	v_and_b32_e32 v10, 3, v1
	v_ffbh_u32_e32 v12, v10
	v_min_u32_e32 v12, 32, v12
	v_subrev_u32_e32 v13, 29, v12
	v_bfe_u32 v11, v1, 2, 5
	v_lshlrev_b32_e32 v1, v13, v1
	v_sub_u32_e32 v12, 30, v12
	v_and_b32_e32 v1, 3, v1
	v_cmp_eq_u32_e32 vcc, 0, v11
	v_cndmask_b32_e32 v11, v11, v12, vcc
	v_cndmask_b32_e32 v1, v10, v1, vcc
	v_mov_b32_e32 v10, 0x37800000
	v_lshlrev_b32_e32 v1, 21, v1
	v_and_b32_e32 v3, 0x80000000, v3
	v_lshl_add_u32 v10, v11, 23, v10
	v_or3_b32 v10, v3, v10, v1
.LBB120_861:
	s_or_b64 exec, exec, s[56:57]
	s_mov_b64 s[0:1], 0
	s_branch .LBB120_867
.LBB120_862:
	s_mov_b64 s[56:57], -1
                                        ; implicit-def: $vgpr10
	s_branch .LBB120_873
.LBB120_863:
	s_or_saveexec_b64 s[56:57], s[56:57]
	v_mov_b32_e32 v10, s60
	s_xor_b64 exec, exec, s[56:57]
	s_cbranch_execz .LBB120_846
.LBB120_864:
	v_cmp_ne_u16_e32 vcc, 0, v1
	s_andn2_b64 s[0:1], s[0:1], exec
	s_and_b64 s[58:59], vcc, exec
	v_mov_b32_e32 v10, 0
	s_or_b64 s[0:1], s[0:1], s[58:59]
	s_or_b64 exec, exec, s[56:57]
	s_and_saveexec_b64 s[56:57], s[0:1]
	s_cbranch_execnz .LBB120_847
	s_branch .LBB120_848
.LBB120_865:
	s_mov_b64 s[0:1], -1
                                        ; implicit-def: $vgpr10
	s_branch .LBB120_870
.LBB120_866:
	s_mov_b64 s[0:1], -1
                                        ; implicit-def: $vgpr10
.LBB120_867:
	s_and_b64 vcc, exec, s[0:1]
	s_cbranch_vccz .LBB120_869
; %bb.868:
	global_load_ubyte v1, v[4:5], off
	s_mov_b32 s0, 0x7f800000
	s_waitcnt vmcnt(0)
	v_lshlrev_b32_e32 v1, 24, v1
	v_and_b32_e32 v3, 0x7f000000, v1
	v_ffbh_u32_e32 v10, v3
	v_min_u32_e32 v10, 32, v10
	v_sub_u32_e64 v10, v10, 4 clamp
	v_lshlrev_b32_e32 v12, v10, v3
	v_lshlrev_b32_e32 v10, 23, v10
	v_lshrrev_b32_e32 v12, 4, v12
	v_add_u32_e32 v11, 0x1000000, v3
	v_sub_u32_e32 v10, v12, v10
	v_ashrrev_i32_e32 v11, 8, v11
	v_add_u32_e32 v10, 0x3c000000, v10
	v_and_or_b32 v10, v11, s0, v10
	v_cmp_ne_u32_e32 vcc, 0, v3
	v_cndmask_b32_e32 v3, 0, v10, vcc
	s_brev_b32 s0, 1
	v_and_or_b32 v10, v1, s0, v3
.LBB120_869:
	s_mov_b64 s[0:1], 0
.LBB120_870:
	s_andn2_b64 vcc, exec, s[0:1]
	s_cbranch_vccnz .LBB120_872
; %bb.871:
	global_load_ubyte v1, v[4:5], off
	s_movk_i32 s0, 0x7f00
	s_brev_b32 s1, 16
	s_waitcnt vmcnt(0)
	v_lshlrev_b16_e32 v3, 8, v1
	v_lshlrev_b32_e32 v1, 25, v1
	v_lshrrev_b32_e32 v10, 4, v1
	v_and_or_b32 v11, v3, s0, 0.5
	v_or_b32_e32 v10, 0x70000000, v10
	v_add_f32_e32 v11, -0.5, v11
	v_mul_f32_e32 v10, 0x7800000, v10
	v_cmp_gt_u32_e32 vcc, s1, v1
	v_bfe_i32 v3, v3, 0, 16
	v_cndmask_b32_e32 v1, v10, v11, vcc
	s_brev_b32 s0, 1
	v_and_or_b32 v10, v3, s0, v1
.LBB120_872:
	s_mov_b64 s[56:57], 0
	s_mov_b64 s[0:1], -1
.LBB120_873:
	s_andn2_b64 vcc, exec, s[56:57]
	s_cbranch_vccnz .LBB120_886
; %bb.874:
	v_mov_b32_e32 v1, 14
	v_cmp_gt_i16_sdwa s[56:57], v9, v1 src0_sel:BYTE_0 src1_sel:DWORD
	s_and_b64 vcc, exec, s[56:57]
	s_cbranch_vccz .LBB120_877
; %bb.875:
	v_mov_b32_e32 v1, 15
	v_cmp_eq_u16_sdwa s[54:55], v9, v1 src0_sel:BYTE_0 src1_sel:DWORD
	s_and_b64 vcc, exec, s[54:55]
	s_cbranch_vccz .LBB120_880
; %bb.876:
	global_load_ushort v1, v[4:5], off
	s_mov_b64 s[0:1], -1
	s_mov_b64 s[54:55], 0
	s_waitcnt vmcnt(0)
	v_lshlrev_b32_e32 v10, 16, v1
	s_branch .LBB120_881
.LBB120_877:
	s_mov_b64 s[56:57], -1
                                        ; implicit-def: $vgpr10
	s_branch .LBB120_882
.LBB120_878:
	s_or_saveexec_b64 s[56:57], s[56:57]
	v_mov_b32_e32 v10, s60
	s_xor_b64 exec, exec, s[56:57]
	s_cbranch_execz .LBB120_859
.LBB120_879:
	v_cmp_ne_u16_e32 vcc, 0, v1
	s_andn2_b64 s[0:1], s[0:1], exec
	s_and_b64 s[58:59], vcc, exec
	v_mov_b32_e32 v10, 0
	s_or_b64 s[0:1], s[0:1], s[58:59]
	s_or_b64 exec, exec, s[56:57]
	s_and_saveexec_b64 s[56:57], s[0:1]
	s_cbranch_execnz .LBB120_860
	s_branch .LBB120_861
.LBB120_880:
	s_mov_b64 s[54:55], -1
                                        ; implicit-def: $vgpr10
.LBB120_881:
	s_mov_b64 s[56:57], 0
.LBB120_882:
	s_and_b64 vcc, exec, s[56:57]
	s_cbranch_vccz .LBB120_886
; %bb.883:
	v_mov_b32_e32 v1, 11
	v_cmp_eq_u16_sdwa s[54:55], v9, v1 src0_sel:BYTE_0 src1_sel:DWORD
	s_and_b64 vcc, exec, s[54:55]
	s_cbranch_vccz .LBB120_885
; %bb.884:
	global_load_ubyte v1, v[4:5], off
	s_mov_b64 s[0:1], -1
	s_mov_b64 s[54:55], 0
	s_waitcnt vmcnt(0)
	v_cmp_ne_u16_e32 vcc, 0, v1
	v_cndmask_b32_e64 v10, 0, 1.0, vcc
	s_branch .LBB120_886
.LBB120_885:
	s_mov_b64 s[54:55], -1
                                        ; implicit-def: $vgpr10
.LBB120_886:
	s_mov_b64 s[56:57], 0
.LBB120_887:
	s_and_b64 vcc, exec, s[56:57]
	s_cbranch_vccz .LBB120_936
; %bb.888:
	v_mov_b32_e32 v1, 5
	v_cmp_lt_i16_sdwa s[0:1], v9, v1 src0_sel:BYTE_0 src1_sel:DWORD
	s_and_b64 vcc, exec, s[0:1]
	s_cbranch_vccnz .LBB120_893
; %bb.889:
	v_mov_b32_e32 v1, 8
	v_cmp_lt_i16_sdwa s[0:1], v9, v1 src0_sel:BYTE_0 src1_sel:DWORD
	s_and_b64 vcc, exec, s[0:1]
	s_cbranch_vccnz .LBB120_894
; %bb.890:
	v_mov_b32_e32 v1, 9
	v_cmp_lt_i16_sdwa s[0:1], v9, v1 src0_sel:BYTE_0 src1_sel:DWORD
	s_and_b64 vcc, exec, s[0:1]
	s_cbranch_vccnz .LBB120_895
; %bb.891:
	v_cmp_gt_i16_sdwa s[0:1], v9, v1 src0_sel:BYTE_0 src1_sel:DWORD
	s_and_b64 vcc, exec, s[0:1]
	s_cbranch_vccz .LBB120_896
; %bb.892:
	global_load_dwordx2 v[10:11], v[4:5], off
	s_mov_b64 s[0:1], 0
	s_waitcnt vmcnt(0)
	v_cvt_f32_f64_e32 v10, v[10:11]
	s_branch .LBB120_897
.LBB120_893:
	s_mov_b64 s[0:1], -1
                                        ; implicit-def: $vgpr10
	s_branch .LBB120_915
.LBB120_894:
	s_mov_b64 s[0:1], -1
                                        ; implicit-def: $vgpr10
	s_branch .LBB120_903
.LBB120_895:
	s_mov_b64 s[0:1], -1
                                        ; implicit-def: $vgpr10
	s_branch .LBB120_900
.LBB120_896:
	s_mov_b64 s[0:1], -1
                                        ; implicit-def: $vgpr10
.LBB120_897:
	s_andn2_b64 vcc, exec, s[0:1]
	s_cbranch_vccnz .LBB120_899
; %bb.898:
	global_load_dword v10, v[4:5], off
.LBB120_899:
	s_mov_b64 s[0:1], 0
.LBB120_900:
	s_andn2_b64 vcc, exec, s[0:1]
	s_cbranch_vccnz .LBB120_902
; %bb.901:
	global_load_dword v1, v[4:5], off
	s_waitcnt vmcnt(0)
	v_cvt_f32_f16_e32 v10, v1
.LBB120_902:
	s_mov_b64 s[0:1], 0
.LBB120_903:
	s_andn2_b64 vcc, exec, s[0:1]
	s_cbranch_vccnz .LBB120_914
; %bb.904:
	v_mov_b32_e32 v1, 6
	v_cmp_lt_i16_sdwa s[0:1], v9, v1 src0_sel:BYTE_0 src1_sel:DWORD
	s_and_b64 vcc, exec, s[0:1]
	s_cbranch_vccnz .LBB120_907
; %bb.905:
	v_cmp_gt_i16_sdwa s[0:1], v9, v1 src0_sel:BYTE_0 src1_sel:DWORD
	s_and_b64 vcc, exec, s[0:1]
	s_cbranch_vccz .LBB120_908
; %bb.906:
	global_load_dwordx2 v[10:11], v[4:5], off
	s_mov_b64 s[0:1], 0
	s_waitcnt vmcnt(0)
	v_cvt_f32_f64_e32 v10, v[10:11]
	s_branch .LBB120_909
.LBB120_907:
	s_mov_b64 s[0:1], -1
                                        ; implicit-def: $vgpr10
	s_branch .LBB120_912
.LBB120_908:
	s_mov_b64 s[0:1], -1
                                        ; implicit-def: $vgpr10
.LBB120_909:
	s_andn2_b64 vcc, exec, s[0:1]
	s_cbranch_vccnz .LBB120_911
; %bb.910:
	global_load_dword v10, v[4:5], off
.LBB120_911:
	s_mov_b64 s[0:1], 0
.LBB120_912:
	s_andn2_b64 vcc, exec, s[0:1]
	s_cbranch_vccnz .LBB120_914
; %bb.913:
	global_load_ushort v1, v[4:5], off
	s_waitcnt vmcnt(0)
	v_cvt_f32_f16_e32 v10, v1
.LBB120_914:
	s_mov_b64 s[0:1], 0
.LBB120_915:
	s_andn2_b64 vcc, exec, s[0:1]
	s_cbranch_vccnz .LBB120_935
; %bb.916:
	v_mov_b32_e32 v1, 2
	v_cmp_lt_i16_sdwa s[0:1], v9, v1 src0_sel:BYTE_0 src1_sel:DWORD
	s_and_b64 vcc, exec, s[0:1]
	s_cbranch_vccnz .LBB120_920
; %bb.917:
	v_mov_b32_e32 v1, 3
	v_cmp_lt_i16_sdwa s[0:1], v9, v1 src0_sel:BYTE_0 src1_sel:DWORD
	s_and_b64 vcc, exec, s[0:1]
	s_cbranch_vccnz .LBB120_921
; %bb.918:
	v_cmp_gt_i16_sdwa s[0:1], v9, v1 src0_sel:BYTE_0 src1_sel:DWORD
	s_and_b64 vcc, exec, s[0:1]
	s_cbranch_vccz .LBB120_922
; %bb.919:
	global_load_dwordx2 v[10:11], v[4:5], off
	s_mov_b64 s[0:1], 0
	s_waitcnt vmcnt(0)
	v_xor_b32_e32 v3, v10, v11
	v_ffbh_i32_e32 v1, v11
	v_ashrrev_i32_e32 v3, 31, v3
	v_add_u32_e32 v1, -1, v1
	v_add_u32_e32 v3, 32, v3
	v_min_u32_e32 v1, v1, v3
	v_lshlrev_b64 v[10:11], v1, v[10:11]
	v_min_u32_e32 v3, 1, v10
	v_or_b32_e32 v3, v11, v3
	v_cvt_f32_i32_e32 v3, v3
	v_sub_u32_e32 v1, 32, v1
	v_ldexp_f32 v10, v3, v1
	s_branch .LBB120_923
.LBB120_920:
	s_mov_b64 s[0:1], -1
                                        ; implicit-def: $vgpr10
	s_branch .LBB120_929
.LBB120_921:
	s_mov_b64 s[0:1], -1
                                        ; implicit-def: $vgpr10
	s_branch .LBB120_926
.LBB120_922:
	s_mov_b64 s[0:1], -1
                                        ; implicit-def: $vgpr10
.LBB120_923:
	s_andn2_b64 vcc, exec, s[0:1]
	s_cbranch_vccnz .LBB120_925
; %bb.924:
	global_load_dword v1, v[4:5], off
	s_waitcnt vmcnt(0)
	v_cvt_f32_i32_e32 v10, v1
.LBB120_925:
	s_mov_b64 s[0:1], 0
.LBB120_926:
	s_andn2_b64 vcc, exec, s[0:1]
	s_cbranch_vccnz .LBB120_928
; %bb.927:
	global_load_sshort v1, v[4:5], off
	s_waitcnt vmcnt(0)
	v_cvt_f32_i32_e32 v10, v1
.LBB120_928:
	s_mov_b64 s[0:1], 0
.LBB120_929:
	s_andn2_b64 vcc, exec, s[0:1]
	s_cbranch_vccnz .LBB120_935
; %bb.930:
	v_mov_b32_e32 v1, 0
	v_cmp_gt_i16_sdwa s[0:1], v9, v1 src0_sel:BYTE_0 src1_sel:DWORD
	s_and_b64 vcc, exec, s[0:1]
	s_cbranch_vccz .LBB120_932
; %bb.931:
	global_load_sbyte v1, v[4:5], off
	s_mov_b64 s[0:1], 0
	s_waitcnt vmcnt(0)
	v_cvt_f32_i32_e32 v10, v1
	s_branch .LBB120_933
.LBB120_932:
	s_mov_b64 s[0:1], -1
                                        ; implicit-def: $vgpr10
.LBB120_933:
	s_andn2_b64 vcc, exec, s[0:1]
	s_cbranch_vccnz .LBB120_935
; %bb.934:
	global_load_ubyte v1, v[4:5], off
	s_waitcnt vmcnt(0)
	v_cvt_f32_ubyte0_e32 v10, v1
.LBB120_935:
	s_mov_b64 s[0:1], -1
.LBB120_936:
	s_andn2_b64 vcc, exec, s[0:1]
	s_cbranch_vccnz .LBB120_944
; %bb.937:
	v_mov_b32_e32 v1, s25
	v_add_co_u32_e32 v2, vcc, s24, v2
	v_addc_co_u32_e32 v3, vcc, 0, v1, vcc
	v_mov_b32_e32 v1, 11
	v_cmp_lt_i16_sdwa s[0:1], v7, v1 src0_sel:BYTE_0 src1_sel:DWORD
	s_and_b64 vcc, exec, s[0:1]
	s_cbranch_vccnz .LBB120_946
; %bb.938:
	v_mov_b32_e32 v1, 25
	v_cmp_gt_i16_sdwa s[0:1], v7, v1 src0_sel:BYTE_0 src1_sel:DWORD
	s_and_b64 vcc, exec, s[0:1]
	s_cbranch_vccz .LBB120_947
; %bb.939:
	v_mov_b32_e32 v1, 28
	v_cmp_gt_i16_sdwa s[0:1], v7, v1 src0_sel:BYTE_0 src1_sel:DWORD
	s_and_b64 vcc, exec, s[0:1]
	s_cbranch_vccz .LBB120_948
	;; [unrolled: 5-line block ×4, first 2 shown]
; %bb.942:
	v_mov_b32_e32 v1, 46
	v_cmp_eq_u16_sdwa s[0:1], v7, v1 src0_sel:BYTE_0 src1_sel:DWORD
	s_mov_b64 s[58:59], 0
	s_and_b64 vcc, exec, s[0:1]
	s_cbranch_vccz .LBB120_953
; %bb.943:
	global_load_dword v1, v[2:3], off
	s_mov_b64 s[0:1], -1
	s_mov_b64 s[56:57], 0
	s_waitcnt vmcnt(0)
	v_lshlrev_b32_e32 v1, 16, v1
	s_branch .LBB120_954
.LBB120_944:
	s_mov_b64 s[60:61], 0
	s_mov_b64 s[0:1], s[48:49]
	;; [unrolled: 1-line block ×3, first 2 shown]
.LBB120_945:
                                        ; implicit-def: $vgpr8
	s_branch .LBB120_1192
.LBB120_946:
	s_mov_b64 s[58:59], -1
	s_mov_b64 s[0:1], 0
                                        ; implicit-def: $vgpr1
	s_mov_b64 s[56:57], s[46:47]
	s_branch .LBB120_1019
.LBB120_947:
	s_mov_b64 s[58:59], -1
	s_mov_b64 s[0:1], 0
	s_mov_b64 s[56:57], s[46:47]
                                        ; implicit-def: $vgpr1
	s_branch .LBB120_983
.LBB120_948:
	s_mov_b64 s[58:59], -1
	s_mov_b64 s[0:1], 0
	s_mov_b64 s[56:57], s[46:47]
                                        ; implicit-def: $vgpr1
	s_branch .LBB120_964
.LBB120_949:
	s_mov_b64 s[58:59], -1
	s_mov_b64 s[0:1], 0
	s_mov_b64 s[56:57], s[46:47]
                                        ; implicit-def: $vgpr1
	s_branch .LBB120_959
.LBB120_950:
	s_mov_b64 s[58:59], -1
	s_mov_b64 s[0:1], 0
	s_mov_b64 s[56:57], s[46:47]
                                        ; implicit-def: $vgpr1
	s_branch .LBB120_954
.LBB120_951:
	s_or_saveexec_b64 s[54:55], s[54:55]
                                        ; implicit-def: $sgpr56
	s_xor_b64 exec, exec, s[54:55]
	s_cbranch_execz .LBB120_716
.LBB120_952:
	s_mov_b32 s56, 0x42800000
	v_add_f32_e64 v3, |v10|, s56
	v_and_b32_e32 v3, 0xff, v3
	v_cmp_ne_u32_e32 vcc, 0, v3
	s_andn2_b64 s[52:53], s[52:53], exec
	s_and_b64 s[58:59], vcc, exec
	s_mov_b32 s56, 0
	s_or_b64 s[52:53], s[52:53], s[58:59]
	s_or_b64 exec, exec, s[54:55]
	v_mov_b32_e32 v4, s56
	s_and_saveexec_b64 s[54:55], s[52:53]
	s_cbranch_execnz .LBB120_717
	s_branch .LBB120_718
.LBB120_953:
	s_mov_b64 s[56:57], -1
                                        ; implicit-def: $vgpr1
	s_mov_b64 s[0:1], 0
.LBB120_954:
	s_and_b64 vcc, exec, s[58:59]
	s_cbranch_vccz .LBB120_958
; %bb.955:
	v_mov_b32_e32 v1, 44
	v_cmp_eq_u16_sdwa s[56:57], v7, v1 src0_sel:BYTE_0 src1_sel:DWORD
	s_and_b64 vcc, exec, s[56:57]
	s_cbranch_vccz .LBB120_957
; %bb.956:
	global_load_ubyte v1, v[2:3], off
	s_movk_i32 s56, 0xff
	v_mov_b32_e32 v4, 0x7f800001
	v_mov_b32_e32 v5, 0x400000
	s_mov_b64 s[0:1], -1
	s_waitcnt vmcnt(0)
	v_lshlrev_b32_e32 v11, 23, v1
	v_cmp_ne_u32_e32 vcc, s56, v1
	v_cndmask_b32_e32 v4, v4, v11, vcc
	v_cmp_ne_u32_e32 vcc, 0, v1
	v_cndmask_b32_e32 v1, v5, v4, vcc
	s_mov_b64 s[56:57], 0
	s_branch .LBB120_958
.LBB120_957:
	s_mov_b64 s[56:57], -1
                                        ; implicit-def: $vgpr1
.LBB120_958:
	s_mov_b64 s[58:59], 0
.LBB120_959:
	s_and_b64 vcc, exec, s[58:59]
	s_cbranch_vccz .LBB120_963
; %bb.960:
	v_mov_b32_e32 v1, 29
	v_cmp_eq_u16_sdwa s[56:57], v7, v1 src0_sel:BYTE_0 src1_sel:DWORD
	s_and_b64 vcc, exec, s[56:57]
	s_cbranch_vccz .LBB120_962
; %bb.961:
	global_load_dwordx2 v[4:5], v[2:3], off
	s_mov_b64 s[0:1], -1
	s_mov_b64 s[56:57], 0
	s_mov_b64 s[58:59], 0
	s_waitcnt vmcnt(0)
	v_ffbh_u32_e32 v1, v5
	v_min_u32_e32 v1, 32, v1
	v_lshlrev_b64 v[4:5], v1, v[4:5]
	v_min_u32_e32 v4, 1, v4
	v_or_b32_e32 v4, v5, v4
	v_cvt_f32_u32_e32 v4, v4
	v_sub_u32_e32 v1, 32, v1
	v_ldexp_f32 v1, v4, v1
	s_branch .LBB120_964
.LBB120_962:
	s_mov_b64 s[56:57], -1
                                        ; implicit-def: $vgpr1
.LBB120_963:
	s_mov_b64 s[58:59], 0
.LBB120_964:
	s_and_b64 vcc, exec, s[58:59]
	s_cbranch_vccz .LBB120_982
; %bb.965:
	v_mov_b32_e32 v1, 27
	v_cmp_lt_i16_sdwa s[0:1], v7, v1 src0_sel:BYTE_0 src1_sel:DWORD
	s_and_b64 vcc, exec, s[0:1]
	s_cbranch_vccnz .LBB120_968
; %bb.966:
	v_cmp_gt_i16_sdwa s[0:1], v7, v1 src0_sel:BYTE_0 src1_sel:DWORD
	s_and_b64 vcc, exec, s[0:1]
	s_cbranch_vccz .LBB120_969
; %bb.967:
	global_load_dword v1, v[2:3], off
	s_mov_b64 s[0:1], 0
	s_waitcnt vmcnt(0)
	v_cvt_f32_u32_e32 v1, v1
	s_branch .LBB120_970
.LBB120_968:
	s_mov_b64 s[0:1], -1
                                        ; implicit-def: $vgpr1
	s_branch .LBB120_973
.LBB120_969:
	s_mov_b64 s[0:1], -1
                                        ; implicit-def: $vgpr1
.LBB120_970:
	s_andn2_b64 vcc, exec, s[0:1]
	s_cbranch_vccnz .LBB120_972
; %bb.971:
	global_load_ushort v1, v[2:3], off
	s_waitcnt vmcnt(0)
	v_cvt_f32_u32_e32 v1, v1
.LBB120_972:
	s_mov_b64 s[0:1], 0
.LBB120_973:
	s_andn2_b64 vcc, exec, s[0:1]
	s_cbranch_vccnz .LBB120_981
; %bb.974:
	global_load_ubyte v4, v[2:3], off
	s_movk_i32 s0, 0x7f
                                        ; implicit-def: $sgpr62
	s_waitcnt vmcnt(0)
	v_cmp_lt_i16_e32 vcc, s0, v4
	s_mov_b64 s[0:1], 0
	s_and_saveexec_b64 s[58:59], vcc
	s_xor_b64 s[58:59], exec, s[58:59]
	s_cbranch_execz .LBB120_995
; %bb.975:
	s_movk_i32 s0, 0x80
	v_cmp_eq_u16_e32 vcc, s0, v4
	s_mov_b64 s[0:1], -1
                                        ; implicit-def: $sgpr62
	s_and_saveexec_b64 s[60:61], vcc
; %bb.976:
	s_mov_b32 s62, 0x7f800001
	s_xor_b64 s[0:1], exec, -1
; %bb.977:
	s_or_b64 exec, exec, s[60:61]
	s_and_b64 s[0:1], s[0:1], exec
	s_or_saveexec_b64 s[58:59], s[58:59]
	v_mov_b32_e32 v1, s62
	s_xor_b64 exec, exec, s[58:59]
	s_cbranch_execnz .LBB120_996
.LBB120_978:
	s_or_b64 exec, exec, s[58:59]
	s_and_saveexec_b64 s[58:59], s[0:1]
	s_cbranch_execz .LBB120_980
.LBB120_979:
	v_lshlrev_b32_e32 v1, 24, v4
	v_and_b32_e32 v4, 0xffff, v4
	v_and_b32_e32 v5, 7, v4
	v_ffbh_u32_e32 v12, v5
	v_min_u32_e32 v12, 32, v12
	v_subrev_u32_e32 v13, 28, v12
	v_bfe_u32 v11, v4, 3, 4
	v_lshlrev_b32_e32 v4, v13, v4
	v_sub_u32_e32 v12, 29, v12
	v_and_b32_e32 v4, 7, v4
	v_cmp_eq_u32_e32 vcc, 0, v11
	v_cndmask_b32_e32 v11, v11, v12, vcc
	v_cndmask_b32_e32 v4, v5, v4, vcc
	v_mov_b32_e32 v5, 0x3b800000
	v_lshlrev_b32_e32 v4, 20, v4
	v_and_b32_e32 v1, 0x80000000, v1
	v_lshl_add_u32 v5, v11, 23, v5
	v_or3_b32 v1, v1, v5, v4
.LBB120_980:
	s_or_b64 exec, exec, s[58:59]
.LBB120_981:
	s_mov_b64 s[0:1], -1
.LBB120_982:
	s_mov_b64 s[58:59], 0
.LBB120_983:
	s_and_b64 vcc, exec, s[58:59]
	s_cbranch_vccz .LBB120_1018
; %bb.984:
	v_mov_b32_e32 v1, 22
	v_cmp_gt_i16_sdwa s[58:59], v7, v1 src0_sel:BYTE_0 src1_sel:DWORD
	s_and_b64 vcc, exec, s[58:59]
	s_cbranch_vccz .LBB120_994
; %bb.985:
	v_mov_b32_e32 v1, 24
	v_cmp_lt_i16_sdwa s[0:1], v7, v1 src0_sel:BYTE_0 src1_sel:DWORD
	s_and_b64 vcc, exec, s[0:1]
	s_cbranch_vccnz .LBB120_997
; %bb.986:
	v_cmp_gt_i16_sdwa s[0:1], v7, v1 src0_sel:BYTE_0 src1_sel:DWORD
	s_and_b64 vcc, exec, s[0:1]
	s_cbranch_vccz .LBB120_998
; %bb.987:
	global_load_ubyte v4, v[2:3], off
	s_movk_i32 s0, 0x7f
                                        ; implicit-def: $sgpr62
	s_waitcnt vmcnt(0)
	v_cmp_lt_i16_e32 vcc, s0, v4
	s_mov_b64 s[0:1], 0
	s_and_saveexec_b64 s[58:59], vcc
	s_xor_b64 s[58:59], exec, s[58:59]
	s_cbranch_execz .LBB120_1010
; %bb.988:
	s_movk_i32 s0, 0x80
	v_cmp_eq_u16_e32 vcc, s0, v4
	s_mov_b64 s[0:1], -1
                                        ; implicit-def: $sgpr62
	s_and_saveexec_b64 s[60:61], vcc
; %bb.989:
	s_mov_b32 s62, 0x7f800001
	s_xor_b64 s[0:1], exec, -1
; %bb.990:
	s_or_b64 exec, exec, s[60:61]
	s_and_b64 s[0:1], s[0:1], exec
	s_or_saveexec_b64 s[58:59], s[58:59]
	v_mov_b32_e32 v1, s62
	s_xor_b64 exec, exec, s[58:59]
	s_cbranch_execnz .LBB120_1011
.LBB120_991:
	s_or_b64 exec, exec, s[58:59]
	s_and_saveexec_b64 s[58:59], s[0:1]
	s_cbranch_execz .LBB120_993
.LBB120_992:
	v_lshlrev_b32_e32 v1, 24, v4
	v_and_b32_e32 v4, 0xffff, v4
	v_and_b32_e32 v5, 3, v4
	v_ffbh_u32_e32 v12, v5
	v_min_u32_e32 v12, 32, v12
	v_subrev_u32_e32 v13, 29, v12
	v_bfe_u32 v11, v4, 2, 5
	v_lshlrev_b32_e32 v4, v13, v4
	v_sub_u32_e32 v12, 30, v12
	v_and_b32_e32 v4, 3, v4
	v_cmp_eq_u32_e32 vcc, 0, v11
	v_cndmask_b32_e32 v11, v11, v12, vcc
	v_cndmask_b32_e32 v4, v5, v4, vcc
	v_mov_b32_e32 v5, 0x37800000
	v_lshlrev_b32_e32 v4, 21, v4
	v_and_b32_e32 v1, 0x80000000, v1
	v_lshl_add_u32 v5, v11, 23, v5
	v_or3_b32 v1, v1, v5, v4
.LBB120_993:
	s_or_b64 exec, exec, s[58:59]
	s_mov_b64 s[0:1], 0
	s_branch .LBB120_999
.LBB120_994:
	s_mov_b64 s[58:59], -1
                                        ; implicit-def: $vgpr1
	s_branch .LBB120_1005
.LBB120_995:
	s_or_saveexec_b64 s[58:59], s[58:59]
	v_mov_b32_e32 v1, s62
	s_xor_b64 exec, exec, s[58:59]
	s_cbranch_execz .LBB120_978
.LBB120_996:
	v_cmp_ne_u16_e32 vcc, 0, v4
	s_andn2_b64 s[0:1], s[0:1], exec
	s_and_b64 s[60:61], vcc, exec
	v_mov_b32_e32 v1, 0
	s_or_b64 s[0:1], s[0:1], s[60:61]
	s_or_b64 exec, exec, s[58:59]
	s_and_saveexec_b64 s[58:59], s[0:1]
	s_cbranch_execnz .LBB120_979
	s_branch .LBB120_980
.LBB120_997:
	s_mov_b64 s[0:1], -1
                                        ; implicit-def: $vgpr1
	s_branch .LBB120_1002
.LBB120_998:
	s_mov_b64 s[0:1], -1
                                        ; implicit-def: $vgpr1
.LBB120_999:
	s_and_b64 vcc, exec, s[0:1]
	s_cbranch_vccz .LBB120_1001
; %bb.1000:
	global_load_ubyte v1, v[2:3], off
	s_mov_b32 s0, 0x7f800000
	s_waitcnt vmcnt(0)
	v_lshlrev_b32_e32 v1, 24, v1
	v_and_b32_e32 v4, 0x7f000000, v1
	v_ffbh_u32_e32 v5, v4
	v_min_u32_e32 v5, 32, v5
	v_sub_u32_e64 v5, v5, 4 clamp
	v_lshlrev_b32_e32 v12, v5, v4
	v_lshlrev_b32_e32 v5, 23, v5
	v_lshrrev_b32_e32 v12, 4, v12
	v_add_u32_e32 v11, 0x1000000, v4
	v_sub_u32_e32 v5, v12, v5
	v_ashrrev_i32_e32 v11, 8, v11
	v_add_u32_e32 v5, 0x3c000000, v5
	v_and_or_b32 v5, v11, s0, v5
	v_cmp_ne_u32_e32 vcc, 0, v4
	v_cndmask_b32_e32 v4, 0, v5, vcc
	s_brev_b32 s0, 1
	v_and_or_b32 v1, v1, s0, v4
.LBB120_1001:
	s_mov_b64 s[0:1], 0
.LBB120_1002:
	s_andn2_b64 vcc, exec, s[0:1]
	s_cbranch_vccnz .LBB120_1004
; %bb.1003:
	global_load_ubyte v1, v[2:3], off
	s_movk_i32 s0, 0x7f00
	s_brev_b32 s1, 16
	s_waitcnt vmcnt(0)
	v_lshlrev_b16_e32 v4, 8, v1
	v_lshlrev_b32_e32 v1, 25, v1
	v_lshrrev_b32_e32 v5, 4, v1
	v_and_or_b32 v11, v4, s0, 0.5
	v_or_b32_e32 v5, 0x70000000, v5
	v_add_f32_e32 v11, -0.5, v11
	v_mul_f32_e32 v5, 0x7800000, v5
	v_cmp_gt_u32_e32 vcc, s1, v1
	v_bfe_i32 v4, v4, 0, 16
	v_cndmask_b32_e32 v1, v5, v11, vcc
	s_brev_b32 s0, 1
	v_and_or_b32 v1, v4, s0, v1
.LBB120_1004:
	s_mov_b64 s[58:59], 0
	s_mov_b64 s[0:1], -1
.LBB120_1005:
	s_andn2_b64 vcc, exec, s[58:59]
	s_cbranch_vccnz .LBB120_1018
; %bb.1006:
	v_mov_b32_e32 v1, 14
	v_cmp_gt_i16_sdwa s[58:59], v7, v1 src0_sel:BYTE_0 src1_sel:DWORD
	s_and_b64 vcc, exec, s[58:59]
	s_cbranch_vccz .LBB120_1009
; %bb.1007:
	v_mov_b32_e32 v1, 15
	v_cmp_eq_u16_sdwa s[56:57], v7, v1 src0_sel:BYTE_0 src1_sel:DWORD
	s_and_b64 vcc, exec, s[56:57]
	s_cbranch_vccz .LBB120_1012
; %bb.1008:
	global_load_ushort v1, v[2:3], off
	s_mov_b64 s[0:1], -1
	s_mov_b64 s[56:57], 0
	s_waitcnt vmcnt(0)
	v_lshlrev_b32_e32 v1, 16, v1
	s_branch .LBB120_1013
.LBB120_1009:
	s_mov_b64 s[58:59], -1
                                        ; implicit-def: $vgpr1
	s_branch .LBB120_1014
.LBB120_1010:
	s_or_saveexec_b64 s[58:59], s[58:59]
	v_mov_b32_e32 v1, s62
	s_xor_b64 exec, exec, s[58:59]
	s_cbranch_execz .LBB120_991
.LBB120_1011:
	v_cmp_ne_u16_e32 vcc, 0, v4
	s_andn2_b64 s[0:1], s[0:1], exec
	s_and_b64 s[60:61], vcc, exec
	v_mov_b32_e32 v1, 0
	s_or_b64 s[0:1], s[0:1], s[60:61]
	s_or_b64 exec, exec, s[58:59]
	s_and_saveexec_b64 s[58:59], s[0:1]
	s_cbranch_execnz .LBB120_992
	s_branch .LBB120_993
.LBB120_1012:
	s_mov_b64 s[56:57], -1
                                        ; implicit-def: $vgpr1
.LBB120_1013:
	s_mov_b64 s[58:59], 0
.LBB120_1014:
	s_and_b64 vcc, exec, s[58:59]
	s_cbranch_vccz .LBB120_1018
; %bb.1015:
	v_mov_b32_e32 v1, 11
	v_cmp_eq_u16_sdwa s[56:57], v7, v1 src0_sel:BYTE_0 src1_sel:DWORD
	s_and_b64 vcc, exec, s[56:57]
	s_cbranch_vccz .LBB120_1017
; %bb.1016:
	global_load_ubyte v1, v[2:3], off
	s_mov_b64 s[0:1], -1
	s_mov_b64 s[56:57], 0
	s_waitcnt vmcnt(0)
	v_cmp_ne_u16_e32 vcc, 0, v1
	v_cndmask_b32_e64 v1, 0, 1.0, vcc
	s_branch .LBB120_1018
.LBB120_1017:
	s_mov_b64 s[56:57], -1
                                        ; implicit-def: $vgpr1
.LBB120_1018:
	s_mov_b64 s[58:59], 0
.LBB120_1019:
	s_and_b64 vcc, exec, s[58:59]
	s_cbranch_vccz .LBB120_1068
; %bb.1020:
	v_mov_b32_e32 v1, 5
	v_cmp_lt_i16_sdwa s[0:1], v7, v1 src0_sel:BYTE_0 src1_sel:DWORD
	s_and_b64 vcc, exec, s[0:1]
	s_cbranch_vccnz .LBB120_1025
; %bb.1021:
	v_mov_b32_e32 v1, 8
	v_cmp_lt_i16_sdwa s[0:1], v7, v1 src0_sel:BYTE_0 src1_sel:DWORD
	s_and_b64 vcc, exec, s[0:1]
	s_cbranch_vccnz .LBB120_1026
	;; [unrolled: 5-line block ×3, first 2 shown]
; %bb.1023:
	v_cmp_gt_i16_sdwa s[0:1], v7, v1 src0_sel:BYTE_0 src1_sel:DWORD
	s_and_b64 vcc, exec, s[0:1]
	s_cbranch_vccz .LBB120_1028
; %bb.1024:
	global_load_dwordx2 v[4:5], v[2:3], off
	s_mov_b64 s[0:1], 0
	s_waitcnt vmcnt(0)
	v_cvt_f32_f64_e32 v1, v[4:5]
	s_branch .LBB120_1029
.LBB120_1025:
	s_mov_b64 s[0:1], -1
                                        ; implicit-def: $vgpr1
	s_branch .LBB120_1047
.LBB120_1026:
	s_mov_b64 s[0:1], -1
                                        ; implicit-def: $vgpr1
	s_branch .LBB120_1035
.LBB120_1027:
	s_mov_b64 s[0:1], -1
                                        ; implicit-def: $vgpr1
	s_branch .LBB120_1032
.LBB120_1028:
	s_mov_b64 s[0:1], -1
                                        ; implicit-def: $vgpr1
.LBB120_1029:
	s_andn2_b64 vcc, exec, s[0:1]
	s_cbranch_vccnz .LBB120_1031
; %bb.1030:
	global_load_dword v1, v[2:3], off
.LBB120_1031:
	s_mov_b64 s[0:1], 0
.LBB120_1032:
	s_andn2_b64 vcc, exec, s[0:1]
	s_cbranch_vccnz .LBB120_1034
; %bb.1033:
	global_load_dword v1, v[2:3], off
	s_waitcnt vmcnt(0)
	v_cvt_f32_f16_e32 v1, v1
.LBB120_1034:
	s_mov_b64 s[0:1], 0
.LBB120_1035:
	s_andn2_b64 vcc, exec, s[0:1]
	s_cbranch_vccnz .LBB120_1046
; %bb.1036:
	s_waitcnt vmcnt(0)
	v_mov_b32_e32 v1, 6
	v_cmp_lt_i16_sdwa s[0:1], v7, v1 src0_sel:BYTE_0 src1_sel:DWORD
	s_and_b64 vcc, exec, s[0:1]
	s_cbranch_vccnz .LBB120_1039
; %bb.1037:
	v_cmp_gt_i16_sdwa s[0:1], v7, v1 src0_sel:BYTE_0 src1_sel:DWORD
	s_and_b64 vcc, exec, s[0:1]
	s_cbranch_vccz .LBB120_1040
; %bb.1038:
	global_load_dwordx2 v[4:5], v[2:3], off
	s_mov_b64 s[0:1], 0
	s_waitcnt vmcnt(0)
	v_cvt_f32_f64_e32 v1, v[4:5]
	s_branch .LBB120_1041
.LBB120_1039:
	s_mov_b64 s[0:1], -1
                                        ; implicit-def: $vgpr1
	s_branch .LBB120_1044
.LBB120_1040:
	s_mov_b64 s[0:1], -1
                                        ; implicit-def: $vgpr1
.LBB120_1041:
	s_andn2_b64 vcc, exec, s[0:1]
	s_cbranch_vccnz .LBB120_1043
; %bb.1042:
	global_load_dword v1, v[2:3], off
.LBB120_1043:
	s_mov_b64 s[0:1], 0
.LBB120_1044:
	s_andn2_b64 vcc, exec, s[0:1]
	s_cbranch_vccnz .LBB120_1046
; %bb.1045:
	global_load_ushort v1, v[2:3], off
	s_waitcnt vmcnt(0)
	v_cvt_f32_f16_e32 v1, v1
.LBB120_1046:
	s_mov_b64 s[0:1], 0
.LBB120_1047:
	s_andn2_b64 vcc, exec, s[0:1]
	s_cbranch_vccnz .LBB120_1067
; %bb.1048:
	s_waitcnt vmcnt(0)
	v_mov_b32_e32 v1, 2
	v_cmp_lt_i16_sdwa s[0:1], v7, v1 src0_sel:BYTE_0 src1_sel:DWORD
	s_and_b64 vcc, exec, s[0:1]
	s_cbranch_vccnz .LBB120_1052
; %bb.1049:
	v_mov_b32_e32 v1, 3
	v_cmp_lt_i16_sdwa s[0:1], v7, v1 src0_sel:BYTE_0 src1_sel:DWORD
	s_and_b64 vcc, exec, s[0:1]
	s_cbranch_vccnz .LBB120_1053
; %bb.1050:
	v_cmp_gt_i16_sdwa s[0:1], v7, v1 src0_sel:BYTE_0 src1_sel:DWORD
	s_and_b64 vcc, exec, s[0:1]
	s_cbranch_vccz .LBB120_1054
; %bb.1051:
	global_load_dwordx2 v[4:5], v[2:3], off
	s_mov_b64 s[0:1], 0
	s_waitcnt vmcnt(0)
	v_xor_b32_e32 v11, v4, v5
	v_ffbh_i32_e32 v1, v5
	v_ashrrev_i32_e32 v11, 31, v11
	v_add_u32_e32 v1, -1, v1
	v_add_u32_e32 v11, 32, v11
	v_min_u32_e32 v1, v1, v11
	v_lshlrev_b64 v[4:5], v1, v[4:5]
	v_min_u32_e32 v4, 1, v4
	v_or_b32_e32 v4, v5, v4
	v_cvt_f32_i32_e32 v4, v4
	v_sub_u32_e32 v1, 32, v1
	v_ldexp_f32 v1, v4, v1
	s_branch .LBB120_1055
.LBB120_1052:
	s_mov_b64 s[0:1], -1
                                        ; implicit-def: $vgpr1
	s_branch .LBB120_1061
.LBB120_1053:
	s_mov_b64 s[0:1], -1
                                        ; implicit-def: $vgpr1
	s_branch .LBB120_1058
.LBB120_1054:
	s_mov_b64 s[0:1], -1
                                        ; implicit-def: $vgpr1
.LBB120_1055:
	s_andn2_b64 vcc, exec, s[0:1]
	s_cbranch_vccnz .LBB120_1057
; %bb.1056:
	global_load_dword v1, v[2:3], off
	s_waitcnt vmcnt(0)
	v_cvt_f32_i32_e32 v1, v1
.LBB120_1057:
	s_mov_b64 s[0:1], 0
.LBB120_1058:
	s_andn2_b64 vcc, exec, s[0:1]
	s_cbranch_vccnz .LBB120_1060
; %bb.1059:
	global_load_sshort v1, v[2:3], off
	s_waitcnt vmcnt(0)
	v_cvt_f32_i32_e32 v1, v1
.LBB120_1060:
	s_mov_b64 s[0:1], 0
.LBB120_1061:
	s_andn2_b64 vcc, exec, s[0:1]
	s_cbranch_vccnz .LBB120_1067
; %bb.1062:
	v_mov_b32_e32 v1, 0
	v_cmp_gt_i16_sdwa s[0:1], v7, v1 src0_sel:BYTE_0 src1_sel:DWORD
	s_and_b64 vcc, exec, s[0:1]
	s_cbranch_vccz .LBB120_1064
; %bb.1063:
	global_load_sbyte v1, v[2:3], off
	s_mov_b64 s[0:1], 0
	s_waitcnt vmcnt(0)
	v_cvt_f32_i32_e32 v1, v1
	s_branch .LBB120_1065
.LBB120_1064:
	s_mov_b64 s[0:1], -1
                                        ; implicit-def: $vgpr1
.LBB120_1065:
	s_andn2_b64 vcc, exec, s[0:1]
	s_cbranch_vccnz .LBB120_1067
; %bb.1066:
	global_load_ubyte v1, v[2:3], off
	s_waitcnt vmcnt(0)
	v_cvt_f32_ubyte0_e32 v1, v1
.LBB120_1067:
	s_mov_b64 s[0:1], -1
.LBB120_1068:
	s_andn2_b64 vcc, exec, s[0:1]
	s_cbranch_vccnz .LBB120_1076
; %bb.1069:
	s_brev_b32 s0, -2
	s_waitcnt vmcnt(0)
	v_bfi_b32 v2, s0, v10, v1
	v_mov_b32_e32 v1, s9
	v_add_co_u32_e32 v0, vcc, s8, v0
	v_mov_b32_e32 v3, 11
	v_addc_co_u32_e32 v1, vcc, 0, v1, vcc
	v_cmp_lt_i16_sdwa s[0:1], v6, v3 src0_sel:BYTE_0 src1_sel:DWORD
	s_and_b64 vcc, exec, s[0:1]
	s_cbranch_vccnz .LBB120_1077
; %bb.1070:
	v_mov_b32_e32 v3, 25
	v_cmp_gt_i16_sdwa s[0:1], v6, v3 src0_sel:BYTE_0 src1_sel:DWORD
	s_and_b64 vcc, exec, s[0:1]
	s_cbranch_vccz .LBB120_1078
; %bb.1071:
	v_mov_b32_e32 v3, 28
	v_cmp_gt_i16_sdwa s[0:1], v6, v3 src0_sel:BYTE_0 src1_sel:DWORD
	s_and_b64 vcc, exec, s[0:1]
	s_cbranch_vccz .LBB120_1079
	;; [unrolled: 5-line block ×4, first 2 shown]
; %bb.1074:
	v_mov_b32_e32 v3, 46
	v_cmp_eq_u16_sdwa s[58:59], v6, v3 src0_sel:BYTE_0 src1_sel:DWORD
	s_mov_b64 s[60:61], 0
	s_mov_b64 s[0:1], -1
	s_and_b64 vcc, exec, s[58:59]
	s_mov_b64 s[58:59], 0
	s_cbranch_vccz .LBB120_1082
; %bb.1075:
	v_bfe_u32 v3, v2, 16, 1
	s_movk_i32 s0, 0x7fff
	v_add3_u32 v3, v2, v3, s0
	v_lshrrev_b32_e32 v3, 16, v3
	v_mov_b32_e32 v4, 0x7fc0
	v_cmp_o_f32_e32 vcc, v2, v2
	v_cndmask_b32_e32 v3, v4, v3, vcc
	global_store_dword v[0:1], v3, off
	s_mov_b64 s[58:59], -1
	s_mov_b64 s[0:1], 0
	s_branch .LBB120_1082
.LBB120_1076:
	s_mov_b64 s[60:61], 0
                                        ; implicit-def: $vgpr8
	s_mov_b64 s[0:1], s[48:49]
	s_branch .LBB120_1192
.LBB120_1077:
	s_mov_b64 s[60:61], -1
	s_mov_b64 s[58:59], 0
	s_mov_b64 s[0:1], s[48:49]
	s_branch .LBB120_1151
.LBB120_1078:
	s_mov_b64 s[60:61], -1
	s_mov_b64 s[58:59], 0
	s_mov_b64 s[0:1], s[48:49]
	s_branch .LBB120_1109
.LBB120_1079:
	s_mov_b64 s[60:61], -1
	s_mov_b64 s[58:59], 0
	s_mov_b64 s[0:1], s[48:49]
	s_branch .LBB120_1092
.LBB120_1080:
	s_mov_b64 s[60:61], -1
	s_mov_b64 s[58:59], 0
	s_mov_b64 s[0:1], s[48:49]
	s_branch .LBB120_1088
.LBB120_1081:
	s_mov_b64 s[60:61], -1
	s_mov_b64 s[58:59], 0
	s_mov_b64 s[0:1], s[48:49]
.LBB120_1082:
	s_and_b64 vcc, exec, s[60:61]
	s_cbranch_vccz .LBB120_1087
; %bb.1083:
	v_mov_b32_e32 v3, 44
	v_cmp_eq_u16_sdwa s[60:61], v6, v3 src0_sel:BYTE_0 src1_sel:DWORD
	s_mov_b64 s[0:1], -1
	s_and_b64 vcc, exec, s[60:61]
	s_cbranch_vccz .LBB120_1087
; %bb.1084:
	v_bfe_u32 v3, v2, 23, 8
	s_movk_i32 s0, 0xff
	v_cmp_ne_u32_e32 vcc, s0, v3
	v_mov_b32_e32 v4, 0xff
	s_and_saveexec_b64 s[58:59], vcc
; %bb.1085:
	s_mov_b32 s0, 0x3fffff
	v_and_b32_e32 v5, 0x400000, v2
	v_and_or_b32 v3, v2, s0, v3
	v_cmp_ne_u32_e32 vcc, 0, v5
	v_cmp_ne_u32_e64 s[0:1], 0, v3
	s_and_b64 s[0:1], vcc, s[0:1]
	v_lshrrev_b32_e32 v4, 23, v2
	v_cndmask_b32_e64 v3, 0, 1, s[0:1]
	v_add_u32_e32 v4, v4, v3
; %bb.1086:
	s_or_b64 exec, exec, s[58:59]
	s_mov_b64 s[58:59], -1
	s_mov_b64 s[0:1], 0
	global_store_byte v[0:1], v4, off
.LBB120_1087:
	s_mov_b64 s[60:61], 0
.LBB120_1088:
	s_and_b64 vcc, exec, s[60:61]
	s_cbranch_vccz .LBB120_1091
; %bb.1089:
	v_mov_b32_e32 v3, 29
	v_cmp_eq_u16_sdwa s[60:61], v6, v3 src0_sel:BYTE_0 src1_sel:DWORD
	s_mov_b64 s[0:1], -1
	s_and_b64 vcc, exec, s[60:61]
	s_cbranch_vccz .LBB120_1091
; %bb.1090:
	v_trunc_f32_e32 v3, v2
	v_mul_f32_e32 v4, 0x2f800000, v3
	v_floor_f32_e32 v4, v4
	v_fmac_f32_e32 v3, 0xcf800000, v4
	v_cvt_u32_f32_e32 v5, v4
	v_cvt_u32_f32_e32 v4, v3
	s_mov_b64 s[58:59], -1
	s_mov_b64 s[0:1], 0
	s_mov_b64 s[60:61], 0
	global_store_dwordx2 v[0:1], v[4:5], off
	s_branch .LBB120_1092
.LBB120_1091:
	s_mov_b64 s[60:61], 0
.LBB120_1092:
	s_and_b64 vcc, exec, s[60:61]
	s_cbranch_vccz .LBB120_1108
; %bb.1093:
	v_mov_b32_e32 v3, 27
	v_cmp_lt_i16_sdwa s[60:61], v6, v3 src0_sel:BYTE_0 src1_sel:DWORD
	s_mov_b64 s[58:59], -1
	s_and_b64 vcc, exec, s[60:61]
	s_cbranch_vccnz .LBB120_1099
; %bb.1094:
	v_cmp_gt_i16_sdwa s[60:61], v6, v3 src0_sel:BYTE_0 src1_sel:DWORD
	s_and_b64 vcc, exec, s[60:61]
	s_cbranch_vccz .LBB120_1096
; %bb.1095:
	v_cvt_u32_f32_e32 v3, v2
	s_mov_b64 s[58:59], 0
	global_store_dword v[0:1], v3, off
.LBB120_1096:
	s_andn2_b64 vcc, exec, s[58:59]
	s_cbranch_vccnz .LBB120_1098
; %bb.1097:
	v_cvt_u32_f32_e32 v3, v2
	global_store_short v[0:1], v3, off
.LBB120_1098:
	s_mov_b64 s[58:59], 0
.LBB120_1099:
	s_andn2_b64 vcc, exec, s[58:59]
	s_cbranch_vccnz .LBB120_1107
; %bb.1100:
	v_and_b32_e32 v3, 0x7fffffff, v10
	s_mov_b32 s58, 0x43800000
	v_cmp_gt_u32_e32 vcc, s58, v3
	v_mov_b32_e32 v4, 0x80
	s_and_saveexec_b64 s[58:59], vcc
	s_cbranch_execz .LBB120_1106
; %bb.1101:
	s_mov_b32 s60, 0x3bffffff
	v_cmp_lt_u32_e32 vcc, s60, v3
	s_mov_b64 s[60:61], 0
                                        ; implicit-def: $vgpr3
	s_and_saveexec_b64 s[62:63], vcc
	s_xor_b64 s[62:63], exec, s[62:63]
	s_cbranch_execz .LBB120_1219
; %bb.1102:
	v_bfe_u32 v3, v2, 20, 1
	s_mov_b32 s64, 0x487ffff
	v_add3_u32 v3, v2, v3, s64
	s_mov_b64 s[60:61], exec
	v_lshrrev_b32_e32 v3, 20, v3
	s_or_saveexec_b64 s[62:63], s[62:63]
                                        ; implicit-def: $sgpr64
	s_xor_b64 exec, exec, s[62:63]
	s_cbranch_execnz .LBB120_1220
.LBB120_1103:
	s_or_b64 exec, exec, s[62:63]
	v_mov_b32_e32 v4, s64
	s_and_saveexec_b64 s[62:63], s[60:61]
.LBB120_1104:
	v_lshrrev_b32_e32 v4, 24, v2
	s_movk_i32 s60, 0x80
	v_and_or_b32 v4, v4, s60, v3
.LBB120_1105:
	s_or_b64 exec, exec, s[62:63]
.LBB120_1106:
	s_or_b64 exec, exec, s[58:59]
	global_store_byte v[0:1], v4, off
.LBB120_1107:
	s_mov_b64 s[58:59], -1
.LBB120_1108:
	s_mov_b64 s[60:61], 0
.LBB120_1109:
	s_and_b64 vcc, exec, s[60:61]
	s_cbranch_vccz .LBB120_1150
; %bb.1110:
	v_mov_b32_e32 v3, 22
	v_cmp_gt_i16_sdwa s[62:63], v6, v3 src0_sel:BYTE_0 src1_sel:DWORD
	s_mov_b64 s[60:61], -1
	s_and_b64 vcc, exec, s[62:63]
	s_cbranch_vccz .LBB120_1142
; %bb.1111:
	v_mov_b32_e32 v3, 24
	v_cmp_lt_i16_sdwa s[60:61], v6, v3 src0_sel:BYTE_0 src1_sel:DWORD
	s_mov_b64 s[58:59], -1
	s_and_b64 vcc, exec, s[60:61]
	s_cbranch_vccnz .LBB120_1131
; %bb.1112:
	v_cmp_gt_i16_sdwa s[60:61], v6, v3 src0_sel:BYTE_0 src1_sel:DWORD
	s_and_b64 vcc, exec, s[60:61]
	s_cbranch_vccz .LBB120_1120
; %bb.1113:
	v_and_b32_e32 v3, 0x7fffffff, v10
	s_mov_b32 s58, 0x47800000
	v_cmp_gt_u32_e32 vcc, s58, v3
	v_mov_b32_e32 v4, 0x80
	s_and_saveexec_b64 s[58:59], vcc
	s_cbranch_execz .LBB120_1119
; %bb.1114:
	s_mov_b32 s60, 0x37ffffff
	v_cmp_lt_u32_e32 vcc, s60, v3
	s_mov_b64 s[60:61], 0
                                        ; implicit-def: $vgpr3
	s_and_saveexec_b64 s[62:63], vcc
	s_xor_b64 s[62:63], exec, s[62:63]
	s_cbranch_execz .LBB120_2281
; %bb.1115:
	v_bfe_u32 v3, v2, 21, 1
	s_mov_b32 s64, 0x88fffff
	v_add3_u32 v3, v2, v3, s64
	s_mov_b64 s[60:61], exec
	v_lshrrev_b32_e32 v3, 21, v3
	s_or_saveexec_b64 s[62:63], s[62:63]
                                        ; implicit-def: $sgpr64
	s_xor_b64 exec, exec, s[62:63]
	s_cbranch_execnz .LBB120_2282
.LBB120_1116:
	s_or_b64 exec, exec, s[62:63]
	v_mov_b32_e32 v4, s64
	s_and_saveexec_b64 s[62:63], s[60:61]
.LBB120_1117:
	v_lshrrev_b32_e32 v4, 24, v2
	s_movk_i32 s60, 0x80
	v_and_or_b32 v4, v4, s60, v3
.LBB120_1118:
	s_or_b64 exec, exec, s[62:63]
.LBB120_1119:
	s_or_b64 exec, exec, s[58:59]
	s_mov_b64 s[58:59], 0
	global_store_byte v[0:1], v4, off
.LBB120_1120:
	s_and_b64 vcc, exec, s[58:59]
	s_cbranch_vccz .LBB120_1130
; %bb.1121:
	v_and_b32_e32 v4, 0x7fffffff, v10
	s_mov_b32 s58, 0x43f00000
	v_cmp_gt_u32_e32 vcc, s58, v4
                                        ; implicit-def: $vgpr3
	s_and_saveexec_b64 s[58:59], vcc
	s_xor_b64 s[58:59], exec, s[58:59]
	s_cbranch_execz .LBB120_1127
; %bb.1122:
	s_mov_b32 s60, 0x3c7fffff
	v_cmp_lt_u32_e32 vcc, s60, v4
                                        ; implicit-def: $vgpr3
	s_and_saveexec_b64 s[60:61], vcc
	s_xor_b64 s[60:61], exec, s[60:61]
; %bb.1123:
	v_bfe_u32 v3, v2, 20, 1
	s_mov_b32 s62, 0x407ffff
	v_add3_u32 v3, v2, v3, s62
	v_lshrrev_b32_e32 v4, 20, v3
	v_and_b32_e32 v3, 0xff00000, v3
	s_mov_b32 s62, 0x7f00000
	v_mov_b32_e32 v5, 0x7e
	v_cmp_ne_u32_e32 vcc, s62, v3
	v_cndmask_b32_e32 v3, v5, v4, vcc
; %bb.1124:
	s_andn2_saveexec_b64 s[60:61], s[60:61]
; %bb.1125:
	s_mov_b32 s62, 0x46800000
	v_add_f32_e64 v3, |v10|, s62
; %bb.1126:
	s_or_b64 exec, exec, s[60:61]
                                        ; implicit-def: $vgpr4
.LBB120_1127:
	s_andn2_saveexec_b64 s[58:59], s[58:59]
; %bb.1128:
	s_mov_b32 s60, 0x7f800000
	v_mov_b32_e32 v3, 0x7e
	v_mov_b32_e32 v5, 0x7f
	v_cmp_lt_u32_e32 vcc, s60, v4
	v_cndmask_b32_e32 v3, v3, v5, vcc
; %bb.1129:
	s_or_b64 exec, exec, s[58:59]
	v_lshrrev_b32_e32 v4, 24, v2
	s_movk_i32 s58, 0x80
	v_and_or_b32 v3, v4, s58, v3
	global_store_byte v[0:1], v3, off
.LBB120_1130:
	s_mov_b64 s[58:59], 0
.LBB120_1131:
	s_andn2_b64 vcc, exec, s[58:59]
	s_cbranch_vccnz .LBB120_1141
; %bb.1132:
	v_and_b32_e32 v4, 0x7fffffff, v10
	s_mov_b32 s58, 0x47800000
	v_cmp_gt_u32_e32 vcc, s58, v4
                                        ; implicit-def: $vgpr3
	s_and_saveexec_b64 s[58:59], vcc
	s_xor_b64 s[58:59], exec, s[58:59]
	s_cbranch_execz .LBB120_1138
; %bb.1133:
	s_mov_b32 s60, 0x387fffff
	v_cmp_lt_u32_e32 vcc, s60, v4
                                        ; implicit-def: $vgpr3
	s_and_saveexec_b64 s[60:61], vcc
	s_xor_b64 s[60:61], exec, s[60:61]
; %bb.1134:
	v_bfe_u32 v3, v2, 21, 1
	s_mov_b32 s62, 0x80fffff
	v_add3_u32 v3, v2, v3, s62
	v_lshrrev_b32_e32 v3, 21, v3
                                        ; implicit-def: $vgpr10
; %bb.1135:
	s_andn2_saveexec_b64 s[60:61], s[60:61]
; %bb.1136:
	s_mov_b32 s62, 0x43000000
	v_add_f32_e64 v3, |v10|, s62
; %bb.1137:
	s_or_b64 exec, exec, s[60:61]
                                        ; implicit-def: $vgpr4
.LBB120_1138:
	s_andn2_saveexec_b64 s[58:59], s[58:59]
; %bb.1139:
	s_mov_b32 s60, 0x7f800000
	v_mov_b32_e32 v3, 0x7c
	v_mov_b32_e32 v5, 0x7f
	v_cmp_lt_u32_e32 vcc, s60, v4
	v_cndmask_b32_e32 v3, v3, v5, vcc
; %bb.1140:
	s_or_b64 exec, exec, s[58:59]
	v_lshrrev_b32_e32 v4, 24, v2
	s_movk_i32 s58, 0x80
	v_and_or_b32 v3, v4, s58, v3
	global_store_byte v[0:1], v3, off
.LBB120_1141:
	s_mov_b64 s[60:61], 0
	s_mov_b64 s[58:59], -1
.LBB120_1142:
	s_andn2_b64 vcc, exec, s[60:61]
	s_cbranch_vccnz .LBB120_1150
; %bb.1143:
	v_mov_b32_e32 v3, 14
	v_cmp_gt_i16_sdwa s[62:63], v6, v3 src0_sel:BYTE_0 src1_sel:DWORD
	s_mov_b64 s[60:61], -1
	s_and_b64 vcc, exec, s[62:63]
	s_cbranch_vccz .LBB120_1147
; %bb.1144:
	v_mov_b32_e32 v3, 15
	v_cmp_eq_u16_sdwa s[60:61], v6, v3 src0_sel:BYTE_0 src1_sel:DWORD
	s_mov_b64 s[0:1], -1
	s_and_b64 vcc, exec, s[60:61]
	s_cbranch_vccz .LBB120_1146
; %bb.1145:
	v_bfe_u32 v3, v2, 16, 1
	s_movk_i32 s0, 0x7fff
	v_add3_u32 v3, v2, v3, s0
	v_lshrrev_b32_e32 v3, 16, v3
	v_mov_b32_e32 v4, 0x7fc0
	v_cmp_o_f32_e32 vcc, v2, v2
	v_cndmask_b32_e32 v3, v4, v3, vcc
	global_store_short v[0:1], v3, off
	s_mov_b64 s[58:59], -1
	s_mov_b64 s[0:1], 0
.LBB120_1146:
	s_mov_b64 s[60:61], 0
.LBB120_1147:
	s_and_b64 vcc, exec, s[60:61]
	s_cbranch_vccz .LBB120_1150
; %bb.1148:
	v_mov_b32_e32 v3, 11
	v_cmp_eq_u16_sdwa s[60:61], v6, v3 src0_sel:BYTE_0 src1_sel:DWORD
	s_mov_b64 s[0:1], -1
	s_and_b64 vcc, exec, s[60:61]
	s_cbranch_vccz .LBB120_1150
; %bb.1149:
	v_cmp_neq_f32_e32 vcc, 0, v2
	v_cndmask_b32_e64 v3, 0, 1, vcc
	s_mov_b64 s[58:59], -1
	s_mov_b64 s[0:1], 0
	global_store_byte v[0:1], v3, off
.LBB120_1150:
	s_mov_b64 s[60:61], 0
.LBB120_1151:
	s_and_b64 vcc, exec, s[60:61]
	s_cbranch_vccz .LBB120_1190
; %bb.1152:
	v_mov_b32_e32 v3, 5
	v_cmp_lt_i16_sdwa s[60:61], v6, v3 src0_sel:BYTE_0 src1_sel:DWORD
	s_mov_b64 s[58:59], -1
	s_and_b64 vcc, exec, s[60:61]
	s_cbranch_vccnz .LBB120_1173
; %bb.1153:
	v_mov_b32_e32 v3, 8
	v_cmp_lt_i16_sdwa s[60:61], v6, v3 src0_sel:BYTE_0 src1_sel:DWORD
	s_and_b64 vcc, exec, s[60:61]
	s_cbranch_vccnz .LBB120_1163
; %bb.1154:
	v_mov_b32_e32 v3, 9
	v_cmp_lt_i16_sdwa s[60:61], v6, v3 src0_sel:BYTE_0 src1_sel:DWORD
	s_and_b64 vcc, exec, s[60:61]
	s_cbranch_vccnz .LBB120_1160
; %bb.1155:
	v_cmp_gt_i16_sdwa s[60:61], v6, v3 src0_sel:BYTE_0 src1_sel:DWORD
	s_and_b64 vcc, exec, s[60:61]
	s_cbranch_vccz .LBB120_1157
; %bb.1156:
	v_mov_b32_e32 v12, 0
	v_cvt_f64_f32_e32 v[10:11], v2
	v_mov_b32_e32 v13, v12
	s_mov_b64 s[58:59], 0
	global_store_dwordx4 v[0:1], v[10:13], off
.LBB120_1157:
	s_andn2_b64 vcc, exec, s[58:59]
	s_cbranch_vccnz .LBB120_1159
; %bb.1158:
	v_mov_b32_e32 v3, 0
	global_store_dwordx2 v[0:1], v[2:3], off
.LBB120_1159:
	s_mov_b64 s[58:59], 0
.LBB120_1160:
	s_andn2_b64 vcc, exec, s[58:59]
	s_cbranch_vccnz .LBB120_1162
; %bb.1161:
	v_cvt_f16_f32_e32 v3, v2
	global_store_dword v[0:1], v3, off
.LBB120_1162:
	s_mov_b64 s[58:59], 0
.LBB120_1163:
	s_andn2_b64 vcc, exec, s[58:59]
	s_cbranch_vccnz .LBB120_1172
; %bb.1164:
	v_mov_b32_e32 v3, 6
	v_cmp_lt_i16_sdwa s[60:61], v6, v3 src0_sel:BYTE_0 src1_sel:DWORD
	s_mov_b64 s[58:59], -1
	s_and_b64 vcc, exec, s[60:61]
	s_cbranch_vccnz .LBB120_1170
; %bb.1165:
	v_cmp_gt_i16_sdwa s[60:61], v6, v3 src0_sel:BYTE_0 src1_sel:DWORD
	s_and_b64 vcc, exec, s[60:61]
	s_cbranch_vccz .LBB120_1167
; %bb.1166:
	v_cvt_f64_f32_e32 v[4:5], v2
	s_mov_b64 s[58:59], 0
	global_store_dwordx2 v[0:1], v[4:5], off
.LBB120_1167:
	s_andn2_b64 vcc, exec, s[58:59]
	s_cbranch_vccnz .LBB120_1169
; %bb.1168:
	global_store_dword v[0:1], v2, off
.LBB120_1169:
	s_mov_b64 s[58:59], 0
.LBB120_1170:
	s_andn2_b64 vcc, exec, s[58:59]
	s_cbranch_vccnz .LBB120_1172
; %bb.1171:
	v_cvt_f16_f32_e32 v3, v2
	global_store_short v[0:1], v3, off
.LBB120_1172:
	s_mov_b64 s[58:59], 0
.LBB120_1173:
	s_andn2_b64 vcc, exec, s[58:59]
	s_cbranch_vccnz .LBB120_1189
; %bb.1174:
	v_mov_b32_e32 v3, 2
	v_cmp_lt_i16_sdwa s[60:61], v6, v3 src0_sel:BYTE_0 src1_sel:DWORD
	s_mov_b64 s[58:59], -1
	s_and_b64 vcc, exec, s[60:61]
	s_cbranch_vccnz .LBB120_1184
; %bb.1175:
	v_mov_b32_e32 v3, 3
	v_cmp_lt_i16_sdwa s[60:61], v6, v3 src0_sel:BYTE_0 src1_sel:DWORD
	s_and_b64 vcc, exec, s[60:61]
	s_cbranch_vccnz .LBB120_1181
; %bb.1176:
	v_cmp_gt_i16_sdwa s[60:61], v6, v3 src0_sel:BYTE_0 src1_sel:DWORD
	s_and_b64 vcc, exec, s[60:61]
	s_cbranch_vccz .LBB120_1178
; %bb.1177:
	v_trunc_f32_e32 v3, v2
	s_mov_b32 s58, 0x2f800000
	v_mul_f32_e64 v4, |v3|, s58
	v_floor_f32_e32 v4, v4
	s_mov_b32 s58, 0xcf800000
	v_cvt_u32_f32_e32 v5, v4
	v_fma_f32 v4, v4, s58, |v3|
	v_cvt_u32_f32_e32 v4, v4
	v_ashrrev_i32_e32 v3, 31, v3
	v_xor_b32_e32 v5, v5, v3
	s_mov_b64 s[58:59], 0
	v_xor_b32_e32 v4, v4, v3
	v_sub_co_u32_e32 v4, vcc, v4, v3
	v_subb_co_u32_e32 v5, vcc, v5, v3, vcc
	global_store_dwordx2 v[0:1], v[4:5], off
.LBB120_1178:
	s_andn2_b64 vcc, exec, s[58:59]
	s_cbranch_vccnz .LBB120_1180
; %bb.1179:
	v_cvt_i32_f32_e32 v3, v2
	global_store_dword v[0:1], v3, off
.LBB120_1180:
	s_mov_b64 s[58:59], 0
.LBB120_1181:
	s_andn2_b64 vcc, exec, s[58:59]
	s_cbranch_vccnz .LBB120_1183
; %bb.1182:
	v_cvt_i32_f32_e32 v3, v2
	global_store_short v[0:1], v3, off
.LBB120_1183:
	s_mov_b64 s[58:59], 0
.LBB120_1184:
	s_andn2_b64 vcc, exec, s[58:59]
	s_cbranch_vccnz .LBB120_1189
; %bb.1185:
	v_mov_b32_e32 v3, 0
	v_cmp_gt_i16_sdwa s[60:61], v6, v3 src0_sel:BYTE_0 src1_sel:DWORD
	s_mov_b64 s[58:59], -1
	s_and_b64 vcc, exec, s[60:61]
	s_cbranch_vccz .LBB120_1187
; %bb.1186:
	v_cvt_i32_f32_e32 v3, v2
	s_mov_b64 s[58:59], 0
	global_store_byte v[0:1], v3, off
.LBB120_1187:
	s_andn2_b64 vcc, exec, s[58:59]
	s_cbranch_vccnz .LBB120_1189
; %bb.1188:
	v_trunc_f32_e32 v2, v2
	s_mov_b32 s58, 0x2f800000
	v_mul_f32_e64 v3, |v2|, s58
	v_floor_f32_e32 v3, v3
	s_mov_b32 s58, 0xcf800000
	v_fma_f32 v3, v3, s58, |v2|
	v_cvt_u32_f32_e32 v3, v3
	v_ashrrev_i32_e32 v2, 31, v2
	v_xor_b32_e32 v3, v3, v2
	v_sub_u32_e32 v2, v3, v2
	global_store_byte v[0:1], v2, off
.LBB120_1189:
	s_mov_b64 s[58:59], -1
.LBB120_1190:
	s_andn2_b64 vcc, exec, s[58:59]
	s_cbranch_vccnz .LBB120_1214
; %bb.1191:
	v_add_u32_e32 v8, 0x80, v8
	s_mov_b64 s[60:61], -1
.LBB120_1192:
	s_andn2_b64 s[58:59], s[48:49], exec
	s_and_b64 s[0:1], s[0:1], exec
	s_or_b64 s[58:59], s[58:59], s[0:1]
	s_andn2_b64 s[0:1], s[46:47], exec
	s_and_b64 s[56:57], s[56:57], exec
	s_or_b64 s[56:57], s[0:1], s[56:57]
	;; [unrolled: 3-line block ×3, first 2 shown]
	s_orn2_b64 s[64:65], s[60:61], exec
.LBB120_1193:
	s_or_b64 exec, exec, s[52:53]
	s_mov_b64 s[60:61], 0
	s_mov_b64 s[54:55], 0
	;; [unrolled: 1-line block ×3, first 2 shown]
                                        ; implicit-def: $vgpr3
                                        ; implicit-def: $vgpr4_vgpr5
                                        ; implicit-def: $vgpr2
                                        ; implicit-def: $vgpr0
                                        ; implicit-def: $vgpr1
	s_and_saveexec_b64 s[52:53], s[64:65]
	s_cbranch_execz .LBB120_1287
; %bb.1194:
	v_cmp_gt_i32_e32 vcc, s66, v8
	s_mov_b64 s[64:65], s[0:1]
	s_mov_b64 s[66:67], 0
                                        ; implicit-def: $vgpr3
                                        ; implicit-def: $vgpr4_vgpr5
                                        ; implicit-def: $vgpr2
                                        ; implicit-def: $vgpr0
                                        ; implicit-def: $vgpr1
	s_and_saveexec_b64 s[54:55], vcc
	s_cbranch_execz .LBB120_1286
; %bb.1195:
	s_andn2_b64 vcc, exec, s[20:21]
	s_cbranch_vccnz .LBB120_1202
; %bb.1196:
	s_andn2_b64 vcc, exec, s[34:35]
	v_mov_b32_e32 v2, 0
	v_mov_b32_e32 v4, 0
	;; [unrolled: 1-line block ×3, first 2 shown]
	s_cbranch_vccnz .LBB120_1201
; %bb.1197:
	s_add_i32 s34, s69, 1
	s_and_b32 s60, s34, 30
	s_add_u32 s34, s2, 0xffffffec
	s_addc_u32 s35, s3, -1
	v_mov_b32_e32 v0, 0
	s_waitcnt vmcnt(0)
	v_mov_b32_e32 v1, v8
	v_mov_b32_e32 v4, 0
	;; [unrolled: 1-line block ×3, first 2 shown]
.LBB120_1198:                           ; =>This Inner Loop Header: Depth=1
	s_mov_b64 s[62:63], s[34:35]
	s_load_dwordx4 s[64:67], s[62:63], 0x18
	s_load_dwordx2 s[70:71], s[62:63], 0x28
	s_load_dwordx2 s[76:77], s[62:63], 0xe8
	s_load_dwordx4 s[72:75], s[62:63], 0xd8
	s_add_u32 s34, s62, 24
	s_waitcnt lgkmcnt(0)
	v_mul_hi_u32 v3, s65, v1
	v_add_u32_e32 v3, v1, v3
	v_lshrrev_b32_e32 v3, s66, v3
	v_mul_lo_u32 v5, v3, s64
	v_mul_hi_u32 v10, s70, v3
	v_sub_u32_e32 v1, v1, v5
	v_add_u32_e32 v5, v3, v10
	v_mul_lo_u32 v10, v1, s72
	v_mul_lo_u32 v11, v1, s73
	;; [unrolled: 1-line block ×3, first 2 shown]
	v_lshrrev_b32_e32 v1, s71, v5
	v_mul_lo_u32 v5, v1, s67
	v_sub_u32_e32 v3, v3, v5
	s_addc_u32 s35, s63, 0
	s_add_i32 s60, s60, -2
	v_mul_lo_u32 v5, v3, s75
	v_mul_lo_u32 v13, v3, s76
	;; [unrolled: 1-line block ×3, first 2 shown]
	s_cmp_eq_u32 s60, 0
	v_add3_u32 v0, v10, v0, v5
	v_add3_u32 v2, v12, v2, v3
	;; [unrolled: 1-line block ×3, first 2 shown]
	s_cbranch_scc0 .LBB120_1198
; %bb.1199:
	s_bitcmp1_b32 s69, 0
	s_cselect_b64 s[60:61], -1, 0
	s_and_b64 vcc, exec, s[60:61]
	s_cbranch_vccnz .LBB120_1201
; %bb.1200:
	s_load_dwordx2 s[60:61], s[34:35], 0x18
	s_load_dword s62, s[34:35], 0x20
	s_load_dword s63, s[34:35], 0xe0
	s_nop 0
	s_load_dwordx2 s[34:35], s[34:35], 0xd8
	s_waitcnt lgkmcnt(0)
	v_mul_hi_u32 v3, s61, v1
	v_add_u32_e32 v3, v1, v3
	v_lshrrev_b32_e32 v3, s62, v3
	v_mul_lo_u32 v3, v3, s60
	v_sub_u32_e32 v3, v1, v3
	v_mad_u64_u32 v[0:1], s[60:61], v3, s34, v[0:1]
	v_mad_u64_u32 v[4:5], s[34:35], v3, s35, v[4:5]
	;; [unrolled: 1-line block ×3, first 2 shown]
.LBB120_1201:
	s_mov_b64 s[34:35], 0
	s_branch .LBB120_1203
.LBB120_1202:
	s_mov_b64 s[34:35], -1
                                        ; implicit-def: $vgpr2
                                        ; implicit-def: $vgpr4
                                        ; implicit-def: $vgpr0
.LBB120_1203:
	s_andn2_b64 vcc, exec, s[34:35]
	s_cbranch_vccnz .LBB120_1206
; %bb.1204:
	s_waitcnt lgkmcnt(0)
	v_mul_hi_u32 v0, s17, v8
	v_add_u32_e32 v0, v8, v0
	s_waitcnt vmcnt(0)
	v_lshrrev_b32_e32 v1, s18, v0
	v_mul_lo_u32 v0, v1, s16
	v_sub_u32_e32 v3, v8, v0
	v_mul_lo_u32 v0, v3, s12
	v_mul_lo_u32 v2, v3, s14
	s_andn2_b64 vcc, exec, s[30:31]
	v_mul_lo_u32 v4, v3, s13
	s_cbranch_vccnz .LBB120_1206
; %bb.1205:
	v_mul_hi_u32 v3, s28, v1
	v_add_u32_e32 v3, v1, v3
	v_lshrrev_b32_e32 v3, s29, v3
	v_mul_lo_u32 v3, v3, s19
	v_sub_u32_e32 v3, v1, v3
	v_mad_u64_u32 v[0:1], s[12:13], v3, s15, v[0:1]
	v_mad_u64_u32 v[4:5], s[12:13], v3, s26, v[4:5]
	;; [unrolled: 1-line block ×3, first 2 shown]
.LBB120_1206:
	s_waitcnt vmcnt(0) lgkmcnt(0)
	v_mov_b32_e32 v1, s11
	v_add_co_u32_e32 v4, vcc, s10, v4
	v_addc_co_u32_e32 v5, vcc, 0, v1, vcc
	v_and_b32_e32 v3, 0xff, v9
	v_cmp_gt_i16_e32 vcc, 11, v3
	s_cbranch_vccnz .LBB120_1213
; %bb.1207:
	v_cmp_lt_i16_e32 vcc, 25, v3
	s_mov_b64 s[12:13], 0
	s_cbranch_vccz .LBB120_1215
; %bb.1208:
	v_cmp_lt_i16_e32 vcc, 28, v3
	s_cbranch_vccz .LBB120_1216
; %bb.1209:
	v_cmp_lt_i16_e32 vcc, 43, v3
	;; [unrolled: 3-line block ×3, first 2 shown]
	s_cbranch_vccz .LBB120_1218
; %bb.1211:
	v_cmp_eq_u16_e32 vcc, 46, v3
	s_mov_b64 s[16:17], 0
	s_cbranch_vccz .LBB120_1221
; %bb.1212:
	global_load_dword v1, v[4:5], off
	s_mov_b64 s[10:11], 0
	s_mov_b64 s[14:15], -1
	s_waitcnt vmcnt(0)
	v_lshlrev_b32_e32 v1, 16, v1
	s_branch .LBB120_1222
.LBB120_1213:
	s_mov_b64 s[16:17], -1
	s_mov_b64 s[14:15], 0
	s_mov_b64 s[12:13], 0
	;; [unrolled: 1-line block ×3, first 2 shown]
                                        ; implicit-def: $vgpr1
	s_branch .LBB120_1285
.LBB120_1214:
	s_mov_b64 s[60:61], 0
	s_branch .LBB120_945
.LBB120_1215:
	s_mov_b64 s[16:17], -1
	s_mov_b64 s[14:15], 0
	s_mov_b64 s[10:11], s[0:1]
                                        ; implicit-def: $vgpr1
	s_branch .LBB120_1251
.LBB120_1216:
	s_mov_b64 s[16:17], -1
	s_mov_b64 s[14:15], 0
	s_mov_b64 s[10:11], s[0:1]
                                        ; implicit-def: $vgpr1
	s_branch .LBB120_1232
.LBB120_1217:
	s_mov_b64 s[16:17], -1
	s_mov_b64 s[14:15], 0
	s_mov_b64 s[10:11], s[0:1]
                                        ; implicit-def: $vgpr1
	s_branch .LBB120_1227
.LBB120_1218:
	s_mov_b64 s[16:17], -1
	s_mov_b64 s[14:15], 0
	s_mov_b64 s[10:11], s[0:1]
                                        ; implicit-def: $vgpr1
	s_branch .LBB120_1222
.LBB120_1219:
	s_or_saveexec_b64 s[62:63], s[62:63]
                                        ; implicit-def: $sgpr64
	s_xor_b64 exec, exec, s[62:63]
	s_cbranch_execz .LBB120_1103
.LBB120_1220:
	s_mov_b32 s64, 0x46000000
	v_add_f32_e64 v3, |v10|, s64
	v_and_b32_e32 v3, 0xff, v3
	v_cmp_ne_u32_e32 vcc, 0, v3
	s_andn2_b64 s[60:61], s[60:61], exec
	s_and_b64 s[70:71], vcc, exec
	s_mov_b32 s64, 0
	s_or_b64 s[60:61], s[60:61], s[70:71]
	s_or_b64 exec, exec, s[62:63]
	v_mov_b32_e32 v4, s64
	s_and_saveexec_b64 s[62:63], s[60:61]
	s_cbranch_execnz .LBB120_1104
	s_branch .LBB120_1105
.LBB120_1221:
	s_mov_b64 s[10:11], -1
                                        ; implicit-def: $vgpr1
	s_mov_b64 s[14:15], 0
.LBB120_1222:
	s_and_b64 vcc, exec, s[16:17]
	s_cbranch_vccz .LBB120_1226
; %bb.1223:
	v_cmp_eq_u16_e32 vcc, 44, v3
	s_cbranch_vccz .LBB120_1225
; %bb.1224:
	global_load_ubyte v1, v[4:5], off
	s_movk_i32 s14, 0xff
	v_mov_b32_e32 v8, 0x7f800001
	v_mov_b32_e32 v9, 0x400000
	s_mov_b64 s[10:11], 0
	s_waitcnt vmcnt(0)
	v_lshlrev_b32_e32 v10, 23, v1
	v_cmp_ne_u32_e32 vcc, s14, v1
	v_cndmask_b32_e32 v8, v8, v10, vcc
	v_cmp_ne_u32_e32 vcc, 0, v1
	v_cndmask_b32_e32 v1, v9, v8, vcc
	s_mov_b64 s[14:15], -1
	s_branch .LBB120_1226
.LBB120_1225:
	s_mov_b64 s[10:11], -1
                                        ; implicit-def: $vgpr1
.LBB120_1226:
	s_mov_b64 s[16:17], 0
.LBB120_1227:
	s_and_b64 vcc, exec, s[16:17]
	s_cbranch_vccz .LBB120_1231
; %bb.1228:
	v_cmp_eq_u16_e32 vcc, 29, v3
	s_cbranch_vccz .LBB120_1230
; %bb.1229:
	global_load_dwordx2 v[8:9], v[4:5], off
	s_mov_b64 s[10:11], 0
	s_mov_b64 s[14:15], -1
	s_mov_b64 s[16:17], 0
	s_waitcnt vmcnt(0)
	v_ffbh_u32_e32 v1, v9
	v_min_u32_e32 v1, 32, v1
	v_lshlrev_b64 v[8:9], v1, v[8:9]
	v_min_u32_e32 v8, 1, v8
	v_or_b32_e32 v8, v9, v8
	v_cvt_f32_u32_e32 v8, v8
	v_sub_u32_e32 v1, 32, v1
	v_ldexp_f32 v1, v8, v1
	s_branch .LBB120_1232
.LBB120_1230:
	s_mov_b64 s[10:11], -1
                                        ; implicit-def: $vgpr1
.LBB120_1231:
	s_mov_b64 s[16:17], 0
.LBB120_1232:
	s_and_b64 vcc, exec, s[16:17]
	s_cbranch_vccz .LBB120_1250
; %bb.1233:
	v_cmp_gt_i16_e32 vcc, 27, v3
	s_cbranch_vccnz .LBB120_1236
; %bb.1234:
	v_cmp_lt_i16_e32 vcc, 27, v3
	s_cbranch_vccz .LBB120_1237
; %bb.1235:
	global_load_dword v1, v[4:5], off
	s_mov_b64 s[14:15], 0
	s_waitcnt vmcnt(0)
	v_cvt_f32_u32_e32 v1, v1
	s_branch .LBB120_1238
.LBB120_1236:
	s_mov_b64 s[14:15], -1
                                        ; implicit-def: $vgpr1
	s_branch .LBB120_1241
.LBB120_1237:
	s_mov_b64 s[14:15], -1
                                        ; implicit-def: $vgpr1
.LBB120_1238:
	s_andn2_b64 vcc, exec, s[14:15]
	s_cbranch_vccnz .LBB120_1240
; %bb.1239:
	global_load_ushort v1, v[4:5], off
	s_waitcnt vmcnt(0)
	v_cvt_f32_u32_e32 v1, v1
.LBB120_1240:
	s_mov_b64 s[14:15], 0
.LBB120_1241:
	s_andn2_b64 vcc, exec, s[14:15]
	s_cbranch_vccnz .LBB120_1249
; %bb.1242:
	global_load_ubyte v8, v[4:5], off
	s_movk_i32 s14, 0x7f
                                        ; implicit-def: $sgpr26
	s_waitcnt vmcnt(0)
	v_cmp_lt_i16_e32 vcc, s14, v8
	s_mov_b64 s[14:15], 0
	s_and_saveexec_b64 s[16:17], vcc
	s_xor_b64 s[16:17], exec, s[16:17]
	s_cbranch_execz .LBB120_1263
; %bb.1243:
	s_movk_i32 s14, 0x80
	v_cmp_eq_u16_e32 vcc, s14, v8
	s_mov_b64 s[14:15], -1
                                        ; implicit-def: $sgpr26
	s_and_saveexec_b64 s[18:19], vcc
; %bb.1244:
	s_mov_b32 s26, 0x7f800001
	s_xor_b64 s[14:15], exec, -1
; %bb.1245:
	s_or_b64 exec, exec, s[18:19]
	s_and_b64 s[14:15], s[14:15], exec
	s_or_saveexec_b64 s[16:17], s[16:17]
	v_mov_b32_e32 v1, s26
	s_xor_b64 exec, exec, s[16:17]
	s_cbranch_execnz .LBB120_1264
.LBB120_1246:
	s_or_b64 exec, exec, s[16:17]
	s_and_saveexec_b64 s[16:17], s[14:15]
	s_cbranch_execz .LBB120_1248
.LBB120_1247:
	v_lshlrev_b32_e32 v1, 24, v8
	v_and_b32_e32 v8, 0xffff, v8
	v_and_b32_e32 v9, 7, v8
	v_ffbh_u32_e32 v11, v9
	v_min_u32_e32 v11, 32, v11
	v_subrev_u32_e32 v12, 28, v11
	v_bfe_u32 v10, v8, 3, 4
	v_lshlrev_b32_e32 v8, v12, v8
	v_sub_u32_e32 v11, 29, v11
	v_and_b32_e32 v8, 7, v8
	v_cmp_eq_u32_e32 vcc, 0, v10
	v_cndmask_b32_e32 v10, v10, v11, vcc
	v_cndmask_b32_e32 v8, v9, v8, vcc
	v_mov_b32_e32 v9, 0x3b800000
	v_lshlrev_b32_e32 v8, 20, v8
	v_and_b32_e32 v1, 0x80000000, v1
	v_lshl_add_u32 v9, v10, 23, v9
	v_or3_b32 v1, v1, v9, v8
.LBB120_1248:
	s_or_b64 exec, exec, s[16:17]
.LBB120_1249:
	s_mov_b64 s[14:15], -1
.LBB120_1250:
	s_mov_b64 s[16:17], 0
.LBB120_1251:
	s_and_b64 vcc, exec, s[16:17]
	s_cbranch_vccz .LBB120_1284
; %bb.1252:
	v_cmp_lt_i16_e32 vcc, 22, v3
	s_cbranch_vccz .LBB120_1262
; %bb.1253:
	v_cmp_gt_i16_e32 vcc, 24, v3
	s_cbranch_vccnz .LBB120_1265
; %bb.1254:
	v_cmp_lt_i16_e32 vcc, 24, v3
	s_cbranch_vccz .LBB120_1266
; %bb.1255:
	global_load_ubyte v8, v[4:5], off
	s_movk_i32 s12, 0x7f
                                        ; implicit-def: $sgpr18
	s_waitcnt vmcnt(0)
	v_cmp_lt_i16_e32 vcc, s12, v8
	s_mov_b64 s[12:13], 0
	s_and_saveexec_b64 s[14:15], vcc
	s_xor_b64 s[14:15], exec, s[14:15]
	s_cbranch_execz .LBB120_1278
; %bb.1256:
	s_movk_i32 s12, 0x80
	v_cmp_eq_u16_e32 vcc, s12, v8
	s_mov_b64 s[12:13], -1
                                        ; implicit-def: $sgpr18
	s_and_saveexec_b64 s[16:17], vcc
; %bb.1257:
	s_mov_b32 s18, 0x7f800001
	s_xor_b64 s[12:13], exec, -1
; %bb.1258:
	s_or_b64 exec, exec, s[16:17]
	s_and_b64 s[12:13], s[12:13], exec
	s_or_saveexec_b64 s[14:15], s[14:15]
	v_mov_b32_e32 v1, s18
	s_xor_b64 exec, exec, s[14:15]
	s_cbranch_execnz .LBB120_1279
.LBB120_1259:
	s_or_b64 exec, exec, s[14:15]
	s_and_saveexec_b64 s[14:15], s[12:13]
	s_cbranch_execz .LBB120_1261
.LBB120_1260:
	v_lshlrev_b32_e32 v1, 24, v8
	v_and_b32_e32 v8, 0xffff, v8
	v_and_b32_e32 v9, 3, v8
	v_ffbh_u32_e32 v11, v9
	v_min_u32_e32 v11, 32, v11
	v_subrev_u32_e32 v12, 29, v11
	v_bfe_u32 v10, v8, 2, 5
	v_lshlrev_b32_e32 v8, v12, v8
	v_sub_u32_e32 v11, 30, v11
	v_and_b32_e32 v8, 3, v8
	v_cmp_eq_u32_e32 vcc, 0, v10
	v_cndmask_b32_e32 v10, v10, v11, vcc
	v_cndmask_b32_e32 v8, v9, v8, vcc
	v_mov_b32_e32 v9, 0x37800000
	v_lshlrev_b32_e32 v8, 21, v8
	v_and_b32_e32 v1, 0x80000000, v1
	v_lshl_add_u32 v9, v10, 23, v9
	v_or3_b32 v1, v1, v9, v8
.LBB120_1261:
	s_or_b64 exec, exec, s[14:15]
	s_mov_b64 s[12:13], 0
	s_branch .LBB120_1267
.LBB120_1262:
	s_mov_b64 s[12:13], -1
                                        ; implicit-def: $vgpr1
	s_branch .LBB120_1273
.LBB120_1263:
	s_or_saveexec_b64 s[16:17], s[16:17]
	v_mov_b32_e32 v1, s26
	s_xor_b64 exec, exec, s[16:17]
	s_cbranch_execz .LBB120_1246
.LBB120_1264:
	v_cmp_ne_u16_e32 vcc, 0, v8
	s_andn2_b64 s[14:15], s[14:15], exec
	s_and_b64 s[18:19], vcc, exec
	v_mov_b32_e32 v1, 0
	s_or_b64 s[14:15], s[14:15], s[18:19]
	s_or_b64 exec, exec, s[16:17]
	s_and_saveexec_b64 s[16:17], s[14:15]
	s_cbranch_execnz .LBB120_1247
	s_branch .LBB120_1248
.LBB120_1265:
	s_mov_b64 s[12:13], -1
                                        ; implicit-def: $vgpr1
	s_branch .LBB120_1270
.LBB120_1266:
	s_mov_b64 s[12:13], -1
                                        ; implicit-def: $vgpr1
.LBB120_1267:
	s_and_b64 vcc, exec, s[12:13]
	s_cbranch_vccz .LBB120_1269
; %bb.1268:
	global_load_ubyte v1, v[4:5], off
	s_mov_b32 s12, 0x7f800000
	s_waitcnt vmcnt(0)
	v_lshlrev_b32_e32 v1, 24, v1
	v_and_b32_e32 v8, 0x7f000000, v1
	v_ffbh_u32_e32 v9, v8
	v_min_u32_e32 v9, 32, v9
	v_sub_u32_e64 v9, v9, 4 clamp
	v_lshlrev_b32_e32 v11, v9, v8
	v_lshlrev_b32_e32 v9, 23, v9
	v_lshrrev_b32_e32 v11, 4, v11
	v_add_u32_e32 v10, 0x1000000, v8
	v_sub_u32_e32 v9, v11, v9
	v_ashrrev_i32_e32 v10, 8, v10
	v_add_u32_e32 v9, 0x3c000000, v9
	v_and_or_b32 v9, v10, s12, v9
	v_cmp_ne_u32_e32 vcc, 0, v8
	v_cndmask_b32_e32 v8, 0, v9, vcc
	s_brev_b32 s12, 1
	v_and_or_b32 v1, v1, s12, v8
.LBB120_1269:
	s_mov_b64 s[12:13], 0
.LBB120_1270:
	s_andn2_b64 vcc, exec, s[12:13]
	s_cbranch_vccnz .LBB120_1272
; %bb.1271:
	global_load_ubyte v1, v[4:5], off
	s_movk_i32 s12, 0x7f00
	s_brev_b32 s13, 16
	s_waitcnt vmcnt(0)
	v_lshlrev_b16_e32 v8, 8, v1
	v_lshlrev_b32_e32 v1, 25, v1
	v_lshrrev_b32_e32 v9, 4, v1
	v_and_or_b32 v10, v8, s12, 0.5
	v_or_b32_e32 v9, 0x70000000, v9
	v_add_f32_e32 v10, -0.5, v10
	v_mul_f32_e32 v9, 0x7800000, v9
	v_cmp_gt_u32_e32 vcc, s13, v1
	v_bfe_i32 v8, v8, 0, 16
	v_cndmask_b32_e32 v1, v9, v10, vcc
	s_brev_b32 s12, 1
	v_and_or_b32 v1, v8, s12, v1
.LBB120_1272:
	s_mov_b64 s[12:13], 0
	s_mov_b64 s[14:15], -1
.LBB120_1273:
	s_andn2_b64 vcc, exec, s[12:13]
	s_mov_b64 s[12:13], 0
	s_cbranch_vccnz .LBB120_1284
; %bb.1274:
	v_cmp_lt_i16_e32 vcc, 14, v3
	s_cbranch_vccz .LBB120_1277
; %bb.1275:
	v_cmp_eq_u16_e32 vcc, 15, v3
	s_cbranch_vccz .LBB120_1280
; %bb.1276:
	global_load_ushort v1, v[4:5], off
	s_mov_b64 s[10:11], 0
	s_mov_b64 s[14:15], -1
	s_waitcnt vmcnt(0)
	v_lshlrev_b32_e32 v1, 16, v1
	s_branch .LBB120_1281
.LBB120_1277:
	s_mov_b64 s[16:17], -1
                                        ; implicit-def: $vgpr1
	s_branch .LBB120_1282
.LBB120_1278:
	s_or_saveexec_b64 s[14:15], s[14:15]
	v_mov_b32_e32 v1, s18
	s_xor_b64 exec, exec, s[14:15]
	s_cbranch_execz .LBB120_1259
.LBB120_1279:
	v_cmp_ne_u16_e32 vcc, 0, v8
	s_andn2_b64 s[12:13], s[12:13], exec
	s_and_b64 s[16:17], vcc, exec
	v_mov_b32_e32 v1, 0
	s_or_b64 s[12:13], s[12:13], s[16:17]
	s_or_b64 exec, exec, s[14:15]
	s_and_saveexec_b64 s[14:15], s[12:13]
	s_cbranch_execnz .LBB120_1260
	s_branch .LBB120_1261
.LBB120_1280:
	s_mov_b64 s[10:11], -1
                                        ; implicit-def: $vgpr1
.LBB120_1281:
	s_mov_b64 s[16:17], 0
.LBB120_1282:
	s_and_b64 vcc, exec, s[16:17]
	s_cbranch_vccz .LBB120_1284
; %bb.1283:
	v_cmp_ne_u16_e32 vcc, 11, v3
	s_andn2_b64 s[10:11], s[10:11], exec
	s_and_b64 s[16:17], vcc, exec
	s_mov_b64 s[12:13], -1
	s_or_b64 s[10:11], s[10:11], s[16:17]
                                        ; implicit-def: $vgpr1
.LBB120_1284:
	s_mov_b64 s[16:17], 0
.LBB120_1285:
	s_and_b64 s[60:61], s[12:13], exec
	s_andn2_b64 s[12:13], s[0:1], exec
	s_and_b64 s[10:11], s[10:11], exec
	s_and_b64 s[62:63], s[14:15], exec
	s_and_b64 s[66:67], s[16:17], exec
	s_or_b64 s[64:65], s[12:13], s[10:11]
.LBB120_1286:
	s_or_b64 exec, exec, s[54:55]
	s_andn2_b64 s[0:1], s[0:1], exec
	s_waitcnt lgkmcnt(0)
	s_and_b64 s[10:11], s[64:65], exec
	s_and_b64 s[62:63], s[62:63], exec
	;; [unrolled: 1-line block ×4, first 2 shown]
	s_or_b64 s[0:1], s[0:1], s[10:11]
.LBB120_1287:
	s_or_b64 exec, exec, s[52:53]
	s_waitcnt lgkmcnt(0)
	s_andn2_b64 s[10:11], s[48:49], exec
	s_and_b64 s[12:13], s[58:59], exec
	s_or_b64 s[48:49], s[10:11], s[12:13]
	s_andn2_b64 s[10:11], s[46:47], exec
	s_and_b64 s[12:13], s[56:57], exec
	s_or_b64 s[46:47], s[10:11], s[12:13]
	s_andn2_b64 s[10:11], s[44:45], exec
	s_and_b64 s[0:1], s[0:1], exec
	s_and_b64 s[56:57], s[62:63], exec
	;; [unrolled: 1-line block ×4, first 2 shown]
	s_or_b64 s[44:45], s[10:11], s[0:1]
.LBB120_1288:
	s_or_b64 exec, exec, s[50:51]
	s_andn2_b64 s[0:1], s[36:37], exec
	s_waitcnt lgkmcnt(0)
	s_and_b64 s[10:11], s[48:49], exec
	s_or_b64 s[36:37], s[0:1], s[10:11]
	s_andn2_b64 s[0:1], s[38:39], exec
	s_and_b64 s[10:11], s[46:47], exec
	s_or_b64 s[38:39], s[0:1], s[10:11]
	s_andn2_b64 s[0:1], s[40:41], exec
	s_and_b64 s[10:11], s[44:45], exec
	s_and_b64 s[48:49], s[56:57], exec
	;; [unrolled: 1-line block ×4, first 2 shown]
	s_or_b64 s[40:41], s[0:1], s[10:11]
	s_or_b64 exec, exec, s[42:43]
	s_mov_b64 s[10:11], 0
	s_and_saveexec_b64 s[0:1], s[40:41]
	s_cbranch_execz .LBB120_403
.LBB120_1289:
	s_mov_b64 s[10:11], exec
	s_andn2_b64 s[46:47], s[46:47], exec
	s_trap 2
                                        ; implicit-def: $vgpr1
	s_or_b64 exec, exec, s[0:1]
	s_and_saveexec_b64 s[0:1], s[46:47]
	s_xor_b64 s[0:1], exec, s[0:1]
	s_cbranch_execnz .LBB120_404
.LBB120_1290:
	s_or_b64 exec, exec, s[0:1]
	s_and_saveexec_b64 s[0:1], s[50:51]
	s_cbranch_execz .LBB120_1336
.LBB120_1291:
	v_cmp_gt_i16_e32 vcc, 5, v3
	s_cbranch_vccnz .LBB120_1296
; %bb.1292:
	v_cmp_gt_i16_e32 vcc, 8, v3
	s_cbranch_vccnz .LBB120_1297
; %bb.1293:
	;; [unrolled: 3-line block ×3, first 2 shown]
	v_cmp_lt_i16_e32 vcc, 9, v3
	s_cbranch_vccz .LBB120_1299
; %bb.1295:
	global_load_dwordx2 v[8:9], v[4:5], off
	s_mov_b64 s[12:13], 0
	s_waitcnt vmcnt(0)
	v_cvt_f32_f64_e32 v1, v[8:9]
	s_branch .LBB120_1300
.LBB120_1296:
                                        ; implicit-def: $vgpr1
	s_branch .LBB120_1317
.LBB120_1297:
                                        ; implicit-def: $vgpr1
	s_branch .LBB120_1306
.LBB120_1298:
	s_mov_b64 s[12:13], -1
                                        ; implicit-def: $vgpr1
	s_branch .LBB120_1303
.LBB120_1299:
	s_mov_b64 s[12:13], -1
                                        ; implicit-def: $vgpr1
.LBB120_1300:
	s_andn2_b64 vcc, exec, s[12:13]
	s_cbranch_vccnz .LBB120_1302
; %bb.1301:
	global_load_dword v1, v[4:5], off
.LBB120_1302:
	s_mov_b64 s[12:13], 0
.LBB120_1303:
	s_andn2_b64 vcc, exec, s[12:13]
	s_cbranch_vccnz .LBB120_1305
; %bb.1304:
	global_load_dword v1, v[4:5], off
	s_waitcnt vmcnt(0)
	v_cvt_f32_f16_e32 v1, v1
.LBB120_1305:
	s_cbranch_execnz .LBB120_1316
.LBB120_1306:
	v_cmp_gt_i16_e32 vcc, 6, v3
	s_cbranch_vccnz .LBB120_1309
; %bb.1307:
	v_cmp_lt_i16_e32 vcc, 6, v3
	s_cbranch_vccz .LBB120_1310
; %bb.1308:
	global_load_dwordx2 v[8:9], v[4:5], off
	s_mov_b64 s[12:13], 0
	s_waitcnt vmcnt(0)
	v_cvt_f32_f64_e32 v1, v[8:9]
	s_branch .LBB120_1311
.LBB120_1309:
	s_mov_b64 s[12:13], -1
                                        ; implicit-def: $vgpr1
	s_branch .LBB120_1314
.LBB120_1310:
	s_mov_b64 s[12:13], -1
                                        ; implicit-def: $vgpr1
.LBB120_1311:
	s_andn2_b64 vcc, exec, s[12:13]
	s_cbranch_vccnz .LBB120_1313
; %bb.1312:
	global_load_dword v1, v[4:5], off
.LBB120_1313:
	s_mov_b64 s[12:13], 0
.LBB120_1314:
	s_andn2_b64 vcc, exec, s[12:13]
	s_cbranch_vccnz .LBB120_1316
; %bb.1315:
	global_load_ushort v1, v[4:5], off
	s_waitcnt vmcnt(0)
	v_cvt_f32_f16_e32 v1, v1
.LBB120_1316:
	s_cbranch_execnz .LBB120_1335
.LBB120_1317:
	v_cmp_gt_i16_e32 vcc, 2, v3
	s_cbranch_vccnz .LBB120_1321
; %bb.1318:
	v_cmp_gt_i16_e32 vcc, 3, v3
	s_cbranch_vccnz .LBB120_1322
; %bb.1319:
	v_cmp_lt_i16_e32 vcc, 3, v3
	s_cbranch_vccz .LBB120_1323
; %bb.1320:
	global_load_dwordx2 v[8:9], v[4:5], off
	s_mov_b64 s[12:13], 0
	s_waitcnt vmcnt(0)
	v_xor_b32_e32 v10, v8, v9
	v_ffbh_i32_e32 v1, v9
	v_ashrrev_i32_e32 v10, 31, v10
	v_add_u32_e32 v1, -1, v1
	v_add_u32_e32 v10, 32, v10
	v_min_u32_e32 v1, v1, v10
	v_lshlrev_b64 v[8:9], v1, v[8:9]
	v_min_u32_e32 v8, 1, v8
	v_or_b32_e32 v8, v9, v8
	v_cvt_f32_i32_e32 v8, v8
	v_sub_u32_e32 v1, 32, v1
	v_ldexp_f32 v1, v8, v1
	s_branch .LBB120_1324
.LBB120_1321:
                                        ; implicit-def: $vgpr1
	s_branch .LBB120_1330
.LBB120_1322:
	s_mov_b64 s[12:13], -1
                                        ; implicit-def: $vgpr1
	s_branch .LBB120_1327
.LBB120_1323:
	s_mov_b64 s[12:13], -1
                                        ; implicit-def: $vgpr1
.LBB120_1324:
	s_andn2_b64 vcc, exec, s[12:13]
	s_cbranch_vccnz .LBB120_1326
; %bb.1325:
	global_load_dword v1, v[4:5], off
	s_waitcnt vmcnt(0)
	v_cvt_f32_i32_e32 v1, v1
.LBB120_1326:
	s_mov_b64 s[12:13], 0
.LBB120_1327:
	s_andn2_b64 vcc, exec, s[12:13]
	s_cbranch_vccnz .LBB120_1329
; %bb.1328:
	global_load_sshort v1, v[4:5], off
	s_waitcnt vmcnt(0)
	v_cvt_f32_i32_e32 v1, v1
.LBB120_1329:
	s_cbranch_execnz .LBB120_1335
.LBB120_1330:
	v_cmp_lt_i16_e32 vcc, 0, v3
	s_cbranch_vccz .LBB120_1332
; %bb.1331:
	global_load_sbyte v1, v[4:5], off
	s_mov_b64 s[12:13], 0
	s_waitcnt vmcnt(0)
	v_cvt_f32_i32_e32 v1, v1
	s_branch .LBB120_1333
.LBB120_1332:
	s_mov_b64 s[12:13], -1
                                        ; implicit-def: $vgpr1
.LBB120_1333:
	s_andn2_b64 vcc, exec, s[12:13]
	s_cbranch_vccnz .LBB120_1335
; %bb.1334:
	global_load_ubyte v1, v[4:5], off
	s_waitcnt vmcnt(0)
	v_cvt_f32_ubyte0_e32 v1, v1
.LBB120_1335:
	s_or_b64 s[48:49], s[48:49], exec
.LBB120_1336:
	s_or_b64 exec, exec, s[0:1]
	s_mov_b64 s[14:15], 0
	s_mov_b64 s[18:19], 0
	s_mov_b64 s[16:17], 0
                                        ; implicit-def: $vgpr3
                                        ; implicit-def: $vgpr4_vgpr5
                                        ; implicit-def: $vgpr8
	s_and_saveexec_b64 s[0:1], s[48:49]
	s_cbranch_execz .LBB120_1344
; %bb.1337:
	v_mov_b32_e32 v3, s25
	v_add_co_u32_e32 v4, vcc, s24, v2
	v_addc_co_u32_e32 v5, vcc, 0, v3, vcc
	s_waitcnt vmcnt(0)
	v_and_b32_e32 v3, 0xff, v7
	v_cmp_gt_i16_e32 vcc, 11, v3
	s_cbranch_vccnz .LBB120_1347
; %bb.1338:
	v_cmp_lt_i16_e32 vcc, 25, v3
	s_cbranch_vccz .LBB120_1348
; %bb.1339:
	v_cmp_lt_i16_e32 vcc, 28, v3
	s_cbranch_vccz .LBB120_1349
	;; [unrolled: 3-line block ×4, first 2 shown]
; %bb.1342:
	v_cmp_eq_u16_e32 vcc, 46, v3
	s_cbranch_vccz .LBB120_1352
; %bb.1343:
	global_load_dword v2, v[4:5], off
	s_mov_b64 s[12:13], 0
	s_mov_b64 s[16:17], -1
	s_waitcnt vmcnt(0)
	v_lshlrev_b32_e32 v8, 16, v2
	s_branch .LBB120_1354
.LBB120_1344:
	s_or_b64 exec, exec, s[0:1]
	s_and_saveexec_b64 s[0:1], s[38:39]
	s_cbranch_execnz .LBB120_1417
.LBB120_1345:
	s_or_b64 exec, exec, s[0:1]
	s_and_saveexec_b64 s[0:1], s[14:15]
	s_xor_b64 s[0:1], exec, s[0:1]
	s_cbranch_execz .LBB120_1418
.LBB120_1346:
	global_load_ubyte v2, v[4:5], off
	s_or_b64 s[16:17], s[16:17], exec
	s_waitcnt vmcnt(0)
	v_cmp_ne_u16_e32 vcc, 0, v2
	v_cndmask_b32_e64 v8, 0, 1.0, vcc
	s_or_b64 exec, exec, s[0:1]
	s_and_saveexec_b64 s[0:1], s[18:19]
	s_cbranch_execz .LBB120_1464
	s_branch .LBB120_1419
.LBB120_1347:
	s_mov_b64 s[18:19], -1
                                        ; implicit-def: $vgpr8
	s_mov_b64 s[12:13], s[38:39]
	s_branch .LBB120_1416
.LBB120_1348:
	s_mov_b64 s[12:13], s[38:39]
                                        ; implicit-def: $vgpr8
	s_cbranch_execnz .LBB120_1383
	s_branch .LBB120_1415
.LBB120_1349:
	s_mov_b64 s[18:19], -1
	s_mov_b64 s[12:13], s[38:39]
                                        ; implicit-def: $vgpr8
	s_branch .LBB120_1364
.LBB120_1350:
	s_mov_b64 s[18:19], -1
	s_mov_b64 s[12:13], s[38:39]
                                        ; implicit-def: $vgpr8
	s_branch .LBB120_1359
.LBB120_1351:
	s_mov_b64 s[18:19], -1
	s_mov_b64 s[12:13], s[38:39]
	s_branch .LBB120_1353
.LBB120_1352:
	s_mov_b64 s[12:13], -1
.LBB120_1353:
                                        ; implicit-def: $vgpr8
.LBB120_1354:
	s_and_b64 vcc, exec, s[18:19]
	s_cbranch_vccz .LBB120_1358
; %bb.1355:
	v_cmp_eq_u16_e32 vcc, 44, v3
	s_cbranch_vccz .LBB120_1357
; %bb.1356:
	global_load_ubyte v2, v[4:5], off
	s_movk_i32 s16, 0xff
	v_mov_b32_e32 v7, 0x7f800001
	v_mov_b32_e32 v8, 0x400000
	s_mov_b64 s[12:13], 0
	s_waitcnt vmcnt(0)
	v_lshlrev_b32_e32 v9, 23, v2
	v_cmp_ne_u32_e32 vcc, s16, v2
	v_cndmask_b32_e32 v7, v7, v9, vcc
	v_cmp_ne_u32_e32 vcc, 0, v2
	v_cndmask_b32_e32 v8, v8, v7, vcc
	s_mov_b64 s[16:17], -1
	s_branch .LBB120_1358
.LBB120_1357:
	s_mov_b64 s[12:13], -1
                                        ; implicit-def: $vgpr8
.LBB120_1358:
	s_mov_b64 s[18:19], 0
.LBB120_1359:
	s_and_b64 vcc, exec, s[18:19]
	s_cbranch_vccz .LBB120_1363
; %bb.1360:
	v_cmp_eq_u16_e32 vcc, 29, v3
	s_cbranch_vccz .LBB120_1362
; %bb.1361:
	global_load_dwordx2 v[8:9], v[4:5], off
	s_mov_b64 s[12:13], 0
	s_mov_b64 s[16:17], -1
	s_mov_b64 s[18:19], 0
	s_waitcnt vmcnt(0)
	v_ffbh_u32_e32 v2, v9
	v_min_u32_e32 v2, 32, v2
	v_lshlrev_b64 v[8:9], v2, v[8:9]
	v_min_u32_e32 v7, 1, v8
	v_or_b32_e32 v7, v9, v7
	v_cvt_f32_u32_e32 v7, v7
	v_sub_u32_e32 v2, 32, v2
	v_ldexp_f32 v8, v7, v2
	s_branch .LBB120_1364
.LBB120_1362:
	s_mov_b64 s[12:13], -1
                                        ; implicit-def: $vgpr8
.LBB120_1363:
	s_mov_b64 s[18:19], 0
.LBB120_1364:
	s_and_b64 vcc, exec, s[18:19]
	s_cbranch_vccz .LBB120_1382
; %bb.1365:
	v_cmp_gt_i16_e32 vcc, 27, v3
	s_cbranch_vccnz .LBB120_1368
; %bb.1366:
	v_cmp_lt_i16_e32 vcc, 27, v3
	s_cbranch_vccz .LBB120_1369
; %bb.1367:
	global_load_dword v2, v[4:5], off
	s_mov_b64 s[16:17], 0
	s_waitcnt vmcnt(0)
	v_cvt_f32_u32_e32 v8, v2
	s_branch .LBB120_1370
.LBB120_1368:
	s_mov_b64 s[16:17], -1
                                        ; implicit-def: $vgpr8
	s_branch .LBB120_1373
.LBB120_1369:
	s_mov_b64 s[16:17], -1
                                        ; implicit-def: $vgpr8
.LBB120_1370:
	s_andn2_b64 vcc, exec, s[16:17]
	s_cbranch_vccnz .LBB120_1372
; %bb.1371:
	global_load_ushort v2, v[4:5], off
	s_waitcnt vmcnt(0)
	v_cvt_f32_u32_e32 v8, v2
.LBB120_1372:
	s_mov_b64 s[16:17], 0
.LBB120_1373:
	s_andn2_b64 vcc, exec, s[16:17]
	s_cbranch_vccnz .LBB120_1381
; %bb.1374:
	global_load_ubyte v2, v[4:5], off
	s_movk_i32 s16, 0x7f
                                        ; implicit-def: $sgpr26
	s_waitcnt vmcnt(0)
	v_cmp_lt_i16_e32 vcc, s16, v2
	s_mov_b64 s[16:17], 0
	s_and_saveexec_b64 s[18:19], vcc
	s_xor_b64 s[18:19], exec, s[18:19]
	s_cbranch_execz .LBB120_1394
; %bb.1375:
	s_movk_i32 s16, 0x80
	v_cmp_eq_u16_e32 vcc, s16, v2
	s_mov_b64 s[16:17], -1
                                        ; implicit-def: $sgpr26
	s_and_saveexec_b64 s[24:25], vcc
; %bb.1376:
	s_mov_b32 s26, 0x7f800001
	s_xor_b64 s[16:17], exec, -1
; %bb.1377:
	s_or_b64 exec, exec, s[24:25]
	s_and_b64 s[16:17], s[16:17], exec
	s_or_saveexec_b64 s[18:19], s[18:19]
	v_mov_b32_e32 v8, s26
	s_xor_b64 exec, exec, s[18:19]
	s_cbranch_execnz .LBB120_1395
.LBB120_1378:
	s_or_b64 exec, exec, s[18:19]
	s_and_saveexec_b64 s[18:19], s[16:17]
	s_cbranch_execz .LBB120_1380
.LBB120_1379:
	v_lshlrev_b32_e32 v7, 24, v2
	v_and_b32_e32 v2, 0xffff, v2
	v_and_b32_e32 v8, 7, v2
	v_ffbh_u32_e32 v10, v8
	v_min_u32_e32 v10, 32, v10
	v_subrev_u32_e32 v11, 28, v10
	v_bfe_u32 v9, v2, 3, 4
	v_lshlrev_b32_e32 v2, v11, v2
	v_sub_u32_e32 v10, 29, v10
	v_and_b32_e32 v2, 7, v2
	v_cmp_eq_u32_e32 vcc, 0, v9
	v_cndmask_b32_e32 v9, v9, v10, vcc
	v_cndmask_b32_e32 v2, v8, v2, vcc
	v_mov_b32_e32 v8, 0x3b800000
	v_lshlrev_b32_e32 v2, 20, v2
	v_and_b32_e32 v7, 0x80000000, v7
	v_lshl_add_u32 v8, v9, 23, v8
	v_or3_b32 v8, v7, v8, v2
.LBB120_1380:
	s_or_b64 exec, exec, s[18:19]
.LBB120_1381:
	s_mov_b64 s[16:17], -1
.LBB120_1382:
	s_branch .LBB120_1415
.LBB120_1383:
	v_cmp_lt_i16_e32 vcc, 22, v3
	s_cbranch_vccz .LBB120_1393
; %bb.1384:
	v_cmp_gt_i16_e32 vcc, 24, v3
	s_cbranch_vccnz .LBB120_1396
; %bb.1385:
	v_cmp_lt_i16_e32 vcc, 24, v3
	s_cbranch_vccz .LBB120_1397
; %bb.1386:
	global_load_ubyte v2, v[4:5], off
	s_movk_i32 s14, 0x7f
                                        ; implicit-def: $sgpr24
	s_waitcnt vmcnt(0)
	v_cmp_lt_i16_e32 vcc, s14, v2
	s_mov_b64 s[14:15], 0
	s_and_saveexec_b64 s[16:17], vcc
	s_xor_b64 s[16:17], exec, s[16:17]
	s_cbranch_execz .LBB120_1409
; %bb.1387:
	s_movk_i32 s14, 0x80
	v_cmp_eq_u16_e32 vcc, s14, v2
	s_mov_b64 s[14:15], -1
                                        ; implicit-def: $sgpr24
	s_and_saveexec_b64 s[18:19], vcc
; %bb.1388:
	s_mov_b32 s24, 0x7f800001
	s_xor_b64 s[14:15], exec, -1
; %bb.1389:
	s_or_b64 exec, exec, s[18:19]
	s_and_b64 s[14:15], s[14:15], exec
	s_or_saveexec_b64 s[16:17], s[16:17]
	v_mov_b32_e32 v8, s24
	s_xor_b64 exec, exec, s[16:17]
	s_cbranch_execnz .LBB120_1410
.LBB120_1390:
	s_or_b64 exec, exec, s[16:17]
	s_and_saveexec_b64 s[16:17], s[14:15]
	s_cbranch_execz .LBB120_1392
.LBB120_1391:
	v_lshlrev_b32_e32 v7, 24, v2
	v_and_b32_e32 v2, 0xffff, v2
	v_and_b32_e32 v8, 3, v2
	v_ffbh_u32_e32 v10, v8
	v_min_u32_e32 v10, 32, v10
	v_subrev_u32_e32 v11, 29, v10
	v_bfe_u32 v9, v2, 2, 5
	v_lshlrev_b32_e32 v2, v11, v2
	v_sub_u32_e32 v10, 30, v10
	v_and_b32_e32 v2, 3, v2
	v_cmp_eq_u32_e32 vcc, 0, v9
	v_cndmask_b32_e32 v9, v9, v10, vcc
	v_cndmask_b32_e32 v2, v8, v2, vcc
	v_mov_b32_e32 v8, 0x37800000
	v_lshlrev_b32_e32 v2, 21, v2
	v_and_b32_e32 v7, 0x80000000, v7
	v_lshl_add_u32 v8, v9, 23, v8
	v_or3_b32 v8, v7, v8, v2
.LBB120_1392:
	s_or_b64 exec, exec, s[16:17]
	s_mov_b64 s[14:15], 0
	s_branch .LBB120_1398
.LBB120_1393:
	s_mov_b64 s[14:15], -1
                                        ; implicit-def: $vgpr8
	s_branch .LBB120_1404
.LBB120_1394:
	s_or_saveexec_b64 s[18:19], s[18:19]
	v_mov_b32_e32 v8, s26
	s_xor_b64 exec, exec, s[18:19]
	s_cbranch_execz .LBB120_1378
.LBB120_1395:
	v_cmp_ne_u16_e32 vcc, 0, v2
	s_andn2_b64 s[16:17], s[16:17], exec
	s_and_b64 s[24:25], vcc, exec
	v_mov_b32_e32 v8, 0
	s_or_b64 s[16:17], s[16:17], s[24:25]
	s_or_b64 exec, exec, s[18:19]
	s_and_saveexec_b64 s[18:19], s[16:17]
	s_cbranch_execnz .LBB120_1379
	s_branch .LBB120_1380
.LBB120_1396:
	s_mov_b64 s[14:15], -1
                                        ; implicit-def: $vgpr8
	s_branch .LBB120_1401
.LBB120_1397:
	s_mov_b64 s[14:15], -1
                                        ; implicit-def: $vgpr8
.LBB120_1398:
	s_and_b64 vcc, exec, s[14:15]
	s_cbranch_vccz .LBB120_1400
; %bb.1399:
	global_load_ubyte v2, v[4:5], off
	s_mov_b32 s14, 0x7f800000
	s_waitcnt vmcnt(0)
	v_lshlrev_b32_e32 v2, 24, v2
	v_and_b32_e32 v7, 0x7f000000, v2
	v_ffbh_u32_e32 v8, v7
	v_min_u32_e32 v8, 32, v8
	v_sub_u32_e64 v8, v8, 4 clamp
	v_lshlrev_b32_e32 v10, v8, v7
	v_lshlrev_b32_e32 v8, 23, v8
	v_lshrrev_b32_e32 v10, 4, v10
	v_add_u32_e32 v9, 0x1000000, v7
	v_sub_u32_e32 v8, v10, v8
	v_ashrrev_i32_e32 v9, 8, v9
	v_add_u32_e32 v8, 0x3c000000, v8
	v_and_or_b32 v8, v9, s14, v8
	v_cmp_ne_u32_e32 vcc, 0, v7
	v_cndmask_b32_e32 v7, 0, v8, vcc
	s_brev_b32 s14, 1
	v_and_or_b32 v8, v2, s14, v7
.LBB120_1400:
	s_mov_b64 s[14:15], 0
.LBB120_1401:
	s_andn2_b64 vcc, exec, s[14:15]
	s_cbranch_vccnz .LBB120_1403
; %bb.1402:
	global_load_ubyte v2, v[4:5], off
	s_movk_i32 s14, 0x7f00
	s_brev_b32 s15, 16
	s_waitcnt vmcnt(0)
	v_lshlrev_b16_e32 v7, 8, v2
	v_lshlrev_b32_e32 v2, 25, v2
	v_lshrrev_b32_e32 v8, 4, v2
	v_and_or_b32 v9, v7, s14, 0.5
	v_or_b32_e32 v8, 0x70000000, v8
	v_add_f32_e32 v9, -0.5, v9
	v_mul_f32_e32 v8, 0x7800000, v8
	v_cmp_gt_u32_e32 vcc, s15, v2
	v_bfe_i32 v7, v7, 0, 16
	v_cndmask_b32_e32 v2, v8, v9, vcc
	s_brev_b32 s14, 1
	v_and_or_b32 v8, v7, s14, v2
.LBB120_1403:
	s_mov_b64 s[14:15], 0
	s_mov_b64 s[16:17], -1
.LBB120_1404:
	s_andn2_b64 vcc, exec, s[14:15]
	s_mov_b64 s[14:15], 0
	s_cbranch_vccnz .LBB120_1415
; %bb.1405:
	v_cmp_lt_i16_e32 vcc, 14, v3
	s_cbranch_vccz .LBB120_1408
; %bb.1406:
	v_cmp_eq_u16_e32 vcc, 15, v3
	s_cbranch_vccz .LBB120_1411
; %bb.1407:
	global_load_ushort v2, v[4:5], off
	s_mov_b64 s[12:13], 0
	s_mov_b64 s[16:17], -1
	s_waitcnt vmcnt(0)
	v_lshlrev_b32_e32 v8, 16, v2
	s_branch .LBB120_1412
.LBB120_1408:
	s_mov_b64 s[18:19], -1
                                        ; implicit-def: $vgpr8
	s_branch .LBB120_1413
.LBB120_1409:
	s_or_saveexec_b64 s[16:17], s[16:17]
	v_mov_b32_e32 v8, s24
	s_xor_b64 exec, exec, s[16:17]
	s_cbranch_execz .LBB120_1390
.LBB120_1410:
	v_cmp_ne_u16_e32 vcc, 0, v2
	s_andn2_b64 s[14:15], s[14:15], exec
	s_and_b64 s[18:19], vcc, exec
	v_mov_b32_e32 v8, 0
	s_or_b64 s[14:15], s[14:15], s[18:19]
	s_or_b64 exec, exec, s[16:17]
	s_and_saveexec_b64 s[16:17], s[14:15]
	s_cbranch_execnz .LBB120_1391
	s_branch .LBB120_1392
.LBB120_1411:
	s_mov_b64 s[12:13], -1
                                        ; implicit-def: $vgpr8
.LBB120_1412:
	s_mov_b64 s[18:19], 0
.LBB120_1413:
	s_and_b64 vcc, exec, s[18:19]
	s_cbranch_vccz .LBB120_1415
; %bb.1414:
	v_cmp_ne_u16_e32 vcc, 11, v3
	s_andn2_b64 s[12:13], s[12:13], exec
	s_and_b64 s[18:19], vcc, exec
	s_mov_b64 s[14:15], -1
	s_or_b64 s[12:13], s[12:13], s[18:19]
                                        ; implicit-def: $vgpr8
.LBB120_1415:
	s_mov_b64 s[18:19], 0
.LBB120_1416:
	s_andn2_b64 s[24:25], s[38:39], exec
	s_and_b64 s[12:13], s[12:13], exec
	s_and_b64 s[16:17], s[16:17], exec
	;; [unrolled: 1-line block ×4, first 2 shown]
	s_or_b64 s[38:39], s[24:25], s[12:13]
	s_or_b64 exec, exec, s[0:1]
	s_and_saveexec_b64 s[0:1], s[38:39]
	s_cbranch_execz .LBB120_1345
.LBB120_1417:
	s_or_b64 s[10:11], s[10:11], exec
	s_andn2_b64 s[14:15], s[14:15], exec
	s_trap 2
                                        ; implicit-def: $vgpr8
	s_or_b64 exec, exec, s[0:1]
	s_and_saveexec_b64 s[0:1], s[14:15]
	s_xor_b64 s[0:1], exec, s[0:1]
	s_cbranch_execnz .LBB120_1346
.LBB120_1418:
	s_or_b64 exec, exec, s[0:1]
	s_and_saveexec_b64 s[0:1], s[18:19]
	s_cbranch_execz .LBB120_1464
.LBB120_1419:
	v_cmp_gt_i16_e32 vcc, 5, v3
	s_cbranch_vccnz .LBB120_1424
; %bb.1420:
	v_cmp_gt_i16_e32 vcc, 8, v3
	s_cbranch_vccnz .LBB120_1425
; %bb.1421:
	;; [unrolled: 3-line block ×3, first 2 shown]
	v_cmp_lt_i16_e32 vcc, 9, v3
	s_cbranch_vccz .LBB120_1427
; %bb.1423:
	global_load_dwordx2 v[8:9], v[4:5], off
	s_mov_b64 s[12:13], 0
	s_waitcnt vmcnt(0)
	v_cvt_f32_f64_e32 v8, v[8:9]
	s_branch .LBB120_1428
.LBB120_1424:
                                        ; implicit-def: $vgpr8
	s_branch .LBB120_1445
.LBB120_1425:
                                        ; implicit-def: $vgpr8
	s_branch .LBB120_1434
.LBB120_1426:
	s_mov_b64 s[12:13], -1
                                        ; implicit-def: $vgpr8
	s_branch .LBB120_1431
.LBB120_1427:
	s_mov_b64 s[12:13], -1
                                        ; implicit-def: $vgpr8
.LBB120_1428:
	s_andn2_b64 vcc, exec, s[12:13]
	s_cbranch_vccnz .LBB120_1430
; %bb.1429:
	global_load_dword v8, v[4:5], off
.LBB120_1430:
	s_mov_b64 s[12:13], 0
.LBB120_1431:
	s_andn2_b64 vcc, exec, s[12:13]
	s_cbranch_vccnz .LBB120_1433
; %bb.1432:
	global_load_dword v2, v[4:5], off
	s_waitcnt vmcnt(0)
	v_cvt_f32_f16_e32 v8, v2
.LBB120_1433:
	s_cbranch_execnz .LBB120_1444
.LBB120_1434:
	v_cmp_gt_i16_e32 vcc, 6, v3
	s_cbranch_vccnz .LBB120_1437
; %bb.1435:
	v_cmp_lt_i16_e32 vcc, 6, v3
	s_cbranch_vccz .LBB120_1438
; %bb.1436:
	global_load_dwordx2 v[8:9], v[4:5], off
	s_mov_b64 s[12:13], 0
	s_waitcnt vmcnt(0)
	v_cvt_f32_f64_e32 v8, v[8:9]
	s_branch .LBB120_1439
.LBB120_1437:
	s_mov_b64 s[12:13], -1
                                        ; implicit-def: $vgpr8
	s_branch .LBB120_1442
.LBB120_1438:
	s_mov_b64 s[12:13], -1
                                        ; implicit-def: $vgpr8
.LBB120_1439:
	s_andn2_b64 vcc, exec, s[12:13]
	s_cbranch_vccnz .LBB120_1441
; %bb.1440:
	global_load_dword v8, v[4:5], off
.LBB120_1441:
	s_mov_b64 s[12:13], 0
.LBB120_1442:
	s_andn2_b64 vcc, exec, s[12:13]
	s_cbranch_vccnz .LBB120_1444
; %bb.1443:
	global_load_ushort v2, v[4:5], off
	s_waitcnt vmcnt(0)
	v_cvt_f32_f16_e32 v8, v2
.LBB120_1444:
	s_cbranch_execnz .LBB120_1463
.LBB120_1445:
	v_cmp_gt_i16_e32 vcc, 2, v3
	s_cbranch_vccnz .LBB120_1449
; %bb.1446:
	v_cmp_gt_i16_e32 vcc, 3, v3
	s_cbranch_vccnz .LBB120_1450
; %bb.1447:
	v_cmp_lt_i16_e32 vcc, 3, v3
	s_cbranch_vccz .LBB120_1451
; %bb.1448:
	global_load_dwordx2 v[8:9], v[4:5], off
	s_mov_b64 s[12:13], 0
	s_waitcnt vmcnt(0)
	v_xor_b32_e32 v7, v8, v9
	v_ffbh_i32_e32 v2, v9
	v_ashrrev_i32_e32 v7, 31, v7
	v_add_u32_e32 v2, -1, v2
	v_add_u32_e32 v7, 32, v7
	v_min_u32_e32 v2, v2, v7
	v_lshlrev_b64 v[8:9], v2, v[8:9]
	v_min_u32_e32 v7, 1, v8
	v_or_b32_e32 v7, v9, v7
	v_cvt_f32_i32_e32 v7, v7
	v_sub_u32_e32 v2, 32, v2
	v_ldexp_f32 v8, v7, v2
	s_branch .LBB120_1452
.LBB120_1449:
                                        ; implicit-def: $vgpr8
	s_branch .LBB120_1458
.LBB120_1450:
	s_mov_b64 s[12:13], -1
                                        ; implicit-def: $vgpr8
	s_branch .LBB120_1455
.LBB120_1451:
	s_mov_b64 s[12:13], -1
                                        ; implicit-def: $vgpr8
.LBB120_1452:
	s_andn2_b64 vcc, exec, s[12:13]
	s_cbranch_vccnz .LBB120_1454
; %bb.1453:
	global_load_dword v2, v[4:5], off
	s_waitcnt vmcnt(0)
	v_cvt_f32_i32_e32 v8, v2
.LBB120_1454:
	s_mov_b64 s[12:13], 0
.LBB120_1455:
	s_andn2_b64 vcc, exec, s[12:13]
	s_cbranch_vccnz .LBB120_1457
; %bb.1456:
	global_load_sshort v2, v[4:5], off
	s_waitcnt vmcnt(0)
	v_cvt_f32_i32_e32 v8, v2
.LBB120_1457:
	s_cbranch_execnz .LBB120_1463
.LBB120_1458:
	v_cmp_lt_i16_e32 vcc, 0, v3
	s_cbranch_vccz .LBB120_1460
; %bb.1459:
	global_load_sbyte v2, v[4:5], off
	s_mov_b64 s[12:13], 0
	s_waitcnt vmcnt(0)
	v_cvt_f32_i32_e32 v8, v2
	s_branch .LBB120_1461
.LBB120_1460:
	s_mov_b64 s[12:13], -1
                                        ; implicit-def: $vgpr8
.LBB120_1461:
	s_andn2_b64 vcc, exec, s[12:13]
	s_cbranch_vccnz .LBB120_1463
; %bb.1462:
	global_load_ubyte v2, v[4:5], off
	s_waitcnt vmcnt(0)
	v_cvt_f32_ubyte0_e32 v8, v2
.LBB120_1463:
	s_or_b64 s[16:17], s[16:17], exec
.LBB120_1464:
	s_or_b64 exec, exec, s[0:1]
	s_mov_b64 s[18:19], 0
	s_mov_b64 s[14:15], 0
                                        ; implicit-def: $vgpr7
                                        ; implicit-def: $vgpr2_vgpr3
                                        ; implicit-def: $vgpr4
	s_and_saveexec_b64 s[12:13], s[16:17]
	s_cbranch_execz .LBB120_1482
; %bb.1465:
	v_mov_b32_e32 v3, s9
	v_add_co_u32_e32 v2, vcc, s8, v0
	v_addc_co_u32_e32 v3, vcc, 0, v3, vcc
	s_waitcnt vmcnt(0)
	v_and_b32_e32 v7, 0xff, v6
	s_brev_b32 s0, -2
	v_cmp_gt_i16_e32 vcc, 11, v7
	v_bfi_b32 v4, s0, v1, v8
	s_cbranch_vccnz .LBB120_1485
; %bb.1466:
	v_cmp_lt_i16_e32 vcc, 25, v7
	s_mov_b64 s[14:15], -1
	s_mov_b64 s[0:1], s[36:37]
	s_cbranch_vccz .LBB120_1503
; %bb.1467:
	v_cmp_lt_i16_e32 vcc, 28, v7
	s_mov_b64 s[8:9], -1
	s_mov_b64 s[0:1], s[36:37]
	s_cbranch_vccz .LBB120_1487
; %bb.1468:
	v_cmp_lt_i16_e32 vcc, 43, v7
	s_mov_b64 s[0:1], s[36:37]
	s_cbranch_vccz .LBB120_1479
; %bb.1469:
	v_cmp_lt_i16_e32 vcc, 45, v7
	s_mov_b64 s[0:1], s[36:37]
	s_cbranch_vccz .LBB120_1473
; %bb.1470:
	v_cmp_eq_u16_e32 vcc, 46, v7
	s_mov_b64 s[0:1], -1
	s_cbranch_vccz .LBB120_1472
; %bb.1471:
	v_bfe_u32 v0, v4, 16, 1
	s_movk_i32 s0, 0x7fff
	v_add3_u32 v0, v4, v0, s0
	v_lshrrev_b32_e32 v0, 16, v0
	v_mov_b32_e32 v5, 0x7fc0
	v_cmp_o_f32_e32 vcc, v4, v4
	v_cndmask_b32_e32 v0, v5, v0, vcc
	global_store_dword v[2:3], v0, off
	s_mov_b64 s[0:1], 0
.LBB120_1472:
	s_mov_b64 s[8:9], 0
.LBB120_1473:
	s_and_b64 vcc, exec, s[8:9]
	s_cbranch_vccz .LBB120_1478
; %bb.1474:
	v_cmp_eq_u16_e32 vcc, 44, v7
	s_mov_b64 s[0:1], -1
	s_cbranch_vccz .LBB120_1478
; %bb.1475:
	v_bfe_u32 v0, v4, 23, 8
	s_movk_i32 s0, 0xff
	v_cmp_ne_u32_e32 vcc, s0, v0
	v_mov_b32_e32 v5, 0xff
	s_and_saveexec_b64 s[8:9], vcc
; %bb.1476:
	s_mov_b32 s0, 0x3fffff
	v_and_b32_e32 v6, 0x400000, v4
	v_and_or_b32 v0, v4, s0, v0
	v_cmp_ne_u32_e32 vcc, 0, v6
	v_cmp_ne_u32_e64 s[0:1], 0, v0
	s_and_b64 s[0:1], vcc, s[0:1]
	v_lshrrev_b32_e32 v5, 23, v4
	v_cndmask_b32_e64 v0, 0, 1, s[0:1]
	v_add_u32_e32 v5, v5, v0
; %bb.1477:
	s_or_b64 exec, exec, s[8:9]
	s_mov_b64 s[0:1], 0
	global_store_byte v[2:3], v5, off
.LBB120_1478:
	s_mov_b64 s[8:9], 0
.LBB120_1479:
	s_and_b64 vcc, exec, s[8:9]
	s_cbranch_vccz .LBB120_1486
; %bb.1480:
	v_cmp_eq_u16_e32 vcc, 29, v7
	s_mov_b64 s[0:1], -1
	s_cbranch_vccz .LBB120_1486
; %bb.1481:
	v_trunc_f32_e32 v0, v4
	v_mul_f32_e32 v5, 0x2f800000, v0
	v_floor_f32_e32 v5, v5
	v_fmac_f32_e32 v0, 0xcf800000, v5
	v_cvt_u32_f32_e32 v9, v5
	v_cvt_u32_f32_e32 v8, v0
	s_mov_b64 s[0:1], 0
	s_mov_b64 s[8:9], 0
	global_store_dwordx2 v[2:3], v[8:9], off
	s_branch .LBB120_1487
.LBB120_1482:
	s_or_b64 exec, exec, s[12:13]
	s_and_saveexec_b64 s[0:1], s[36:37]
	s_cbranch_execnz .LBB120_1545
.LBB120_1483:
	s_or_b64 exec, exec, s[0:1]
	s_and_saveexec_b64 s[0:1], s[18:19]
	s_xor_b64 s[0:1], exec, s[0:1]
	s_cbranch_execz .LBB120_1546
.LBB120_1484:
	v_cmp_neq_f32_e32 vcc, 0, v4
	v_cndmask_b32_e64 v0, 0, 1, vcc
	global_store_byte v[2:3], v0, off
	s_or_b64 exec, exec, s[0:1]
	s_and_saveexec_b64 s[0:1], s[14:15]
	s_xor_b64 s[0:1], exec, s[0:1]
	s_cbranch_execz .LBB120_1584
	s_branch .LBB120_1547
.LBB120_1485:
	s_mov_b64 s[16:17], 0
	s_mov_b64 s[8:9], -1
	s_mov_b64 s[0:1], s[36:37]
	s_branch .LBB120_1544
.LBB120_1486:
	s_mov_b64 s[8:9], 0
.LBB120_1487:
	s_and_b64 vcc, exec, s[8:9]
	s_cbranch_vccz .LBB120_1502
; %bb.1488:
	v_cmp_gt_i16_e32 vcc, 27, v7
	s_mov_b64 s[8:9], -1
	s_cbranch_vccnz .LBB120_1494
; %bb.1489:
	v_cmp_lt_i16_e32 vcc, 27, v7
	s_cbranch_vccz .LBB120_1491
; %bb.1490:
	v_cvt_u32_f32_e32 v0, v4
	s_mov_b64 s[8:9], 0
	global_store_dword v[2:3], v0, off
.LBB120_1491:
	s_andn2_b64 vcc, exec, s[8:9]
	s_cbranch_vccnz .LBB120_1493
; %bb.1492:
	v_cvt_u32_f32_e32 v0, v4
	global_store_short v[2:3], v0, off
.LBB120_1493:
	s_mov_b64 s[8:9], 0
.LBB120_1494:
	s_andn2_b64 vcc, exec, s[8:9]
	s_cbranch_vccnz .LBB120_1502
; %bb.1495:
	v_and_b32_e32 v0, 0x7fffffff, v1
	s_mov_b32 s8, 0x43800000
	v_cmp_gt_u32_e32 vcc, s8, v0
	v_mov_b32_e32 v5, 0x80
	s_and_saveexec_b64 s[8:9], vcc
	s_cbranch_execz .LBB120_1501
; %bb.1496:
	s_mov_b32 s14, 0x3bffffff
	v_cmp_lt_u32_e32 vcc, s14, v0
	s_mov_b64 s[14:15], 0
                                        ; implicit-def: $vgpr0
	s_and_saveexec_b64 s[16:17], vcc
	s_xor_b64 s[16:17], exec, s[16:17]
	s_cbranch_execz .LBB120_1639
; %bb.1497:
	v_bfe_u32 v0, v4, 20, 1
	s_mov_b32 s18, 0x487ffff
	v_add3_u32 v0, v4, v0, s18
	s_mov_b64 s[14:15], exec
	v_lshrrev_b32_e32 v0, 20, v0
	s_or_saveexec_b64 s[16:17], s[16:17]
                                        ; implicit-def: $sgpr18
	s_xor_b64 exec, exec, s[16:17]
	s_cbranch_execnz .LBB120_1640
.LBB120_1498:
	s_or_b64 exec, exec, s[16:17]
	v_mov_b32_e32 v5, s18
	s_and_saveexec_b64 s[16:17], s[14:15]
.LBB120_1499:
	v_lshrrev_b32_e32 v5, 24, v4
	s_movk_i32 s14, 0x80
	v_and_or_b32 v5, v5, s14, v0
.LBB120_1500:
	s_or_b64 exec, exec, s[16:17]
.LBB120_1501:
	s_or_b64 exec, exec, s[8:9]
	global_store_byte v[2:3], v5, off
.LBB120_1502:
	s_mov_b64 s[14:15], 0
.LBB120_1503:
	s_mov_b64 s[8:9], 0
	s_and_b64 vcc, exec, s[14:15]
	s_cbranch_vccz .LBB120_1543
; %bb.1504:
	v_cmp_lt_i16_e32 vcc, 22, v7
	s_mov_b64 s[14:15], -1
	s_cbranch_vccz .LBB120_1536
; %bb.1505:
	v_cmp_gt_i16_e32 vcc, 24, v7
	s_cbranch_vccnz .LBB120_1525
; %bb.1506:
	v_cmp_lt_i16_e32 vcc, 24, v7
	s_cbranch_vccz .LBB120_1514
; %bb.1507:
	v_and_b32_e32 v0, 0x7fffffff, v1
	s_mov_b32 s14, 0x47800000
	v_cmp_gt_u32_e32 vcc, s14, v0
	v_mov_b32_e32 v5, 0x80
	s_and_saveexec_b64 s[14:15], vcc
	s_cbranch_execz .LBB120_1513
; %bb.1508:
	s_mov_b32 s16, 0x37ffffff
	v_cmp_lt_u32_e32 vcc, s16, v0
	s_mov_b64 s[16:17], 0
                                        ; implicit-def: $vgpr0
	s_and_saveexec_b64 s[18:19], vcc
	s_xor_b64 s[18:19], exec, s[18:19]
	s_cbranch_execz .LBB120_1764
; %bb.1509:
	v_bfe_u32 v0, v4, 21, 1
	s_mov_b32 s24, 0x88fffff
	v_add3_u32 v0, v4, v0, s24
	s_mov_b64 s[16:17], exec
	v_lshrrev_b32_e32 v0, 21, v0
	s_or_saveexec_b64 s[18:19], s[18:19]
                                        ; implicit-def: $sgpr24
	s_xor_b64 exec, exec, s[18:19]
	s_cbranch_execnz .LBB120_1765
.LBB120_1510:
	s_or_b64 exec, exec, s[18:19]
	v_mov_b32_e32 v5, s24
	s_and_saveexec_b64 s[18:19], s[16:17]
.LBB120_1511:
	v_lshrrev_b32_e32 v5, 24, v4
	s_movk_i32 s16, 0x80
	v_and_or_b32 v5, v5, s16, v0
.LBB120_1512:
	s_or_b64 exec, exec, s[18:19]
.LBB120_1513:
	s_or_b64 exec, exec, s[14:15]
	s_mov_b64 s[14:15], 0
	global_store_byte v[2:3], v5, off
.LBB120_1514:
	s_and_b64 vcc, exec, s[14:15]
	s_cbranch_vccz .LBB120_1524
; %bb.1515:
	v_and_b32_e32 v5, 0x7fffffff, v1
	s_mov_b32 s14, 0x43f00000
	v_cmp_gt_u32_e32 vcc, s14, v5
                                        ; implicit-def: $vgpr0
	s_and_saveexec_b64 s[14:15], vcc
	s_xor_b64 s[14:15], exec, s[14:15]
	s_cbranch_execz .LBB120_1521
; %bb.1516:
	s_mov_b32 s16, 0x3c7fffff
	v_cmp_lt_u32_e32 vcc, s16, v5
                                        ; implicit-def: $vgpr0
	s_and_saveexec_b64 s[16:17], vcc
	s_xor_b64 s[16:17], exec, s[16:17]
; %bb.1517:
	v_bfe_u32 v0, v4, 20, 1
	s_mov_b32 s18, 0x407ffff
	v_add3_u32 v0, v4, v0, s18
	v_lshrrev_b32_e32 v5, 20, v0
	v_and_b32_e32 v0, 0xff00000, v0
	s_mov_b32 s18, 0x7f00000
	v_mov_b32_e32 v6, 0x7e
	v_cmp_ne_u32_e32 vcc, s18, v0
	v_cndmask_b32_e32 v0, v6, v5, vcc
; %bb.1518:
	s_andn2_saveexec_b64 s[16:17], s[16:17]
; %bb.1519:
	s_mov_b32 s18, 0x46800000
	v_add_f32_e64 v0, |v1|, s18
; %bb.1520:
	s_or_b64 exec, exec, s[16:17]
                                        ; implicit-def: $vgpr5
.LBB120_1521:
	s_andn2_saveexec_b64 s[14:15], s[14:15]
; %bb.1522:
	s_mov_b32 s16, 0x7f800000
	v_mov_b32_e32 v0, 0x7e
	v_mov_b32_e32 v6, 0x7f
	v_cmp_lt_u32_e32 vcc, s16, v5
	v_cndmask_b32_e32 v0, v0, v6, vcc
; %bb.1523:
	s_or_b64 exec, exec, s[14:15]
	v_lshrrev_b32_e32 v5, 24, v4
	s_movk_i32 s14, 0x80
	v_and_or_b32 v0, v5, s14, v0
	global_store_byte v[2:3], v0, off
.LBB120_1524:
	s_mov_b64 s[14:15], 0
.LBB120_1525:
	s_andn2_b64 vcc, exec, s[14:15]
	s_cbranch_vccnz .LBB120_1535
; %bb.1526:
	v_and_b32_e32 v5, 0x7fffffff, v1
	s_mov_b32 s14, 0x47800000
	v_cmp_gt_u32_e32 vcc, s14, v5
                                        ; implicit-def: $vgpr0
	s_and_saveexec_b64 s[14:15], vcc
	s_xor_b64 s[14:15], exec, s[14:15]
	s_cbranch_execz .LBB120_1532
; %bb.1527:
	s_mov_b32 s16, 0x387fffff
	v_cmp_lt_u32_e32 vcc, s16, v5
                                        ; implicit-def: $vgpr0
	s_and_saveexec_b64 s[16:17], vcc
	s_xor_b64 s[16:17], exec, s[16:17]
; %bb.1528:
	v_bfe_u32 v0, v4, 21, 1
	s_mov_b32 s18, 0x80fffff
	v_add3_u32 v0, v4, v0, s18
	v_lshrrev_b32_e32 v0, 21, v0
                                        ; implicit-def: $vgpr1
; %bb.1529:
	s_andn2_saveexec_b64 s[16:17], s[16:17]
; %bb.1530:
	s_mov_b32 s18, 0x43000000
	v_add_f32_e64 v0, |v1|, s18
; %bb.1531:
	s_or_b64 exec, exec, s[16:17]
                                        ; implicit-def: $vgpr5
.LBB120_1532:
	s_andn2_saveexec_b64 s[14:15], s[14:15]
; %bb.1533:
	s_mov_b32 s16, 0x7f800000
	v_mov_b32_e32 v0, 0x7c
	v_mov_b32_e32 v1, 0x7f
	v_cmp_lt_u32_e32 vcc, s16, v5
	v_cndmask_b32_e32 v0, v0, v1, vcc
; %bb.1534:
	s_or_b64 exec, exec, s[14:15]
	v_lshrrev_b32_e32 v1, 24, v4
	s_movk_i32 s14, 0x80
	v_and_or_b32 v0, v1, s14, v0
	global_store_byte v[2:3], v0, off
.LBB120_1535:
	s_mov_b64 s[14:15], 0
.LBB120_1536:
	s_andn2_b64 vcc, exec, s[14:15]
	s_mov_b64 s[16:17], 0
	s_cbranch_vccnz .LBB120_1544
; %bb.1537:
	v_cmp_lt_i16_e32 vcc, 14, v7
	s_mov_b64 s[14:15], -1
	s_cbranch_vccz .LBB120_1541
; %bb.1538:
	v_cmp_eq_u16_e32 vcc, 15, v7
	s_mov_b64 s[0:1], -1
	s_cbranch_vccz .LBB120_1540
; %bb.1539:
	v_bfe_u32 v0, v4, 16, 1
	s_movk_i32 s0, 0x7fff
	v_add3_u32 v0, v4, v0, s0
	v_lshrrev_b32_e32 v0, 16, v0
	v_mov_b32_e32 v1, 0x7fc0
	v_cmp_o_f32_e32 vcc, v4, v4
	v_cndmask_b32_e32 v0, v1, v0, vcc
	global_store_short v[2:3], v0, off
	s_mov_b64 s[0:1], 0
.LBB120_1540:
	s_mov_b64 s[14:15], 0
.LBB120_1541:
	s_and_b64 vcc, exec, s[14:15]
	s_cbranch_vccz .LBB120_1544
; %bb.1542:
	v_cmp_ne_u16_e32 vcc, 11, v7
	s_andn2_b64 s[0:1], s[0:1], exec
	s_and_b64 s[14:15], vcc, exec
	s_mov_b64 s[16:17], -1
	s_or_b64 s[0:1], s[0:1], s[14:15]
	s_branch .LBB120_1544
.LBB120_1543:
	s_mov_b64 s[16:17], 0
.LBB120_1544:
	s_and_b64 s[14:15], s[8:9], exec
	s_andn2_b64 s[8:9], s[36:37], exec
	s_and_b64 s[0:1], s[0:1], exec
	s_and_b64 s[18:19], s[16:17], exec
	s_or_b64 s[36:37], s[8:9], s[0:1]
	s_or_b64 exec, exec, s[12:13]
	s_and_saveexec_b64 s[0:1], s[36:37]
	s_cbranch_execz .LBB120_1483
.LBB120_1545:
	s_or_b64 s[10:11], s[10:11], exec
	s_andn2_b64 s[18:19], s[18:19], exec
	s_trap 2
	s_or_b64 exec, exec, s[0:1]
	s_and_saveexec_b64 s[0:1], s[18:19]
	s_xor_b64 s[0:1], exec, s[0:1]
	s_cbranch_execnz .LBB120_1484
.LBB120_1546:
	s_or_b64 exec, exec, s[0:1]
	s_and_saveexec_b64 s[0:1], s[14:15]
	s_xor_b64 s[0:1], exec, s[0:1]
	s_cbranch_execz .LBB120_1584
.LBB120_1547:
	s_waitcnt vmcnt(0)
	v_cmp_gt_i16_e32 vcc, 5, v7
	s_mov_b64 s[8:9], -1
	s_cbranch_vccnz .LBB120_1568
; %bb.1548:
	v_cmp_gt_i16_e32 vcc, 8, v7
	s_cbranch_vccnz .LBB120_1558
; %bb.1549:
	v_cmp_gt_i16_e32 vcc, 9, v7
	s_cbranch_vccnz .LBB120_1555
; %bb.1550:
	v_cmp_lt_i16_e32 vcc, 9, v7
	s_cbranch_vccz .LBB120_1552
; %bb.1551:
	v_mov_b32_e32 v10, 0
	v_cvt_f64_f32_e32 v[8:9], v4
	v_mov_b32_e32 v11, v10
	s_mov_b64 s[8:9], 0
	global_store_dwordx4 v[2:3], v[8:11], off
.LBB120_1552:
	s_andn2_b64 vcc, exec, s[8:9]
	s_cbranch_vccnz .LBB120_1554
; %bb.1553:
	v_mov_b32_e32 v5, 0
	global_store_dwordx2 v[2:3], v[4:5], off
.LBB120_1554:
	s_mov_b64 s[8:9], 0
.LBB120_1555:
	s_andn2_b64 vcc, exec, s[8:9]
	s_cbranch_vccnz .LBB120_1557
; %bb.1556:
	v_cvt_f16_f32_e32 v0, v4
	global_store_dword v[2:3], v0, off
.LBB120_1557:
	s_mov_b64 s[8:9], 0
.LBB120_1558:
	s_andn2_b64 vcc, exec, s[8:9]
	s_cbranch_vccnz .LBB120_1567
; %bb.1559:
	v_cmp_gt_i16_e32 vcc, 6, v7
	s_mov_b64 s[8:9], -1
	s_cbranch_vccnz .LBB120_1565
; %bb.1560:
	v_cmp_lt_i16_e32 vcc, 6, v7
	s_cbranch_vccz .LBB120_1562
; %bb.1561:
	v_cvt_f64_f32_e32 v[0:1], v4
	s_mov_b64 s[8:9], 0
	global_store_dwordx2 v[2:3], v[0:1], off
.LBB120_1562:
	s_andn2_b64 vcc, exec, s[8:9]
	s_cbranch_vccnz .LBB120_1564
; %bb.1563:
	global_store_dword v[2:3], v4, off
.LBB120_1564:
	s_mov_b64 s[8:9], 0
.LBB120_1565:
	s_andn2_b64 vcc, exec, s[8:9]
	s_cbranch_vccnz .LBB120_1567
; %bb.1566:
	v_cvt_f16_f32_e32 v0, v4
	global_store_short v[2:3], v0, off
.LBB120_1567:
	s_mov_b64 s[8:9], 0
.LBB120_1568:
	s_andn2_b64 vcc, exec, s[8:9]
	s_cbranch_vccnz .LBB120_1584
; %bb.1569:
	v_cmp_gt_i16_e32 vcc, 2, v7
	s_mov_b64 s[8:9], -1
	s_cbranch_vccnz .LBB120_1579
; %bb.1570:
	v_cmp_gt_i16_e32 vcc, 3, v7
	s_cbranch_vccnz .LBB120_1576
; %bb.1571:
	v_cmp_lt_i16_e32 vcc, 3, v7
	s_cbranch_vccz .LBB120_1573
; %bb.1572:
	v_trunc_f32_e32 v0, v4
	s_mov_b32 s8, 0x2f800000
	v_mul_f32_e64 v1, |v0|, s8
	v_floor_f32_e32 v1, v1
	s_mov_b32 s8, 0xcf800000
	v_cvt_u32_f32_e32 v5, v1
	v_fma_f32 v1, v1, s8, |v0|
	v_cvt_u32_f32_e32 v1, v1
	v_ashrrev_i32_e32 v6, 31, v0
	v_xor_b32_e32 v5, v5, v6
	s_mov_b64 s[8:9], 0
	v_xor_b32_e32 v0, v1, v6
	v_sub_co_u32_e32 v0, vcc, v0, v6
	v_subb_co_u32_e32 v1, vcc, v5, v6, vcc
	global_store_dwordx2 v[2:3], v[0:1], off
.LBB120_1573:
	s_andn2_b64 vcc, exec, s[8:9]
	s_cbranch_vccnz .LBB120_1575
; %bb.1574:
	v_cvt_i32_f32_e32 v0, v4
	global_store_dword v[2:3], v0, off
.LBB120_1575:
	s_mov_b64 s[8:9], 0
.LBB120_1576:
	s_andn2_b64 vcc, exec, s[8:9]
	s_cbranch_vccnz .LBB120_1578
; %bb.1577:
	v_cvt_i32_f32_e32 v0, v4
	global_store_short v[2:3], v0, off
.LBB120_1578:
	s_mov_b64 s[8:9], 0
.LBB120_1579:
	s_andn2_b64 vcc, exec, s[8:9]
	s_cbranch_vccnz .LBB120_1584
; %bb.1580:
	v_cmp_lt_i16_e32 vcc, 0, v7
	s_mov_b64 s[8:9], -1
	s_cbranch_vccz .LBB120_1582
; %bb.1581:
	v_cvt_i32_f32_e32 v0, v4
	s_mov_b64 s[8:9], 0
	global_store_byte v[2:3], v0, off
.LBB120_1582:
	s_andn2_b64 vcc, exec, s[8:9]
	s_cbranch_vccnz .LBB120_1584
; %bb.1583:
	v_trunc_f32_e32 v0, v4
	s_mov_b32 s8, 0x2f800000
	v_mul_f32_e64 v1, |v0|, s8
	v_floor_f32_e32 v1, v1
	s_mov_b32 s8, 0xcf800000
	v_fma_f32 v1, v1, s8, |v0|
	v_cvt_u32_f32_e32 v1, v1
	v_ashrrev_i32_e32 v0, 31, v0
	v_xor_b32_e32 v1, v1, v0
	v_sub_u32_e32 v0, v1, v0
	global_store_byte v[2:3], v0, off
.LBB120_1584:
	s_or_b64 exec, exec, s[0:1]
	s_and_b64 s[12:13], s[10:11], exec
                                        ; implicit-def: $vgpr24
                                        ; implicit-def: $vgpr8
.LBB120_1585:
	s_or_saveexec_b64 s[14:15], s[22:23]
	s_mov_b64 s[0:1], 0
                                        ; implicit-def: $vgpr0_vgpr1
                                        ; implicit-def: $vgpr4
                                        ; implicit-def: $vgpr2
	s_xor_b64 exec, exec, s[14:15]
	s_cbranch_execz .LBB120_3115
; %bb.1586:
	v_cndmask_b32_e64 v0, 0, 1, s[20:21]
	v_cmp_ne_u32_e64 s[0:1], 1, v0
	s_andn2_b64 vcc, exec, s[20:21]
	s_cbranch_vccnz .LBB120_1592
; %bb.1587:
	s_cmp_lg_u32 s33, 0
	v_mov_b32_e32 v20, 0
	v_mov_b32_e32 v22, 0
	;; [unrolled: 1-line block ×3, first 2 shown]
	s_cbranch_scc0 .LBB120_1593
; %bb.1588:
	s_min_u32 s8, s68, 15
	s_add_i32 s6, s8, 1
	s_and_b32 s9, s6, 30
	s_add_u32 s6, s2, 0xffffffec
	s_addc_u32 s7, s3, -1
	v_mov_b32_e32 v6, 0
	s_waitcnt vmcnt(0)
	v_mov_b32_e32 v0, v8
	v_mov_b32_e32 v22, 0
	;; [unrolled: 1-line block ×3, first 2 shown]
.LBB120_1589:                           ; =>This Inner Loop Header: Depth=1
	s_mov_b64 s[10:11], s[6:7]
	s_load_dwordx4 s[16:19], s[10:11], 0x18
	s_load_dwordx2 s[24:25], s[10:11], 0x28
	s_load_dwordx2 s[26:27], s[10:11], 0xe8
	s_load_dwordx4 s[20:23], s[10:11], 0xd8
	s_add_u32 s6, s10, 24
	s_waitcnt lgkmcnt(0)
	v_mul_hi_u32 v1, s17, v0
	v_add_u32_e32 v1, v0, v1
	v_lshrrev_b32_e32 v1, s18, v1
	v_mul_lo_u32 v2, v1, s16
	v_mul_hi_u32 v3, s24, v1
	v_sub_u32_e32 v0, v0, v2
	v_add_u32_e32 v2, v1, v3
	v_mul_lo_u32 v3, v0, s20
	v_mul_lo_u32 v4, v0, s21
	v_mul_lo_u32 v5, v0, s22
	v_lshrrev_b32_e32 v0, s25, v2
	v_mul_lo_u32 v2, v0, s19
	v_sub_u32_e32 v1, v1, v2
	s_addc_u32 s7, s11, 0
	s_add_i32 s9, s9, -2
	v_mul_lo_u32 v2, v1, s23
	v_mul_lo_u32 v7, v1, s26
	;; [unrolled: 1-line block ×3, first 2 shown]
	s_cmp_lg_u32 s9, 0
	v_add3_u32 v6, v3, v6, v2
	v_add3_u32 v20, v5, v20, v1
	v_add3_u32 v22, v4, v22, v7
	s_cbranch_scc1 .LBB120_1589
; %bb.1590:
	s_bitcmp1_b32 s8, 0
	s_cselect_b64 s[8:9], -1, 0
	s_and_b64 vcc, exec, s[8:9]
	s_cbranch_vccnz .LBB120_1593
; %bb.1591:
	s_load_dwordx2 s[8:9], s[6:7], 0x18
	s_load_dword s16, s[6:7], 0x20
	s_load_dword s17, s[6:7], 0xe0
	s_load_dwordx2 s[10:11], s[6:7], 0xd8
	s_waitcnt lgkmcnt(0)
	v_mul_hi_u32 v1, s9, v0
	v_add_u32_e32 v1, v0, v1
	v_lshrrev_b32_e32 v1, s16, v1
	v_mul_lo_u32 v1, v1, s8
	v_sub_u32_e32 v0, v0, v1
	v_mad_u64_u32 v[6:7], s[6:7], v0, s10, v[6:7]
	v_mad_u64_u32 v[22:23], s[6:7], v0, s11, v[22:23]
	;; [unrolled: 1-line block ×3, first 2 shown]
	s_cbranch_execz .LBB120_1594
	s_branch .LBB120_1596
.LBB120_1592:
                                        ; implicit-def: $vgpr20
                                        ; implicit-def: $vgpr22
                                        ; implicit-def: $vgpr6
	s_branch .LBB120_1594
.LBB120_1593:
	s_cbranch_execnz .LBB120_1596
.LBB120_1594:
	s_load_dwordx4 s[8:11], s[2:3], 0x4
	s_load_dwordx4 s[16:19], s[2:3], 0xc4
	s_cmp_lt_u32 s33, 2
	s_waitcnt vmcnt(0) lgkmcnt(0)
	v_mul_hi_u32 v0, s9, v8
	v_add_u32_e32 v0, v8, v0
	v_lshrrev_b32_e32 v0, s10, v0
	v_mul_lo_u32 v1, v0, s8
	v_sub_u32_e32 v1, v8, v1
	v_mul_lo_u32 v6, v1, s16
	v_mul_lo_u32 v20, v1, s18
	;; [unrolled: 1-line block ×3, first 2 shown]
	s_cbranch_scc1 .LBB120_1596
; %bb.1595:
	s_load_dwordx4 s[8:11], s[2:3], 0x10
	s_load_dwordx4 s[16:19], s[2:3], 0xd0
	s_waitcnt lgkmcnt(0)
	v_mul_hi_u32 v1, s9, v0
	v_add_u32_e32 v1, v0, v1
	v_lshrrev_b32_e32 v1, s10, v1
	v_mul_lo_u32 v1, v1, s8
	v_sub_u32_e32 v0, v0, v1
	v_mad_u64_u32 v[6:7], s[6:7], v0, s16, v[6:7]
	v_mad_u64_u32 v[22:23], s[6:7], v0, s17, v[22:23]
	;; [unrolled: 1-line block ×3, first 2 shown]
.LBB120_1596:
	s_and_b64 vcc, exec, s[0:1]
	s_waitcnt vmcnt(0)
	v_add_u32_e32 v0, 0x80, v8
	s_cbranch_vccnz .LBB120_1602
; %bb.1597:
	s_cmp_lg_u32 s33, 0
	v_mov_b32_e32 v16, 0
	v_mov_b32_e32 v18, 0
	;; [unrolled: 1-line block ×3, first 2 shown]
	s_cbranch_scc0 .LBB120_1603
; %bb.1598:
	s_min_u32 s8, s68, 15
	s_add_i32 s6, s8, 1
	s_and_b32 s9, s6, 30
	s_add_u32 s6, s2, 0xffffffec
	s_addc_u32 s7, s3, -1
	v_mov_b32_e32 v4, 0
	v_mov_b32_e32 v1, v0
	;; [unrolled: 1-line block ×4, first 2 shown]
.LBB120_1599:                           ; =>This Inner Loop Header: Depth=1
	s_mov_b64 s[10:11], s[6:7]
	s_load_dwordx4 s[16:19], s[10:11], 0x18
	s_load_dwordx2 s[24:25], s[10:11], 0x28
	s_load_dwordx2 s[26:27], s[10:11], 0xe8
	s_load_dwordx4 s[20:23], s[10:11], 0xd8
	s_add_u32 s6, s10, 24
	s_waitcnt lgkmcnt(0)
	v_mul_hi_u32 v2, s17, v1
	v_add_u32_e32 v2, v1, v2
	v_lshrrev_b32_e32 v2, s18, v2
	v_mul_lo_u32 v3, v2, s16
	v_mul_hi_u32 v5, s24, v2
	v_sub_u32_e32 v1, v1, v3
	v_add_u32_e32 v3, v2, v5
	v_mul_lo_u32 v5, v1, s20
	v_mul_lo_u32 v7, v1, s21
	;; [unrolled: 1-line block ×3, first 2 shown]
	v_lshrrev_b32_e32 v1, s25, v3
	v_mul_lo_u32 v3, v1, s19
	v_sub_u32_e32 v2, v2, v3
	s_addc_u32 s7, s11, 0
	s_add_i32 s9, s9, -2
	v_mul_lo_u32 v3, v2, s23
	v_mul_lo_u32 v10, v2, s26
	;; [unrolled: 1-line block ×3, first 2 shown]
	s_cmp_lg_u32 s9, 0
	v_add3_u32 v4, v5, v4, v3
	v_add3_u32 v16, v9, v16, v2
	;; [unrolled: 1-line block ×3, first 2 shown]
	s_cbranch_scc1 .LBB120_1599
; %bb.1600:
	s_bitcmp1_b32 s8, 0
	s_cselect_b64 s[8:9], -1, 0
	s_and_b64 vcc, exec, s[8:9]
	s_cbranch_vccnz .LBB120_1603
; %bb.1601:
	s_load_dwordx2 s[8:9], s[6:7], 0x18
	s_load_dword s16, s[6:7], 0x20
	s_load_dword s17, s[6:7], 0xe0
	s_load_dwordx2 s[10:11], s[6:7], 0xd8
	s_waitcnt lgkmcnt(0)
	v_mul_hi_u32 v2, s9, v1
	v_add_u32_e32 v2, v1, v2
	v_lshrrev_b32_e32 v2, s16, v2
	v_mul_lo_u32 v2, v2, s8
	v_sub_u32_e32 v1, v1, v2
	v_mad_u64_u32 v[4:5], s[6:7], v1, s10, v[4:5]
	v_mad_u64_u32 v[18:19], s[6:7], v1, s11, v[18:19]
	;; [unrolled: 1-line block ×3, first 2 shown]
	s_cbranch_execz .LBB120_1604
	s_branch .LBB120_1606
.LBB120_1602:
                                        ; implicit-def: $vgpr16
                                        ; implicit-def: $vgpr18
                                        ; implicit-def: $vgpr4
	s_branch .LBB120_1604
.LBB120_1603:
	s_cbranch_execnz .LBB120_1606
.LBB120_1604:
	s_load_dwordx4 s[8:11], s[2:3], 0x4
	s_load_dwordx4 s[16:19], s[2:3], 0xc4
	s_cmp_lt_u32 s33, 2
	s_waitcnt lgkmcnt(0)
	v_mul_hi_u32 v1, s9, v0
	v_add_u32_e32 v1, v0, v1
	v_lshrrev_b32_e32 v1, s10, v1
	v_mul_lo_u32 v2, v1, s8
	v_sub_u32_e32 v0, v0, v2
	v_mul_lo_u32 v4, v0, s16
	v_mul_lo_u32 v16, v0, s18
	;; [unrolled: 1-line block ×3, first 2 shown]
	s_cbranch_scc1 .LBB120_1606
; %bb.1605:
	s_load_dwordx4 s[8:11], s[2:3], 0x10
	s_load_dwordx4 s[16:19], s[2:3], 0xd0
	s_waitcnt lgkmcnt(0)
	v_mul_hi_u32 v0, s9, v1
	v_add_u32_e32 v0, v1, v0
	v_lshrrev_b32_e32 v0, s10, v0
	v_mul_lo_u32 v0, v0, s8
	v_sub_u32_e32 v0, v1, v0
	v_mad_u64_u32 v[4:5], s[6:7], v0, s16, v[4:5]
	v_mad_u64_u32 v[18:19], s[6:7], v0, s17, v[18:19]
	;; [unrolled: 1-line block ×3, first 2 shown]
.LBB120_1606:
	s_and_b64 vcc, exec, s[0:1]
	v_add_u32_e32 v0, 0x100, v8
	s_cbranch_vccnz .LBB120_1612
; %bb.1607:
	s_cmp_lg_u32 s33, 0
	v_mov_b32_e32 v12, 0
	v_mov_b32_e32 v14, 0
	;; [unrolled: 1-line block ×3, first 2 shown]
	s_cbranch_scc0 .LBB120_1613
; %bb.1608:
	s_min_u32 s8, s68, 15
	s_add_i32 s6, s8, 1
	s_and_b32 s9, s6, 30
	s_add_u32 s6, s2, 0xffffffec
	s_addc_u32 s7, s3, -1
	v_mov_b32_e32 v2, 0
	v_mov_b32_e32 v1, v0
	;; [unrolled: 1-line block ×4, first 2 shown]
.LBB120_1609:                           ; =>This Inner Loop Header: Depth=1
	s_mov_b64 s[10:11], s[6:7]
	s_load_dwordx4 s[16:19], s[10:11], 0x18
	s_load_dwordx2 s[24:25], s[10:11], 0x28
	s_load_dwordx2 s[26:27], s[10:11], 0xe8
	s_load_dwordx4 s[20:23], s[10:11], 0xd8
	s_add_u32 s6, s10, 24
	s_waitcnt lgkmcnt(0)
	v_mul_hi_u32 v3, s17, v1
	v_add_u32_e32 v3, v1, v3
	v_lshrrev_b32_e32 v3, s18, v3
	v_mul_lo_u32 v5, v3, s16
	v_mul_hi_u32 v7, s24, v3
	v_sub_u32_e32 v1, v1, v5
	v_add_u32_e32 v5, v3, v7
	v_mul_lo_u32 v7, v1, s20
	v_mul_lo_u32 v8, v1, s21
	;; [unrolled: 1-line block ×3, first 2 shown]
	v_lshrrev_b32_e32 v1, s25, v5
	v_mul_lo_u32 v5, v1, s19
	v_sub_u32_e32 v3, v3, v5
	s_addc_u32 s7, s11, 0
	s_add_i32 s9, s9, -2
	v_mul_lo_u32 v5, v3, s23
	v_mul_lo_u32 v10, v3, s26
	;; [unrolled: 1-line block ×3, first 2 shown]
	s_cmp_lg_u32 s9, 0
	v_add3_u32 v2, v7, v2, v5
	v_add3_u32 v12, v9, v12, v3
	;; [unrolled: 1-line block ×3, first 2 shown]
	s_cbranch_scc1 .LBB120_1609
; %bb.1610:
	s_bitcmp1_b32 s8, 0
	s_cselect_b64 s[8:9], -1, 0
	s_and_b64 vcc, exec, s[8:9]
	s_cbranch_vccnz .LBB120_1613
; %bb.1611:
	s_load_dwordx2 s[8:9], s[6:7], 0x18
	s_load_dword s16, s[6:7], 0x20
	s_load_dword s17, s[6:7], 0xe0
	s_load_dwordx2 s[10:11], s[6:7], 0xd8
	s_waitcnt lgkmcnt(0)
	v_mul_hi_u32 v3, s9, v1
	v_add_u32_e32 v3, v1, v3
	v_lshrrev_b32_e32 v3, s16, v3
	v_mul_lo_u32 v3, v3, s8
	v_sub_u32_e32 v1, v1, v3
	v_mad_u64_u32 v[2:3], s[6:7], v1, s10, v[2:3]
	v_mad_u64_u32 v[14:15], s[6:7], v1, s11, v[14:15]
	;; [unrolled: 1-line block ×3, first 2 shown]
	s_cbranch_execz .LBB120_1614
	s_branch .LBB120_1616
.LBB120_1612:
                                        ; implicit-def: $vgpr12
                                        ; implicit-def: $vgpr14
                                        ; implicit-def: $vgpr2
	s_branch .LBB120_1614
.LBB120_1613:
	s_cbranch_execnz .LBB120_1616
.LBB120_1614:
	s_load_dwordx4 s[8:11], s[2:3], 0x4
	s_load_dwordx4 s[16:19], s[2:3], 0xc4
	s_cmp_lt_u32 s33, 2
	s_waitcnt lgkmcnt(0)
	v_mul_hi_u32 v1, s9, v0
	v_add_u32_e32 v1, v0, v1
	v_lshrrev_b32_e32 v1, s10, v1
	v_mul_lo_u32 v2, v1, s8
	v_sub_u32_e32 v0, v0, v2
	v_mul_lo_u32 v2, v0, s16
	v_mul_lo_u32 v12, v0, s18
	;; [unrolled: 1-line block ×3, first 2 shown]
	s_cbranch_scc1 .LBB120_1616
; %bb.1615:
	s_load_dwordx4 s[8:11], s[2:3], 0x10
	s_load_dwordx4 s[16:19], s[2:3], 0xd0
	s_waitcnt lgkmcnt(0)
	v_mul_hi_u32 v0, s9, v1
	v_add_u32_e32 v0, v1, v0
	v_lshrrev_b32_e32 v0, s10, v0
	v_mul_lo_u32 v0, v0, s8
	v_sub_u32_e32 v0, v1, v0
	v_mad_u64_u32 v[2:3], s[6:7], v0, s16, v[2:3]
	v_mad_u64_u32 v[14:15], s[6:7], v0, s17, v[14:15]
	;; [unrolled: 1-line block ×3, first 2 shown]
.LBB120_1616:
	s_and_b64 vcc, exec, s[0:1]
	s_cbranch_vccnz .LBB120_1622
; %bb.1617:
	s_cmp_lg_u32 s33, 0
	v_mov_b32_e32 v8, 0
	v_mov_b32_e32 v10, 0
	;; [unrolled: 1-line block ×3, first 2 shown]
	s_cbranch_scc0 .LBB120_1623
; %bb.1618:
	s_min_u32 s6, s68, 15
	s_add_i32 s0, s6, 1
	s_and_b32 s7, s0, 30
	s_add_u32 s0, s2, 0xffffffec
	s_addc_u32 s1, s3, -1
	v_mov_b32_e32 v0, 0
	v_mov_b32_e32 v1, v24
	;; [unrolled: 1-line block ×4, first 2 shown]
.LBB120_1619:                           ; =>This Inner Loop Header: Depth=1
	s_mov_b64 s[20:21], s[0:1]
	s_load_dwordx4 s[8:11], s[20:21], 0x18
	s_load_dwordx2 s[22:23], s[20:21], 0x28
	s_load_dwordx2 s[24:25], s[20:21], 0xe8
	s_load_dwordx4 s[16:19], s[20:21], 0xd8
	s_add_u32 s0, s20, 24
	s_waitcnt lgkmcnt(0)
	v_mul_hi_u32 v3, s9, v1
	v_add_u32_e32 v3, v1, v3
	v_lshrrev_b32_e32 v3, s10, v3
	v_mul_lo_u32 v5, v3, s8
	v_mul_hi_u32 v7, s22, v3
	v_sub_u32_e32 v1, v1, v5
	v_add_u32_e32 v5, v3, v7
	v_mul_lo_u32 v7, v1, s16
	v_mul_lo_u32 v9, v1, s17
	;; [unrolled: 1-line block ×3, first 2 shown]
	v_lshrrev_b32_e32 v1, s23, v5
	v_mul_lo_u32 v5, v1, s11
	v_sub_u32_e32 v3, v3, v5
	s_addc_u32 s1, s21, 0
	s_add_i32 s7, s7, -2
	v_mul_lo_u32 v5, v3, s19
	v_mul_lo_u32 v13, v3, s24
	;; [unrolled: 1-line block ×3, first 2 shown]
	s_cmp_lg_u32 s7, 0
	v_add3_u32 v0, v7, v0, v5
	v_add3_u32 v8, v11, v8, v3
	;; [unrolled: 1-line block ×3, first 2 shown]
	s_cbranch_scc1 .LBB120_1619
; %bb.1620:
	s_bitcmp1_b32 s6, 0
	s_cselect_b64 s[6:7], -1, 0
	s_and_b64 vcc, exec, s[6:7]
	s_cbranch_vccnz .LBB120_1623
; %bb.1621:
	s_load_dwordx2 s[6:7], s[0:1], 0x18
	s_load_dword s10, s[0:1], 0x20
	s_load_dword s11, s[0:1], 0xe0
	s_load_dwordx2 s[8:9], s[0:1], 0xd8
	s_waitcnt lgkmcnt(0)
	v_mul_hi_u32 v3, s7, v1
	v_add_u32_e32 v3, v1, v3
	v_lshrrev_b32_e32 v3, s10, v3
	v_mul_lo_u32 v3, v3, s6
	v_sub_u32_e32 v3, v1, v3
	v_mad_u64_u32 v[0:1], s[0:1], v3, s8, v[0:1]
	v_mad_u64_u32 v[10:11], s[0:1], v3, s9, v[10:11]
	v_mad_u64_u32 v[8:9], s[0:1], v3, s11, v[8:9]
	s_cbranch_execz .LBB120_1624
	s_branch .LBB120_1626
.LBB120_1622:
                                        ; implicit-def: $vgpr8
                                        ; implicit-def: $vgpr10
                                        ; implicit-def: $vgpr0
	s_branch .LBB120_1624
.LBB120_1623:
	s_cbranch_execnz .LBB120_1626
.LBB120_1624:
	s_load_dwordx4 s[8:11], s[2:3], 0x4
	s_load_dwordx4 s[16:19], s[2:3], 0xc4
	s_cmp_lt_u32 s33, 2
	s_waitcnt lgkmcnt(0)
	v_mul_hi_u32 v0, s9, v24
	v_add_u32_e32 v0, v24, v0
	v_lshrrev_b32_e32 v1, s10, v0
	v_mul_lo_u32 v0, v1, s8
	v_sub_u32_e32 v3, v24, v0
	v_mul_lo_u32 v0, v3, s16
	v_mul_lo_u32 v8, v3, s18
	;; [unrolled: 1-line block ×3, first 2 shown]
	s_cbranch_scc1 .LBB120_1626
; %bb.1625:
	s_load_dwordx4 s[8:11], s[2:3], 0x10
	s_load_dwordx4 s[16:19], s[2:3], 0xd0
	s_waitcnt lgkmcnt(0)
	v_mul_hi_u32 v3, s9, v1
	v_add_u32_e32 v3, v1, v3
	v_lshrrev_b32_e32 v3, s10, v3
	v_mul_lo_u32 v3, v3, s8
	v_sub_u32_e32 v3, v1, v3
	v_mad_u64_u32 v[0:1], s[0:1], v3, s16, v[0:1]
	v_mad_u64_u32 v[10:11], s[0:1], v3, s17, v[10:11]
	;; [unrolled: 1-line block ×3, first 2 shown]
.LBB120_1626:
	s_load_dword s24, s[4:5], 0x1a8
	s_load_dwordx4 s[8:11], s[2:3], 0x188
	s_waitcnt lgkmcnt(0)
	s_lshr_b32 s25, s24, 16
	v_mov_b32_e32 v1, s11
	v_add_co_u32_e32 v22, vcc, s10, v22
	v_addc_co_u32_e32 v23, vcc, 0, v1, vcc
	v_mov_b32_e32 v1, 11
	v_cmp_lt_i16_sdwa s[0:1], s25, v1 src0_sel:BYTE_0 src1_sel:DWORD
	s_and_b64 vcc, exec, s[0:1]
	s_cbranch_vccnz .LBB120_1633
; %bb.1627:
	v_mov_b32_e32 v1, 25
	v_cmp_gt_i16_sdwa s[0:1], s25, v1 src0_sel:BYTE_0 src1_sel:DWORD
	s_mov_b64 s[6:7], 0
	s_and_b64 vcc, exec, s[0:1]
	s_cbranch_vccz .LBB120_1635
; %bb.1628:
	v_mov_b32_e32 v1, 28
	v_cmp_gt_i16_sdwa s[0:1], s25, v1 src0_sel:BYTE_0 src1_sel:DWORD
	s_and_b64 vcc, exec, s[0:1]
	s_cbranch_vccz .LBB120_1636
; %bb.1629:
	v_mov_b32_e32 v1, 43
	v_cmp_gt_i16_sdwa s[0:1], s25, v1 src0_sel:BYTE_0 src1_sel:DWORD
	;; [unrolled: 5-line block ×3, first 2 shown]
	s_and_b64 vcc, exec, s[0:1]
	s_cbranch_vccz .LBB120_1638
; %bb.1631:
	v_mov_b32_e32 v1, 46
	v_cmp_eq_u16_sdwa s[0:1], s25, v1 src0_sel:BYTE_0 src1_sel:DWORD
	s_mov_b64 s[4:5], 0
	s_and_b64 vcc, exec, s[0:1]
	s_cbranch_vccz .LBB120_1641
; %bb.1632:
	global_load_dword v1, v[22:23], off
	s_mov_b64 s[0:1], 0
	s_mov_b64 s[16:17], -1
	s_waitcnt vmcnt(0)
	v_lshlrev_b32_e32 v1, 16, v1
	s_branch .LBB120_1642
.LBB120_1633:
	s_mov_b64 s[16:17], 0
                                        ; implicit-def: $vgpr1
	s_mov_b64 s[4:5], s[12:13]
	s_cbranch_execnz .LBB120_1705
.LBB120_1634:
	s_andn2_b64 vcc, exec, s[16:17]
	s_cbranch_vccz .LBB120_1750
	s_branch .LBB120_3113
.LBB120_1635:
	s_mov_b64 s[16:17], 0
	s_mov_b64 s[0:1], 0
                                        ; implicit-def: $vgpr1
	s_cbranch_execnz .LBB120_1670
	s_branch .LBB120_1701
.LBB120_1636:
	s_mov_b64 s[4:5], -1
	s_mov_b64 s[16:17], 0
	s_mov_b64 s[0:1], 0
                                        ; implicit-def: $vgpr1
	s_branch .LBB120_1651
.LBB120_1637:
	s_mov_b64 s[16:17], 0
	s_mov_b64 s[0:1], 0
                                        ; implicit-def: $vgpr1
	s_cbranch_execnz .LBB120_1647
	s_branch .LBB120_1650
.LBB120_1638:
	s_mov_b64 s[4:5], -1
	s_mov_b64 s[16:17], 0
	s_mov_b64 s[0:1], 0
                                        ; implicit-def: $vgpr1
	s_branch .LBB120_1642
.LBB120_1639:
	s_or_saveexec_b64 s[16:17], s[16:17]
                                        ; implicit-def: $sgpr18
	s_xor_b64 exec, exec, s[16:17]
	s_cbranch_execz .LBB120_1498
.LBB120_1640:
	s_mov_b32 s18, 0x46000000
	v_add_f32_e64 v0, |v1|, s18
	v_and_b32_e32 v0, 0xff, v0
	v_cmp_ne_u32_e32 vcc, 0, v0
	s_andn2_b64 s[14:15], s[14:15], exec
	s_and_b64 s[24:25], vcc, exec
	s_mov_b32 s18, 0
	s_or_b64 s[14:15], s[14:15], s[24:25]
	s_or_b64 exec, exec, s[16:17]
	v_mov_b32_e32 v5, s18
	s_and_saveexec_b64 s[16:17], s[14:15]
	s_cbranch_execnz .LBB120_1499
	s_branch .LBB120_1500
.LBB120_1641:
	s_mov_b64 s[0:1], -1
                                        ; implicit-def: $vgpr1
	s_mov_b64 s[16:17], 0
.LBB120_1642:
	s_and_b64 vcc, exec, s[4:5]
	s_cbranch_vccz .LBB120_1645
; %bb.1643:
	v_mov_b32_e32 v1, 44
	v_cmp_eq_u16_sdwa s[0:1], s25, v1 src0_sel:BYTE_0 src1_sel:DWORD
	s_and_b64 vcc, exec, s[0:1]
	s_cbranch_vccz .LBB120_1646
; %bb.1644:
	global_load_ubyte v1, v[22:23], off
	s_movk_i32 s4, 0xff
	v_mov_b32_e32 v3, 0x7f800001
	v_mov_b32_e32 v5, 0x400000
	s_mov_b64 s[0:1], 0
	s_mov_b64 s[16:17], -1
	s_waitcnt vmcnt(0)
	v_lshlrev_b32_e32 v7, 23, v1
	v_cmp_ne_u32_e32 vcc, s4, v1
	v_cndmask_b32_e32 v3, v3, v7, vcc
	v_cmp_ne_u32_e32 vcc, 0, v1
	v_cndmask_b32_e32 v1, v5, v3, vcc
.LBB120_1645:
	s_branch .LBB120_1650
.LBB120_1646:
	s_mov_b64 s[0:1], -1
                                        ; implicit-def: $vgpr1
	s_branch .LBB120_1650
.LBB120_1647:
	v_mov_b32_e32 v1, 29
	v_cmp_eq_u16_sdwa s[0:1], s25, v1 src0_sel:BYTE_0 src1_sel:DWORD
	s_and_b64 vcc, exec, s[0:1]
	s_cbranch_vccz .LBB120_1649
; %bb.1648:
	global_load_dwordx2 v[24:25], v[22:23], off
	s_mov_b64 s[0:1], 0
	s_mov_b64 s[16:17], -1
	s_mov_b64 s[4:5], 0
	s_waitcnt vmcnt(0)
	v_ffbh_u32_e32 v1, v25
	v_min_u32_e32 v1, 32, v1
	v_lshlrev_b64 v[24:25], v1, v[24:25]
	v_min_u32_e32 v3, 1, v24
	v_or_b32_e32 v3, v25, v3
	v_cvt_f32_u32_e32 v3, v3
	v_sub_u32_e32 v1, 32, v1
	v_ldexp_f32 v1, v3, v1
	s_branch .LBB120_1651
.LBB120_1649:
	s_mov_b64 s[0:1], -1
                                        ; implicit-def: $vgpr1
.LBB120_1650:
	s_mov_b64 s[4:5], 0
.LBB120_1651:
	s_and_b64 vcc, exec, s[4:5]
	s_cbranch_vccz .LBB120_1669
; %bb.1652:
	v_mov_b32_e32 v1, 27
	v_cmp_lt_i16_sdwa s[4:5], s25, v1 src0_sel:BYTE_0 src1_sel:DWORD
	s_and_b64 vcc, exec, s[4:5]
	s_cbranch_vccnz .LBB120_1655
; %bb.1653:
	v_cmp_gt_i16_sdwa s[4:5], s25, v1 src0_sel:BYTE_0 src1_sel:DWORD
	s_and_b64 vcc, exec, s[4:5]
	s_cbranch_vccz .LBB120_1656
; %bb.1654:
	global_load_dword v1, v[22:23], off
	s_mov_b64 s[4:5], 0
	s_waitcnt vmcnt(0)
	v_cvt_f32_u32_e32 v1, v1
	s_branch .LBB120_1657
.LBB120_1655:
	s_mov_b64 s[4:5], -1
                                        ; implicit-def: $vgpr1
	s_branch .LBB120_1660
.LBB120_1656:
	s_mov_b64 s[4:5], -1
                                        ; implicit-def: $vgpr1
.LBB120_1657:
	s_andn2_b64 vcc, exec, s[4:5]
	s_cbranch_vccnz .LBB120_1659
; %bb.1658:
	global_load_ushort v1, v[22:23], off
	s_waitcnt vmcnt(0)
	v_cvt_f32_u32_e32 v1, v1
.LBB120_1659:
	s_mov_b64 s[4:5], 0
.LBB120_1660:
	s_andn2_b64 vcc, exec, s[4:5]
	s_cbranch_vccnz .LBB120_1668
; %bb.1661:
	global_load_ubyte v3, v[22:23], off
	s_movk_i32 s4, 0x7f
                                        ; implicit-def: $sgpr20
	s_waitcnt vmcnt(0)
	v_cmp_lt_i16_e32 vcc, s4, v3
	s_mov_b64 s[4:5], 0
	s_and_saveexec_b64 s[16:17], vcc
	s_xor_b64 s[16:17], exec, s[16:17]
	s_cbranch_execz .LBB120_1681
; %bb.1662:
	s_movk_i32 s4, 0x80
	v_cmp_eq_u16_e32 vcc, s4, v3
	s_mov_b64 s[4:5], -1
                                        ; implicit-def: $sgpr20
	s_and_saveexec_b64 s[18:19], vcc
; %bb.1663:
	s_mov_b32 s20, 0x7f800001
	s_xor_b64 s[4:5], exec, -1
; %bb.1664:
	s_or_b64 exec, exec, s[18:19]
	s_and_b64 s[4:5], s[4:5], exec
	s_or_saveexec_b64 s[16:17], s[16:17]
	v_mov_b32_e32 v1, s20
	s_xor_b64 exec, exec, s[16:17]
	s_cbranch_execnz .LBB120_1682
.LBB120_1665:
	s_or_b64 exec, exec, s[16:17]
	s_and_saveexec_b64 s[16:17], s[4:5]
	s_cbranch_execz .LBB120_1667
.LBB120_1666:
	v_lshlrev_b32_e32 v1, 24, v3
	v_and_b32_e32 v3, 0xffff, v3
	v_and_b32_e32 v5, 7, v3
	v_ffbh_u32_e32 v9, v5
	v_min_u32_e32 v9, 32, v9
	v_subrev_u32_e32 v11, 28, v9
	v_bfe_u32 v7, v3, 3, 4
	v_lshlrev_b32_e32 v3, v11, v3
	v_sub_u32_e32 v9, 29, v9
	v_and_b32_e32 v3, 7, v3
	v_cmp_eq_u32_e32 vcc, 0, v7
	v_cndmask_b32_e32 v7, v7, v9, vcc
	v_cndmask_b32_e32 v3, v5, v3, vcc
	v_mov_b32_e32 v5, 0x3b800000
	v_lshlrev_b32_e32 v3, 20, v3
	v_and_b32_e32 v1, 0x80000000, v1
	v_lshl_add_u32 v5, v7, 23, v5
	v_or3_b32 v1, v1, v5, v3
.LBB120_1667:
	s_or_b64 exec, exec, s[16:17]
.LBB120_1668:
	s_mov_b64 s[16:17], -1
.LBB120_1669:
	s_branch .LBB120_1701
.LBB120_1670:
	v_mov_b32_e32 v1, 22
	v_cmp_gt_i16_sdwa s[4:5], s25, v1 src0_sel:BYTE_0 src1_sel:DWORD
	s_and_b64 vcc, exec, s[4:5]
	s_cbranch_vccz .LBB120_1680
; %bb.1671:
	v_mov_b32_e32 v1, 24
	v_cmp_lt_i16_sdwa s[4:5], s25, v1 src0_sel:BYTE_0 src1_sel:DWORD
	s_and_b64 vcc, exec, s[4:5]
	s_cbranch_vccnz .LBB120_1683
; %bb.1672:
	v_cmp_gt_i16_sdwa s[4:5], s25, v1 src0_sel:BYTE_0 src1_sel:DWORD
	s_and_b64 vcc, exec, s[4:5]
	s_cbranch_vccz .LBB120_1684
; %bb.1673:
	global_load_ubyte v3, v[22:23], off
	s_movk_i32 s4, 0x7f
                                        ; implicit-def: $sgpr18
	s_waitcnt vmcnt(0)
	v_cmp_lt_i16_e32 vcc, s4, v3
	s_mov_b64 s[4:5], 0
	s_and_saveexec_b64 s[6:7], vcc
	s_xor_b64 s[6:7], exec, s[6:7]
	s_cbranch_execz .LBB120_1695
; %bb.1674:
	s_movk_i32 s4, 0x80
	v_cmp_eq_u16_e32 vcc, s4, v3
	s_mov_b64 s[4:5], -1
                                        ; implicit-def: $sgpr18
	s_and_saveexec_b64 s[16:17], vcc
; %bb.1675:
	s_mov_b32 s18, 0x7f800001
	s_xor_b64 s[4:5], exec, -1
; %bb.1676:
	s_or_b64 exec, exec, s[16:17]
	s_and_b64 s[4:5], s[4:5], exec
	s_or_saveexec_b64 s[6:7], s[6:7]
	v_mov_b32_e32 v1, s18
	s_xor_b64 exec, exec, s[6:7]
	s_cbranch_execnz .LBB120_1696
.LBB120_1677:
	s_or_b64 exec, exec, s[6:7]
	s_and_saveexec_b64 s[6:7], s[4:5]
	s_cbranch_execz .LBB120_1679
.LBB120_1678:
	v_lshlrev_b32_e32 v1, 24, v3
	v_and_b32_e32 v3, 0xffff, v3
	v_and_b32_e32 v5, 3, v3
	v_ffbh_u32_e32 v9, v5
	v_min_u32_e32 v9, 32, v9
	v_subrev_u32_e32 v11, 29, v9
	v_bfe_u32 v7, v3, 2, 5
	v_lshlrev_b32_e32 v3, v11, v3
	v_sub_u32_e32 v9, 30, v9
	v_and_b32_e32 v3, 3, v3
	v_cmp_eq_u32_e32 vcc, 0, v7
	v_cndmask_b32_e32 v7, v7, v9, vcc
	v_cndmask_b32_e32 v3, v5, v3, vcc
	v_mov_b32_e32 v5, 0x37800000
	v_lshlrev_b32_e32 v3, 21, v3
	v_and_b32_e32 v1, 0x80000000, v1
	v_lshl_add_u32 v5, v7, 23, v5
	v_or3_b32 v1, v1, v5, v3
.LBB120_1679:
	s_or_b64 exec, exec, s[6:7]
	s_mov_b64 s[4:5], 0
	s_branch .LBB120_1685
.LBB120_1680:
                                        ; implicit-def: $vgpr1
	s_mov_b64 s[6:7], 0
	s_branch .LBB120_1691
.LBB120_1681:
	s_or_saveexec_b64 s[16:17], s[16:17]
	v_mov_b32_e32 v1, s20
	s_xor_b64 exec, exec, s[16:17]
	s_cbranch_execz .LBB120_1665
.LBB120_1682:
	v_cmp_ne_u16_e32 vcc, 0, v3
	s_andn2_b64 s[4:5], s[4:5], exec
	s_and_b64 s[18:19], vcc, exec
	v_mov_b32_e32 v1, 0
	s_or_b64 s[4:5], s[4:5], s[18:19]
	s_or_b64 exec, exec, s[16:17]
	s_and_saveexec_b64 s[16:17], s[4:5]
	s_cbranch_execnz .LBB120_1666
	s_branch .LBB120_1667
.LBB120_1683:
	s_mov_b64 s[4:5], -1
                                        ; implicit-def: $vgpr1
	s_branch .LBB120_1688
.LBB120_1684:
	s_mov_b64 s[4:5], -1
                                        ; implicit-def: $vgpr1
.LBB120_1685:
	s_and_b64 vcc, exec, s[4:5]
	s_cbranch_vccz .LBB120_1687
; %bb.1686:
	global_load_ubyte v1, v[22:23], off
	s_mov_b32 s4, 0x7f800000
	s_waitcnt vmcnt(0)
	v_lshlrev_b32_e32 v1, 24, v1
	v_and_b32_e32 v3, 0x7f000000, v1
	v_ffbh_u32_e32 v5, v3
	v_min_u32_e32 v5, 32, v5
	v_sub_u32_e64 v5, v5, 4 clamp
	v_lshlrev_b32_e32 v9, v5, v3
	v_lshlrev_b32_e32 v5, 23, v5
	v_lshrrev_b32_e32 v9, 4, v9
	v_add_u32_e32 v7, 0x1000000, v3
	v_sub_u32_e32 v5, v9, v5
	v_ashrrev_i32_e32 v7, 8, v7
	v_add_u32_e32 v5, 0x3c000000, v5
	v_and_or_b32 v5, v7, s4, v5
	v_cmp_ne_u32_e32 vcc, 0, v3
	v_cndmask_b32_e32 v3, 0, v5, vcc
	s_brev_b32 s4, 1
	v_and_or_b32 v1, v1, s4, v3
.LBB120_1687:
	s_mov_b64 s[4:5], 0
.LBB120_1688:
	s_andn2_b64 vcc, exec, s[4:5]
	s_cbranch_vccnz .LBB120_1690
; %bb.1689:
	global_load_ubyte v1, v[22:23], off
	s_movk_i32 s4, 0x7f00
	s_brev_b32 s5, 16
	s_waitcnt vmcnt(0)
	v_lshlrev_b16_e32 v3, 8, v1
	v_lshlrev_b32_e32 v1, 25, v1
	v_lshrrev_b32_e32 v5, 4, v1
	v_and_or_b32 v7, v3, s4, 0.5
	v_or_b32_e32 v5, 0x70000000, v5
	v_add_f32_e32 v7, -0.5, v7
	v_mul_f32_e32 v5, 0x7800000, v5
	v_cmp_gt_u32_e32 vcc, s5, v1
	v_bfe_i32 v3, v3, 0, 16
	v_cndmask_b32_e32 v1, v5, v7, vcc
	s_brev_b32 s4, 1
	v_and_or_b32 v1, v3, s4, v1
.LBB120_1690:
	s_mov_b64 s[16:17], -1
	s_mov_b64 s[6:7], 0
	s_cbranch_execnz .LBB120_1701
.LBB120_1691:
	v_mov_b32_e32 v1, 14
	v_cmp_gt_i16_sdwa s[4:5], s25, v1 src0_sel:BYTE_0 src1_sel:DWORD
	s_and_b64 vcc, exec, s[4:5]
	s_cbranch_vccz .LBB120_1694
; %bb.1692:
	v_mov_b32_e32 v1, 15
	v_cmp_eq_u16_sdwa s[0:1], s25, v1 src0_sel:BYTE_0 src1_sel:DWORD
	s_and_b64 vcc, exec, s[0:1]
	s_cbranch_vccz .LBB120_1697
; %bb.1693:
	global_load_ushort v1, v[22:23], off
	s_mov_b64 s[0:1], 0
	s_mov_b64 s[16:17], -1
	s_waitcnt vmcnt(0)
	v_lshlrev_b32_e32 v1, 16, v1
	s_branch .LBB120_1698
.LBB120_1694:
	s_mov_b64 s[4:5], -1
                                        ; implicit-def: $vgpr1
	s_branch .LBB120_1699
.LBB120_1695:
	s_or_saveexec_b64 s[6:7], s[6:7]
	v_mov_b32_e32 v1, s18
	s_xor_b64 exec, exec, s[6:7]
	s_cbranch_execz .LBB120_1677
.LBB120_1696:
	v_cmp_ne_u16_e32 vcc, 0, v3
	s_andn2_b64 s[4:5], s[4:5], exec
	s_and_b64 s[16:17], vcc, exec
	v_mov_b32_e32 v1, 0
	s_or_b64 s[4:5], s[4:5], s[16:17]
	s_or_b64 exec, exec, s[6:7]
	s_and_saveexec_b64 s[6:7], s[4:5]
	s_cbranch_execnz .LBB120_1678
	s_branch .LBB120_1679
.LBB120_1697:
	s_mov_b64 s[0:1], -1
                                        ; implicit-def: $vgpr1
.LBB120_1698:
	s_mov_b64 s[4:5], 0
.LBB120_1699:
	s_and_b64 vcc, exec, s[4:5]
	s_cbranch_vccz .LBB120_1701
; %bb.1700:
	v_mov_b32_e32 v1, 11
	v_cmp_ne_u16_sdwa s[0:1], s25, v1 src0_sel:BYTE_0 src1_sel:DWORD
	s_mov_b64 s[6:7], -1
                                        ; implicit-def: $vgpr1
.LBB120_1701:
	s_and_b64 vcc, exec, s[0:1]
	s_mov_b64 s[4:5], s[12:13]
	s_cbranch_vccnz .LBB120_1762
; %bb.1702:
	s_andn2_b64 vcc, exec, s[6:7]
	s_cbranch_vccnz .LBB120_1704
.LBB120_1703:
	global_load_ubyte v1, v[22:23], off
	s_mov_b64 s[16:17], -1
	s_waitcnt vmcnt(0)
	v_cmp_ne_u16_e32 vcc, 0, v1
	v_cndmask_b32_e64 v1, 0, 1.0, vcc
.LBB120_1704:
	s_branch .LBB120_1634
.LBB120_1705:
	v_mov_b32_e32 v1, 5
	v_cmp_lt_i16_sdwa s[0:1], s25, v1 src0_sel:BYTE_0 src1_sel:DWORD
	s_and_b64 vcc, exec, s[0:1]
	s_cbranch_vccnz .LBB120_1710
; %bb.1706:
	v_mov_b32_e32 v1, 8
	v_cmp_lt_i16_sdwa s[0:1], s25, v1 src0_sel:BYTE_0 src1_sel:DWORD
	s_and_b64 vcc, exec, s[0:1]
	s_cbranch_vccnz .LBB120_1711
; %bb.1707:
	;; [unrolled: 5-line block ×3, first 2 shown]
	v_cmp_gt_i16_sdwa s[0:1], s25, v1 src0_sel:BYTE_0 src1_sel:DWORD
	s_and_b64 vcc, exec, s[0:1]
	s_cbranch_vccz .LBB120_1713
; %bb.1709:
	global_load_dwordx2 v[24:25], v[22:23], off
	s_mov_b64 s[0:1], 0
	s_waitcnt vmcnt(0)
	v_cvt_f32_f64_e32 v1, v[24:25]
	s_branch .LBB120_1714
.LBB120_1710:
                                        ; implicit-def: $vgpr1
	s_branch .LBB120_1731
.LBB120_1711:
                                        ; implicit-def: $vgpr1
	s_branch .LBB120_1720
.LBB120_1712:
	s_mov_b64 s[0:1], -1
                                        ; implicit-def: $vgpr1
	s_branch .LBB120_1717
.LBB120_1713:
	s_mov_b64 s[0:1], -1
                                        ; implicit-def: $vgpr1
.LBB120_1714:
	s_andn2_b64 vcc, exec, s[0:1]
	s_cbranch_vccnz .LBB120_1716
; %bb.1715:
	global_load_dword v1, v[22:23], off
.LBB120_1716:
	s_mov_b64 s[0:1], 0
.LBB120_1717:
	s_andn2_b64 vcc, exec, s[0:1]
	s_cbranch_vccnz .LBB120_1719
; %bb.1718:
	global_load_dword v1, v[22:23], off
	s_waitcnt vmcnt(0)
	v_cvt_f32_f16_e32 v1, v1
.LBB120_1719:
	s_cbranch_execnz .LBB120_1730
.LBB120_1720:
	s_waitcnt vmcnt(0)
	v_mov_b32_e32 v1, 6
	v_cmp_lt_i16_sdwa s[0:1], s25, v1 src0_sel:BYTE_0 src1_sel:DWORD
	s_and_b64 vcc, exec, s[0:1]
	s_cbranch_vccnz .LBB120_1723
; %bb.1721:
	v_cmp_gt_i16_sdwa s[0:1], s25, v1 src0_sel:BYTE_0 src1_sel:DWORD
	s_and_b64 vcc, exec, s[0:1]
	s_cbranch_vccz .LBB120_1724
; %bb.1722:
	global_load_dwordx2 v[24:25], v[22:23], off
	s_mov_b64 s[0:1], 0
	s_waitcnt vmcnt(0)
	v_cvt_f32_f64_e32 v1, v[24:25]
	s_branch .LBB120_1725
.LBB120_1723:
	s_mov_b64 s[0:1], -1
                                        ; implicit-def: $vgpr1
	s_branch .LBB120_1728
.LBB120_1724:
	s_mov_b64 s[0:1], -1
                                        ; implicit-def: $vgpr1
.LBB120_1725:
	s_andn2_b64 vcc, exec, s[0:1]
	s_cbranch_vccnz .LBB120_1727
; %bb.1726:
	global_load_dword v1, v[22:23], off
.LBB120_1727:
	s_mov_b64 s[0:1], 0
.LBB120_1728:
	s_andn2_b64 vcc, exec, s[0:1]
	s_cbranch_vccnz .LBB120_1730
; %bb.1729:
	global_load_ushort v1, v[22:23], off
	s_waitcnt vmcnt(0)
	v_cvt_f32_f16_e32 v1, v1
.LBB120_1730:
	s_cbranch_execnz .LBB120_1749
.LBB120_1731:
	s_waitcnt vmcnt(0)
	v_mov_b32_e32 v1, 2
	v_cmp_lt_i16_sdwa s[0:1], s25, v1 src0_sel:BYTE_0 src1_sel:DWORD
	s_and_b64 vcc, exec, s[0:1]
	s_cbranch_vccnz .LBB120_1735
; %bb.1732:
	v_mov_b32_e32 v1, 3
	v_cmp_lt_i16_sdwa s[0:1], s25, v1 src0_sel:BYTE_0 src1_sel:DWORD
	s_and_b64 vcc, exec, s[0:1]
	s_cbranch_vccnz .LBB120_1736
; %bb.1733:
	v_cmp_gt_i16_sdwa s[0:1], s25, v1 src0_sel:BYTE_0 src1_sel:DWORD
	s_and_b64 vcc, exec, s[0:1]
	s_cbranch_vccz .LBB120_1737
; %bb.1734:
	global_load_dwordx2 v[24:25], v[22:23], off
	s_mov_b64 s[0:1], 0
	s_waitcnt vmcnt(0)
	v_xor_b32_e32 v3, v24, v25
	v_ffbh_i32_e32 v1, v25
	v_ashrrev_i32_e32 v3, 31, v3
	v_add_u32_e32 v1, -1, v1
	v_add_u32_e32 v3, 32, v3
	v_min_u32_e32 v1, v1, v3
	v_lshlrev_b64 v[24:25], v1, v[24:25]
	v_min_u32_e32 v3, 1, v24
	v_or_b32_e32 v3, v25, v3
	v_cvt_f32_i32_e32 v3, v3
	v_sub_u32_e32 v1, 32, v1
	v_ldexp_f32 v1, v3, v1
	s_branch .LBB120_1738
.LBB120_1735:
                                        ; implicit-def: $vgpr1
	s_branch .LBB120_1744
.LBB120_1736:
	s_mov_b64 s[0:1], -1
                                        ; implicit-def: $vgpr1
	s_branch .LBB120_1741
.LBB120_1737:
	s_mov_b64 s[0:1], -1
                                        ; implicit-def: $vgpr1
.LBB120_1738:
	s_andn2_b64 vcc, exec, s[0:1]
	s_cbranch_vccnz .LBB120_1740
; %bb.1739:
	global_load_dword v1, v[22:23], off
	s_waitcnt vmcnt(0)
	v_cvt_f32_i32_e32 v1, v1
.LBB120_1740:
	s_mov_b64 s[0:1], 0
.LBB120_1741:
	s_andn2_b64 vcc, exec, s[0:1]
	s_cbranch_vccnz .LBB120_1743
; %bb.1742:
	global_load_sshort v1, v[22:23], off
	s_waitcnt vmcnt(0)
	v_cvt_f32_i32_e32 v1, v1
.LBB120_1743:
	s_cbranch_execnz .LBB120_1749
.LBB120_1744:
	v_mov_b32_e32 v1, 0
	v_cmp_gt_i16_sdwa s[0:1], s25, v1 src0_sel:BYTE_0 src1_sel:DWORD
	s_and_b64 vcc, exec, s[0:1]
	s_cbranch_vccz .LBB120_1746
; %bb.1745:
	global_load_sbyte v1, v[22:23], off
	s_mov_b64 s[0:1], 0
	s_waitcnt vmcnt(0)
	v_cvt_f32_i32_e32 v1, v1
	s_branch .LBB120_1747
.LBB120_1746:
	s_mov_b64 s[0:1], -1
                                        ; implicit-def: $vgpr1
.LBB120_1747:
	s_andn2_b64 vcc, exec, s[0:1]
	s_cbranch_vccnz .LBB120_1749
; %bb.1748:
	global_load_ubyte v1, v[22:23], off
	s_waitcnt vmcnt(0)
	v_cvt_f32_ubyte0_e32 v1, v1
.LBB120_1749:
.LBB120_1750:
	s_load_dwordx2 s[0:1], s[2:3], 0x198
	s_lshr_b32 s26, s24, 24
	v_cmp_lt_i16_e64 s[2:3], s26, 11
	s_waitcnt lgkmcnt(0)
	v_mov_b32_e32 v3, s1
	v_add_co_u32_e32 v20, vcc, s0, v20
	v_addc_co_u32_e32 v21, vcc, 0, v3, vcc
	s_and_b64 vcc, exec, s[2:3]
	s_cbranch_vccnz .LBB120_1757
; %bb.1751:
	v_cmp_gt_i16_e64 s[6:7], s26, 25
	s_mov_b64 s[16:17], 0
	s_and_b64 vcc, exec, s[6:7]
	s_cbranch_vccz .LBB120_1759
; %bb.1752:
	v_cmp_gt_i16_e64 s[6:7], s26, 28
	s_and_b64 vcc, exec, s[6:7]
	s_cbranch_vccz .LBB120_1760
; %bb.1753:
	v_cmp_gt_i16_e64 s[6:7], s26, 43
	;; [unrolled: 4-line block ×3, first 2 shown]
	s_and_b64 vcc, exec, s[6:7]
	s_cbranch_vccz .LBB120_1763
; %bb.1755:
	v_cmp_eq_u16_e64 s[6:7], s26, 46
	s_mov_b64 s[20:21], 0
	s_and_b64 vcc, exec, s[6:7]
	s_cbranch_vccz .LBB120_1766
; %bb.1756:
	global_load_dword v3, v[20:21], off
	s_mov_b64 s[6:7], 0
	s_mov_b64 s[18:19], -1
	s_waitcnt vmcnt(0)
	v_lshlrev_b32_e32 v5, 16, v3
	s_branch .LBB120_1767
.LBB120_1757:
	s_mov_b64 s[18:19], 0
                                        ; implicit-def: $vgpr5
	s_cbranch_execnz .LBB120_1832
.LBB120_1758:
	s_andn2_b64 vcc, exec, s[18:19]
	s_cbranch_vccnz .LBB120_3113
	s_branch .LBB120_1879
.LBB120_1759:
	s_mov_b64 s[18:19], 0
	s_mov_b64 s[6:7], 0
                                        ; implicit-def: $vgpr5
	s_cbranch_execnz .LBB120_1796
	s_branch .LBB120_1828
.LBB120_1760:
	s_mov_b64 s[20:21], -1
	s_mov_b64 s[18:19], 0
	s_mov_b64 s[6:7], 0
                                        ; implicit-def: $vgpr5
	s_branch .LBB120_1777
.LBB120_1761:
	s_mov_b64 s[20:21], -1
	s_mov_b64 s[18:19], 0
	s_mov_b64 s[6:7], 0
                                        ; implicit-def: $vgpr5
	s_branch .LBB120_1772
.LBB120_1762:
	s_or_b64 s[4:5], s[12:13], exec
	s_trap 2
                                        ; implicit-def: $vgpr1
	s_cbranch_execz .LBB120_1703
	s_branch .LBB120_1704
.LBB120_1763:
	s_mov_b64 s[20:21], -1
	s_mov_b64 s[18:19], 0
	s_mov_b64 s[6:7], 0
                                        ; implicit-def: $vgpr5
	s_branch .LBB120_1767
.LBB120_1764:
	s_or_saveexec_b64 s[18:19], s[18:19]
                                        ; implicit-def: $sgpr24
	s_xor_b64 exec, exec, s[18:19]
	s_cbranch_execz .LBB120_1510
.LBB120_1765:
	s_mov_b32 s24, 0x42800000
	v_add_f32_e64 v0, |v1|, s24
	v_and_b32_e32 v0, 0xff, v0
	v_cmp_ne_u32_e32 vcc, 0, v0
	s_andn2_b64 s[16:17], s[16:17], exec
	s_and_b64 s[26:27], vcc, exec
	s_mov_b32 s24, 0
	s_or_b64 s[16:17], s[16:17], s[26:27]
	s_or_b64 exec, exec, s[18:19]
	v_mov_b32_e32 v5, s24
	s_and_saveexec_b64 s[18:19], s[16:17]
	s_cbranch_execnz .LBB120_1511
	s_branch .LBB120_1512
.LBB120_1766:
	s_mov_b64 s[6:7], -1
                                        ; implicit-def: $vgpr5
	s_mov_b64 s[18:19], 0
.LBB120_1767:
	s_and_b64 vcc, exec, s[20:21]
	s_cbranch_vccz .LBB120_1771
; %bb.1768:
	v_cmp_eq_u16_e64 s[6:7], s26, 44
	s_and_b64 vcc, exec, s[6:7]
	s_cbranch_vccz .LBB120_1770
; %bb.1769:
	global_load_ubyte v3, v[20:21], off
	s_movk_i32 s18, 0xff
	v_mov_b32_e32 v5, 0x7f800001
	v_mov_b32_e32 v7, 0x400000
	s_mov_b64 s[6:7], 0
	s_waitcnt vmcnt(0)
	v_lshlrev_b32_e32 v9, 23, v3
	v_cmp_ne_u32_e32 vcc, s18, v3
	v_cndmask_b32_e32 v5, v5, v9, vcc
	v_cmp_ne_u32_e32 vcc, 0, v3
	v_cndmask_b32_e32 v5, v7, v5, vcc
	s_mov_b64 s[18:19], -1
	s_branch .LBB120_1771
.LBB120_1770:
	s_mov_b64 s[6:7], -1
                                        ; implicit-def: $vgpr5
.LBB120_1771:
	s_mov_b64 s[20:21], 0
.LBB120_1772:
	s_and_b64 vcc, exec, s[20:21]
	s_cbranch_vccz .LBB120_1776
; %bb.1773:
	v_cmp_eq_u16_e64 s[6:7], s26, 29
	s_and_b64 vcc, exec, s[6:7]
	s_cbranch_vccz .LBB120_1775
; %bb.1774:
	global_load_dwordx2 v[22:23], v[20:21], off
	s_mov_b64 s[6:7], 0
	s_mov_b64 s[18:19], -1
	s_mov_b64 s[20:21], 0
	s_waitcnt vmcnt(0)
	v_ffbh_u32_e32 v3, v23
	v_min_u32_e32 v3, 32, v3
	v_lshlrev_b64 v[22:23], v3, v[22:23]
	v_min_u32_e32 v5, 1, v22
	v_or_b32_e32 v5, v23, v5
	v_cvt_f32_u32_e32 v5, v5
	v_sub_u32_e32 v3, 32, v3
	v_ldexp_f32 v5, v5, v3
	s_branch .LBB120_1777
.LBB120_1775:
	s_mov_b64 s[6:7], -1
                                        ; implicit-def: $vgpr5
.LBB120_1776:
	s_mov_b64 s[20:21], 0
.LBB120_1777:
	s_and_b64 vcc, exec, s[20:21]
	s_cbranch_vccz .LBB120_1795
; %bb.1778:
	v_cmp_lt_i16_e64 s[18:19], s26, 27
	s_and_b64 vcc, exec, s[18:19]
	s_cbranch_vccnz .LBB120_1781
; %bb.1779:
	v_cmp_gt_i16_e64 s[18:19], s26, 27
	s_and_b64 vcc, exec, s[18:19]
	s_cbranch_vccz .LBB120_1782
; %bb.1780:
	global_load_dword v3, v[20:21], off
	s_mov_b64 s[18:19], 0
	s_waitcnt vmcnt(0)
	v_cvt_f32_u32_e32 v5, v3
	s_branch .LBB120_1783
.LBB120_1781:
	s_mov_b64 s[18:19], -1
                                        ; implicit-def: $vgpr5
	s_branch .LBB120_1786
.LBB120_1782:
	s_mov_b64 s[18:19], -1
                                        ; implicit-def: $vgpr5
.LBB120_1783:
	s_andn2_b64 vcc, exec, s[18:19]
	s_cbranch_vccnz .LBB120_1785
; %bb.1784:
	global_load_ushort v3, v[20:21], off
	s_waitcnt vmcnt(0)
	v_cvt_f32_u32_e32 v5, v3
.LBB120_1785:
	s_mov_b64 s[18:19], 0
.LBB120_1786:
	s_andn2_b64 vcc, exec, s[18:19]
	s_cbranch_vccnz .LBB120_1794
; %bb.1787:
	global_load_ubyte v3, v[20:21], off
	s_movk_i32 s18, 0x7f
                                        ; implicit-def: $sgpr27
	s_waitcnt vmcnt(0)
	v_cmp_lt_i16_e32 vcc, s18, v3
	s_mov_b64 s[18:19], 0
	s_and_saveexec_b64 s[20:21], vcc
	s_xor_b64 s[20:21], exec, s[20:21]
	s_cbranch_execz .LBB120_1807
; %bb.1788:
	s_movk_i32 s18, 0x80
	v_cmp_eq_u16_e32 vcc, s18, v3
	s_mov_b64 s[18:19], -1
                                        ; implicit-def: $sgpr27
	s_and_saveexec_b64 s[22:23], vcc
; %bb.1789:
	s_mov_b32 s27, 0x7f800001
	s_xor_b64 s[18:19], exec, -1
; %bb.1790:
	s_or_b64 exec, exec, s[22:23]
	s_and_b64 s[18:19], s[18:19], exec
	s_or_saveexec_b64 s[20:21], s[20:21]
	v_mov_b32_e32 v5, s27
	s_xor_b64 exec, exec, s[20:21]
	s_cbranch_execnz .LBB120_1808
.LBB120_1791:
	s_or_b64 exec, exec, s[20:21]
	s_and_saveexec_b64 s[20:21], s[18:19]
	s_cbranch_execz .LBB120_1793
.LBB120_1792:
	v_lshlrev_b32_e32 v5, 24, v3
	v_and_b32_e32 v3, 0xffff, v3
	v_and_b32_e32 v7, 7, v3
	v_ffbh_u32_e32 v11, v7
	v_min_u32_e32 v11, 32, v11
	v_subrev_u32_e32 v13, 28, v11
	v_bfe_u32 v9, v3, 3, 4
	v_lshlrev_b32_e32 v3, v13, v3
	v_sub_u32_e32 v11, 29, v11
	v_and_b32_e32 v3, 7, v3
	v_cmp_eq_u32_e32 vcc, 0, v9
	v_cndmask_b32_e32 v9, v9, v11, vcc
	v_cndmask_b32_e32 v3, v7, v3, vcc
	v_mov_b32_e32 v7, 0x3b800000
	v_lshlrev_b32_e32 v3, 20, v3
	v_and_b32_e32 v5, 0x80000000, v5
	v_lshl_add_u32 v7, v9, 23, v7
	v_or3_b32 v5, v5, v7, v3
.LBB120_1793:
	s_or_b64 exec, exec, s[20:21]
.LBB120_1794:
	s_mov_b64 s[18:19], -1
.LBB120_1795:
	s_branch .LBB120_1828
.LBB120_1796:
	v_cmp_gt_i16_e64 s[16:17], s26, 22
	s_and_b64 vcc, exec, s[16:17]
	s_cbranch_vccz .LBB120_1806
; %bb.1797:
	v_cmp_lt_i16_e64 s[16:17], s26, 24
	s_and_b64 vcc, exec, s[16:17]
	s_cbranch_vccnz .LBB120_1809
; %bb.1798:
	v_cmp_gt_i16_e64 s[16:17], s26, 24
	s_and_b64 vcc, exec, s[16:17]
	s_cbranch_vccz .LBB120_1810
; %bb.1799:
	global_load_ubyte v3, v[20:21], off
	s_movk_i32 s16, 0x7f
                                        ; implicit-def: $sgpr22
	s_waitcnt vmcnt(0)
	v_cmp_lt_i16_e32 vcc, s16, v3
	s_mov_b64 s[16:17], 0
	s_and_saveexec_b64 s[18:19], vcc
	s_xor_b64 s[18:19], exec, s[18:19]
	s_cbranch_execz .LBB120_1822
; %bb.1800:
	s_movk_i32 s16, 0x80
	v_cmp_eq_u16_e32 vcc, s16, v3
	s_mov_b64 s[16:17], -1
                                        ; implicit-def: $sgpr22
	s_and_saveexec_b64 s[20:21], vcc
; %bb.1801:
	s_mov_b32 s22, 0x7f800001
	s_xor_b64 s[16:17], exec, -1
; %bb.1802:
	s_or_b64 exec, exec, s[20:21]
	s_and_b64 s[16:17], s[16:17], exec
	s_or_saveexec_b64 s[18:19], s[18:19]
	v_mov_b32_e32 v5, s22
	s_xor_b64 exec, exec, s[18:19]
	s_cbranch_execnz .LBB120_1823
.LBB120_1803:
	s_or_b64 exec, exec, s[18:19]
	s_and_saveexec_b64 s[18:19], s[16:17]
	s_cbranch_execz .LBB120_1805
.LBB120_1804:
	v_lshlrev_b32_e32 v5, 24, v3
	v_and_b32_e32 v3, 0xffff, v3
	v_and_b32_e32 v7, 3, v3
	v_ffbh_u32_e32 v11, v7
	v_min_u32_e32 v11, 32, v11
	v_subrev_u32_e32 v13, 29, v11
	v_bfe_u32 v9, v3, 2, 5
	v_lshlrev_b32_e32 v3, v13, v3
	v_sub_u32_e32 v11, 30, v11
	v_and_b32_e32 v3, 3, v3
	v_cmp_eq_u32_e32 vcc, 0, v9
	v_cndmask_b32_e32 v9, v9, v11, vcc
	v_cndmask_b32_e32 v3, v7, v3, vcc
	v_mov_b32_e32 v7, 0x37800000
	v_lshlrev_b32_e32 v3, 21, v3
	v_and_b32_e32 v5, 0x80000000, v5
	v_lshl_add_u32 v7, v9, 23, v7
	v_or3_b32 v5, v5, v7, v3
.LBB120_1805:
	s_or_b64 exec, exec, s[18:19]
	s_mov_b64 s[16:17], 0
	s_branch .LBB120_1811
.LBB120_1806:
	s_mov_b64 s[16:17], -1
                                        ; implicit-def: $vgpr5
	s_branch .LBB120_1817
.LBB120_1807:
	s_or_saveexec_b64 s[20:21], s[20:21]
	v_mov_b32_e32 v5, s27
	s_xor_b64 exec, exec, s[20:21]
	s_cbranch_execz .LBB120_1791
.LBB120_1808:
	v_cmp_ne_u16_e32 vcc, 0, v3
	s_andn2_b64 s[18:19], s[18:19], exec
	s_and_b64 s[22:23], vcc, exec
	v_mov_b32_e32 v5, 0
	s_or_b64 s[18:19], s[18:19], s[22:23]
	s_or_b64 exec, exec, s[20:21]
	s_and_saveexec_b64 s[20:21], s[18:19]
	s_cbranch_execnz .LBB120_1792
	s_branch .LBB120_1793
.LBB120_1809:
	s_mov_b64 s[16:17], -1
                                        ; implicit-def: $vgpr5
	s_branch .LBB120_1814
.LBB120_1810:
	s_mov_b64 s[16:17], -1
                                        ; implicit-def: $vgpr5
.LBB120_1811:
	s_and_b64 vcc, exec, s[16:17]
	s_cbranch_vccz .LBB120_1813
; %bb.1812:
	global_load_ubyte v3, v[20:21], off
	s_mov_b32 s16, 0x7f800000
	s_waitcnt vmcnt(0)
	v_lshlrev_b32_e32 v3, 24, v3
	v_and_b32_e32 v5, 0x7f000000, v3
	v_ffbh_u32_e32 v7, v5
	v_min_u32_e32 v7, 32, v7
	v_sub_u32_e64 v7, v7, 4 clamp
	v_lshlrev_b32_e32 v11, v7, v5
	v_lshlrev_b32_e32 v7, 23, v7
	v_lshrrev_b32_e32 v11, 4, v11
	v_add_u32_e32 v9, 0x1000000, v5
	v_sub_u32_e32 v7, v11, v7
	v_ashrrev_i32_e32 v9, 8, v9
	v_add_u32_e32 v7, 0x3c000000, v7
	v_and_or_b32 v7, v9, s16, v7
	v_cmp_ne_u32_e32 vcc, 0, v5
	v_cndmask_b32_e32 v5, 0, v7, vcc
	s_brev_b32 s16, 1
	v_and_or_b32 v5, v3, s16, v5
.LBB120_1813:
	s_mov_b64 s[16:17], 0
.LBB120_1814:
	s_andn2_b64 vcc, exec, s[16:17]
	s_cbranch_vccnz .LBB120_1816
; %bb.1815:
	global_load_ubyte v3, v[20:21], off
	s_movk_i32 s16, 0x7f00
	s_brev_b32 s17, 16
	s_waitcnt vmcnt(0)
	v_lshlrev_b16_e32 v5, 8, v3
	v_lshlrev_b32_e32 v3, 25, v3
	v_lshrrev_b32_e32 v7, 4, v3
	v_and_or_b32 v9, v5, s16, 0.5
	v_or_b32_e32 v7, 0x70000000, v7
	v_add_f32_e32 v9, -0.5, v9
	v_mul_f32_e32 v7, 0x7800000, v7
	v_cmp_gt_u32_e32 vcc, s17, v3
	v_bfe_i32 v5, v5, 0, 16
	v_cndmask_b32_e32 v3, v7, v9, vcc
	s_brev_b32 s16, 1
	v_and_or_b32 v5, v5, s16, v3
.LBB120_1816:
	s_mov_b64 s[16:17], 0
	s_mov_b64 s[18:19], -1
.LBB120_1817:
	s_andn2_b64 vcc, exec, s[16:17]
	s_mov_b64 s[16:17], 0
	s_cbranch_vccnz .LBB120_1828
; %bb.1818:
	v_cmp_gt_i16_e64 s[16:17], s26, 14
	s_and_b64 vcc, exec, s[16:17]
	s_cbranch_vccz .LBB120_1821
; %bb.1819:
	v_cmp_eq_u16_e64 s[6:7], s26, 15
	s_and_b64 vcc, exec, s[6:7]
	s_cbranch_vccz .LBB120_1824
; %bb.1820:
	global_load_ushort v3, v[20:21], off
	s_mov_b64 s[6:7], 0
	s_mov_b64 s[18:19], -1
	s_waitcnt vmcnt(0)
	v_lshlrev_b32_e32 v5, 16, v3
	s_branch .LBB120_1825
.LBB120_1821:
	s_mov_b64 s[20:21], -1
                                        ; implicit-def: $vgpr5
	s_branch .LBB120_1826
.LBB120_1822:
	s_or_saveexec_b64 s[18:19], s[18:19]
	v_mov_b32_e32 v5, s22
	s_xor_b64 exec, exec, s[18:19]
	s_cbranch_execz .LBB120_1803
.LBB120_1823:
	v_cmp_ne_u16_e32 vcc, 0, v3
	s_andn2_b64 s[16:17], s[16:17], exec
	s_and_b64 s[20:21], vcc, exec
	v_mov_b32_e32 v5, 0
	s_or_b64 s[16:17], s[16:17], s[20:21]
	s_or_b64 exec, exec, s[18:19]
	s_and_saveexec_b64 s[18:19], s[16:17]
	s_cbranch_execnz .LBB120_1804
	s_branch .LBB120_1805
.LBB120_1824:
	s_mov_b64 s[6:7], -1
                                        ; implicit-def: $vgpr5
.LBB120_1825:
	s_mov_b64 s[20:21], 0
.LBB120_1826:
	s_mov_b64 s[16:17], 0
	s_and_b64 vcc, exec, s[20:21]
	s_cbranch_vccz .LBB120_1828
; %bb.1827:
	v_cmp_ne_u16_e64 s[6:7], s26, 11
	s_mov_b64 s[16:17], -1
                                        ; implicit-def: $vgpr5
.LBB120_1828:
	s_and_b64 vcc, exec, s[6:7]
	s_cbranch_vccnz .LBB120_1891
; %bb.1829:
	s_andn2_b64 vcc, exec, s[16:17]
	s_cbranch_vccnz .LBB120_1831
.LBB120_1830:
	global_load_ubyte v3, v[20:21], off
	s_mov_b64 s[18:19], -1
	s_waitcnt vmcnt(0)
	v_cmp_ne_u16_e32 vcc, 0, v3
	v_cndmask_b32_e64 v5, 0, 1.0, vcc
.LBB120_1831:
	s_branch .LBB120_1758
.LBB120_1832:
	v_cmp_lt_i16_e64 s[6:7], s26, 5
	s_and_b64 vcc, exec, s[6:7]
	s_cbranch_vccnz .LBB120_1837
; %bb.1833:
	v_cmp_lt_i16_e64 s[6:7], s26, 8
	s_and_b64 vcc, exec, s[6:7]
	s_cbranch_vccnz .LBB120_1838
; %bb.1834:
	;; [unrolled: 4-line block ×3, first 2 shown]
	v_cmp_gt_i16_e64 s[6:7], s26, 9
	s_and_b64 vcc, exec, s[6:7]
	s_cbranch_vccz .LBB120_1840
; %bb.1836:
	global_load_dwordx2 v[22:23], v[20:21], off
	s_mov_b64 s[6:7], 0
	s_waitcnt vmcnt(0)
	v_cvt_f32_f64_e32 v5, v[22:23]
	s_branch .LBB120_1841
.LBB120_1837:
                                        ; implicit-def: $vgpr5
	s_branch .LBB120_1859
.LBB120_1838:
	s_mov_b64 s[6:7], -1
                                        ; implicit-def: $vgpr5
	s_branch .LBB120_1847
.LBB120_1839:
	s_mov_b64 s[6:7], -1
                                        ; implicit-def: $vgpr5
	s_branch .LBB120_1844
.LBB120_1840:
	s_mov_b64 s[6:7], -1
                                        ; implicit-def: $vgpr5
.LBB120_1841:
	s_andn2_b64 vcc, exec, s[6:7]
	s_cbranch_vccnz .LBB120_1843
; %bb.1842:
	global_load_dword v5, v[20:21], off
.LBB120_1843:
	s_mov_b64 s[6:7], 0
.LBB120_1844:
	s_andn2_b64 vcc, exec, s[6:7]
	s_cbranch_vccnz .LBB120_1846
; %bb.1845:
	global_load_dword v3, v[20:21], off
	s_waitcnt vmcnt(0)
	v_cvt_f32_f16_e32 v5, v3
.LBB120_1846:
	s_mov_b64 s[6:7], 0
.LBB120_1847:
	s_andn2_b64 vcc, exec, s[6:7]
	s_cbranch_vccnz .LBB120_1858
; %bb.1848:
	v_cmp_lt_i16_e64 s[6:7], s26, 6
	s_and_b64 vcc, exec, s[6:7]
	s_cbranch_vccnz .LBB120_1851
; %bb.1849:
	v_cmp_gt_i16_e64 s[6:7], s26, 6
	s_and_b64 vcc, exec, s[6:7]
	s_cbranch_vccz .LBB120_1852
; %bb.1850:
	global_load_dwordx2 v[22:23], v[20:21], off
	s_mov_b64 s[6:7], 0
	s_waitcnt vmcnt(0)
	v_cvt_f32_f64_e32 v5, v[22:23]
	s_branch .LBB120_1853
.LBB120_1851:
	s_mov_b64 s[6:7], -1
                                        ; implicit-def: $vgpr5
	s_branch .LBB120_1856
.LBB120_1852:
	s_mov_b64 s[6:7], -1
                                        ; implicit-def: $vgpr5
.LBB120_1853:
	s_andn2_b64 vcc, exec, s[6:7]
	s_cbranch_vccnz .LBB120_1855
; %bb.1854:
	global_load_dword v5, v[20:21], off
.LBB120_1855:
	s_mov_b64 s[6:7], 0
.LBB120_1856:
	s_andn2_b64 vcc, exec, s[6:7]
	s_cbranch_vccnz .LBB120_1858
; %bb.1857:
	global_load_ushort v3, v[20:21], off
	s_waitcnt vmcnt(0)
	v_cvt_f32_f16_e32 v5, v3
.LBB120_1858:
	s_cbranch_execnz .LBB120_1878
.LBB120_1859:
	v_cmp_lt_i16_e64 s[6:7], s26, 2
	s_and_b64 vcc, exec, s[6:7]
	s_cbranch_vccnz .LBB120_1863
; %bb.1860:
	v_cmp_lt_i16_e64 s[6:7], s26, 3
	s_and_b64 vcc, exec, s[6:7]
	s_cbranch_vccnz .LBB120_1864
; %bb.1861:
	v_cmp_gt_i16_e64 s[6:7], s26, 3
	s_and_b64 vcc, exec, s[6:7]
	s_cbranch_vccz .LBB120_1865
; %bb.1862:
	global_load_dwordx2 v[22:23], v[20:21], off
	s_mov_b64 s[6:7], 0
	s_waitcnt vmcnt(0)
	v_xor_b32_e32 v5, v22, v23
	v_ffbh_i32_e32 v3, v23
	v_ashrrev_i32_e32 v5, 31, v5
	v_add_u32_e32 v3, -1, v3
	v_add_u32_e32 v5, 32, v5
	v_min_u32_e32 v3, v3, v5
	v_lshlrev_b64 v[22:23], v3, v[22:23]
	v_min_u32_e32 v5, 1, v22
	v_or_b32_e32 v5, v23, v5
	v_cvt_f32_i32_e32 v5, v5
	v_sub_u32_e32 v3, 32, v3
	v_ldexp_f32 v5, v5, v3
	s_branch .LBB120_1866
.LBB120_1863:
	s_mov_b64 s[6:7], -1
                                        ; implicit-def: $vgpr5
	s_branch .LBB120_1872
.LBB120_1864:
	s_mov_b64 s[6:7], -1
                                        ; implicit-def: $vgpr5
	s_branch .LBB120_1869
.LBB120_1865:
	s_mov_b64 s[6:7], -1
                                        ; implicit-def: $vgpr5
.LBB120_1866:
	s_andn2_b64 vcc, exec, s[6:7]
	s_cbranch_vccnz .LBB120_1868
; %bb.1867:
	global_load_dword v3, v[20:21], off
	s_waitcnt vmcnt(0)
	v_cvt_f32_i32_e32 v5, v3
.LBB120_1868:
	s_mov_b64 s[6:7], 0
.LBB120_1869:
	s_andn2_b64 vcc, exec, s[6:7]
	s_cbranch_vccnz .LBB120_1871
; %bb.1870:
	global_load_sshort v3, v[20:21], off
	s_waitcnt vmcnt(0)
	v_cvt_f32_i32_e32 v5, v3
.LBB120_1871:
	s_mov_b64 s[6:7], 0
.LBB120_1872:
	s_andn2_b64 vcc, exec, s[6:7]
	s_cbranch_vccnz .LBB120_1878
; %bb.1873:
	v_cmp_gt_i16_e64 s[6:7], s26, 0
	s_and_b64 vcc, exec, s[6:7]
	s_cbranch_vccz .LBB120_1875
; %bb.1874:
	global_load_sbyte v3, v[20:21], off
	s_mov_b64 s[6:7], 0
	s_waitcnt vmcnt(0)
	v_cvt_f32_i32_e32 v5, v3
	s_branch .LBB120_1876
.LBB120_1875:
	s_mov_b64 s[6:7], -1
                                        ; implicit-def: $vgpr5
.LBB120_1876:
	s_andn2_b64 vcc, exec, s[6:7]
	s_cbranch_vccnz .LBB120_1878
; %bb.1877:
	global_load_ubyte v3, v[20:21], off
	s_waitcnt vmcnt(0)
	v_cvt_f32_ubyte0_e32 v5, v3
.LBB120_1878:
.LBB120_1879:
	v_mov_b32_e32 v3, s11
	v_add_co_u32_e32 v18, vcc, s10, v18
	v_addc_co_u32_e32 v19, vcc, 0, v3, vcc
	v_mov_b32_e32 v3, 11
	v_cmp_lt_i16_sdwa s[6:7], s25, v3 src0_sel:BYTE_0 src1_sel:DWORD
	s_and_b64 vcc, exec, s[6:7]
	s_cbranch_vccnz .LBB120_1886
; %bb.1880:
	v_mov_b32_e32 v3, 25
	v_cmp_gt_i16_sdwa s[6:7], s25, v3 src0_sel:BYTE_0 src1_sel:DWORD
	s_mov_b64 s[16:17], 0
	s_and_b64 vcc, exec, s[6:7]
	s_cbranch_vccz .LBB120_1888
; %bb.1881:
	v_mov_b32_e32 v3, 28
	v_cmp_gt_i16_sdwa s[6:7], s25, v3 src0_sel:BYTE_0 src1_sel:DWORD
	s_and_b64 vcc, exec, s[6:7]
	s_cbranch_vccz .LBB120_1889
; %bb.1882:
	v_mov_b32_e32 v3, 43
	v_cmp_gt_i16_sdwa s[6:7], s25, v3 src0_sel:BYTE_0 src1_sel:DWORD
	;; [unrolled: 5-line block ×3, first 2 shown]
	s_and_b64 vcc, exec, s[6:7]
	s_cbranch_vccz .LBB120_1892
; %bb.1884:
	v_mov_b32_e32 v3, 46
	v_cmp_eq_u16_sdwa s[6:7], s25, v3 src0_sel:BYTE_0 src1_sel:DWORD
	s_mov_b64 s[20:21], 0
	s_and_b64 vcc, exec, s[6:7]
	s_cbranch_vccz .LBB120_1893
; %bb.1885:
	global_load_dword v3, v[18:19], off
	s_mov_b64 s[6:7], 0
	s_mov_b64 s[18:19], -1
	s_waitcnt vmcnt(0)
	v_lshlrev_b32_e32 v3, 16, v3
	s_branch .LBB120_1894
.LBB120_1886:
	s_mov_b64 s[18:19], 0
                                        ; implicit-def: $vgpr3
	s_cbranch_execnz .LBB120_1960
.LBB120_1887:
	s_andn2_b64 vcc, exec, s[18:19]
	s_cbranch_vccnz .LBB120_3113
	s_branch .LBB120_2008
.LBB120_1888:
	s_mov_b64 s[20:21], -1
	s_mov_b64 s[18:19], 0
	s_mov_b64 s[6:7], 0
                                        ; implicit-def: $vgpr3
	s_branch .LBB120_1923
.LBB120_1889:
	s_mov_b64 s[20:21], -1
	s_mov_b64 s[18:19], 0
	s_mov_b64 s[6:7], 0
                                        ; implicit-def: $vgpr3
	s_branch .LBB120_1904
.LBB120_1890:
	s_mov_b64 s[20:21], -1
	s_mov_b64 s[18:19], 0
	s_mov_b64 s[6:7], 0
                                        ; implicit-def: $vgpr3
	s_branch .LBB120_1899
.LBB120_1891:
	s_trap 2
	s_or_b64 s[4:5], s[4:5], exec
                                        ; implicit-def: $vgpr5
	s_cbranch_execz .LBB120_1830
	s_branch .LBB120_1831
.LBB120_1892:
	s_mov_b64 s[20:21], -1
	s_mov_b64 s[18:19], 0
	s_mov_b64 s[6:7], 0
                                        ; implicit-def: $vgpr3
	s_branch .LBB120_1894
.LBB120_1893:
	s_mov_b64 s[6:7], -1
                                        ; implicit-def: $vgpr3
	s_mov_b64 s[18:19], 0
.LBB120_1894:
	s_and_b64 vcc, exec, s[20:21]
	s_cbranch_vccz .LBB120_1898
; %bb.1895:
	v_mov_b32_e32 v3, 44
	v_cmp_eq_u16_sdwa s[6:7], s25, v3 src0_sel:BYTE_0 src1_sel:DWORD
	s_and_b64 vcc, exec, s[6:7]
	s_cbranch_vccz .LBB120_1897
; %bb.1896:
	global_load_ubyte v3, v[18:19], off
	s_movk_i32 s18, 0xff
	v_mov_b32_e32 v7, 0x7f800001
	v_mov_b32_e32 v9, 0x400000
	s_mov_b64 s[6:7], 0
	s_waitcnt vmcnt(0)
	v_lshlrev_b32_e32 v11, 23, v3
	v_cmp_ne_u32_e32 vcc, s18, v3
	v_cndmask_b32_e32 v7, v7, v11, vcc
	v_cmp_ne_u32_e32 vcc, 0, v3
	v_cndmask_b32_e32 v3, v9, v7, vcc
	s_mov_b64 s[18:19], -1
	s_branch .LBB120_1898
.LBB120_1897:
	s_mov_b64 s[6:7], -1
                                        ; implicit-def: $vgpr3
.LBB120_1898:
	s_mov_b64 s[20:21], 0
.LBB120_1899:
	s_and_b64 vcc, exec, s[20:21]
	s_cbranch_vccz .LBB120_1903
; %bb.1900:
	v_mov_b32_e32 v3, 29
	v_cmp_eq_u16_sdwa s[6:7], s25, v3 src0_sel:BYTE_0 src1_sel:DWORD
	s_and_b64 vcc, exec, s[6:7]
	s_cbranch_vccz .LBB120_1902
; %bb.1901:
	global_load_dwordx2 v[20:21], v[18:19], off
	s_mov_b64 s[6:7], 0
	s_mov_b64 s[18:19], -1
	s_mov_b64 s[20:21], 0
	s_waitcnt vmcnt(0)
	v_ffbh_u32_e32 v3, v21
	v_min_u32_e32 v3, 32, v3
	v_lshlrev_b64 v[20:21], v3, v[20:21]
	v_min_u32_e32 v7, 1, v20
	v_or_b32_e32 v7, v21, v7
	v_cvt_f32_u32_e32 v7, v7
	v_sub_u32_e32 v3, 32, v3
	v_ldexp_f32 v3, v7, v3
	s_branch .LBB120_1904
.LBB120_1902:
	s_mov_b64 s[6:7], -1
                                        ; implicit-def: $vgpr3
.LBB120_1903:
	s_mov_b64 s[20:21], 0
.LBB120_1904:
	s_and_b64 vcc, exec, s[20:21]
	s_cbranch_vccz .LBB120_1922
; %bb.1905:
	v_mov_b32_e32 v3, 27
	v_cmp_lt_i16_sdwa s[18:19], s25, v3 src0_sel:BYTE_0 src1_sel:DWORD
	s_and_b64 vcc, exec, s[18:19]
	s_cbranch_vccnz .LBB120_1908
; %bb.1906:
	v_cmp_gt_i16_sdwa s[18:19], s25, v3 src0_sel:BYTE_0 src1_sel:DWORD
	s_and_b64 vcc, exec, s[18:19]
	s_cbranch_vccz .LBB120_1909
; %bb.1907:
	global_load_dword v3, v[18:19], off
	s_mov_b64 s[18:19], 0
	s_waitcnt vmcnt(0)
	v_cvt_f32_u32_e32 v3, v3
	s_branch .LBB120_1910
.LBB120_1908:
	s_mov_b64 s[18:19], -1
                                        ; implicit-def: $vgpr3
	s_branch .LBB120_1913
.LBB120_1909:
	s_mov_b64 s[18:19], -1
                                        ; implicit-def: $vgpr3
.LBB120_1910:
	s_andn2_b64 vcc, exec, s[18:19]
	s_cbranch_vccnz .LBB120_1912
; %bb.1911:
	global_load_ushort v3, v[18:19], off
	s_waitcnt vmcnt(0)
	v_cvt_f32_u32_e32 v3, v3
.LBB120_1912:
	s_mov_b64 s[18:19], 0
.LBB120_1913:
	s_andn2_b64 vcc, exec, s[18:19]
	s_cbranch_vccnz .LBB120_1921
; %bb.1914:
	global_load_ubyte v7, v[18:19], off
	s_movk_i32 s18, 0x7f
                                        ; implicit-def: $sgpr27
	s_waitcnt vmcnt(0)
	v_cmp_lt_i16_e32 vcc, s18, v7
	s_mov_b64 s[18:19], 0
	s_and_saveexec_b64 s[20:21], vcc
	s_xor_b64 s[20:21], exec, s[20:21]
	s_cbranch_execz .LBB120_1935
; %bb.1915:
	s_movk_i32 s18, 0x80
	v_cmp_eq_u16_e32 vcc, s18, v7
	s_mov_b64 s[18:19], -1
                                        ; implicit-def: $sgpr27
	s_and_saveexec_b64 s[22:23], vcc
; %bb.1916:
	s_mov_b32 s27, 0x7f800001
	s_xor_b64 s[18:19], exec, -1
; %bb.1917:
	s_or_b64 exec, exec, s[22:23]
	s_and_b64 s[18:19], s[18:19], exec
	s_or_saveexec_b64 s[20:21], s[20:21]
	v_mov_b32_e32 v3, s27
	s_xor_b64 exec, exec, s[20:21]
	s_cbranch_execnz .LBB120_1936
.LBB120_1918:
	s_or_b64 exec, exec, s[20:21]
	s_and_saveexec_b64 s[20:21], s[18:19]
	s_cbranch_execz .LBB120_1920
.LBB120_1919:
	v_lshlrev_b32_e32 v3, 24, v7
	v_and_b32_e32 v7, 0xffff, v7
	v_and_b32_e32 v9, 7, v7
	v_ffbh_u32_e32 v13, v9
	v_min_u32_e32 v13, 32, v13
	v_subrev_u32_e32 v15, 28, v13
	v_bfe_u32 v11, v7, 3, 4
	v_lshlrev_b32_e32 v7, v15, v7
	v_sub_u32_e32 v13, 29, v13
	v_and_b32_e32 v7, 7, v7
	v_cmp_eq_u32_e32 vcc, 0, v11
	v_cndmask_b32_e32 v11, v11, v13, vcc
	v_cndmask_b32_e32 v7, v9, v7, vcc
	v_mov_b32_e32 v9, 0x3b800000
	v_lshlrev_b32_e32 v7, 20, v7
	v_and_b32_e32 v3, 0x80000000, v3
	v_lshl_add_u32 v9, v11, 23, v9
	v_or3_b32 v3, v3, v9, v7
.LBB120_1920:
	s_or_b64 exec, exec, s[20:21]
.LBB120_1921:
	s_mov_b64 s[18:19], -1
.LBB120_1922:
	s_mov_b64 s[20:21], 0
.LBB120_1923:
	s_and_b64 vcc, exec, s[20:21]
	s_cbranch_vccz .LBB120_1956
; %bb.1924:
	v_mov_b32_e32 v3, 22
	v_cmp_gt_i16_sdwa s[16:17], s25, v3 src0_sel:BYTE_0 src1_sel:DWORD
	s_and_b64 vcc, exec, s[16:17]
	s_cbranch_vccz .LBB120_1934
; %bb.1925:
	v_mov_b32_e32 v3, 24
	v_cmp_lt_i16_sdwa s[16:17], s25, v3 src0_sel:BYTE_0 src1_sel:DWORD
	s_and_b64 vcc, exec, s[16:17]
	s_cbranch_vccnz .LBB120_1937
; %bb.1926:
	v_cmp_gt_i16_sdwa s[16:17], s25, v3 src0_sel:BYTE_0 src1_sel:DWORD
	s_and_b64 vcc, exec, s[16:17]
	s_cbranch_vccz .LBB120_1938
; %bb.1927:
	global_load_ubyte v7, v[18:19], off
	s_movk_i32 s16, 0x7f
                                        ; implicit-def: $sgpr22
	s_waitcnt vmcnt(0)
	v_cmp_lt_i16_e32 vcc, s16, v7
	s_mov_b64 s[16:17], 0
	s_and_saveexec_b64 s[18:19], vcc
	s_xor_b64 s[18:19], exec, s[18:19]
	s_cbranch_execz .LBB120_1950
; %bb.1928:
	s_movk_i32 s16, 0x80
	v_cmp_eq_u16_e32 vcc, s16, v7
	s_mov_b64 s[16:17], -1
                                        ; implicit-def: $sgpr22
	s_and_saveexec_b64 s[20:21], vcc
; %bb.1929:
	s_mov_b32 s22, 0x7f800001
	s_xor_b64 s[16:17], exec, -1
; %bb.1930:
	s_or_b64 exec, exec, s[20:21]
	s_and_b64 s[16:17], s[16:17], exec
	s_or_saveexec_b64 s[18:19], s[18:19]
	v_mov_b32_e32 v3, s22
	s_xor_b64 exec, exec, s[18:19]
	s_cbranch_execnz .LBB120_1951
.LBB120_1931:
	s_or_b64 exec, exec, s[18:19]
	s_and_saveexec_b64 s[18:19], s[16:17]
	s_cbranch_execz .LBB120_1933
.LBB120_1932:
	v_lshlrev_b32_e32 v3, 24, v7
	v_and_b32_e32 v7, 0xffff, v7
	v_and_b32_e32 v9, 3, v7
	v_ffbh_u32_e32 v13, v9
	v_min_u32_e32 v13, 32, v13
	v_subrev_u32_e32 v15, 29, v13
	v_bfe_u32 v11, v7, 2, 5
	v_lshlrev_b32_e32 v7, v15, v7
	v_sub_u32_e32 v13, 30, v13
	v_and_b32_e32 v7, 3, v7
	v_cmp_eq_u32_e32 vcc, 0, v11
	v_cndmask_b32_e32 v11, v11, v13, vcc
	v_cndmask_b32_e32 v7, v9, v7, vcc
	v_mov_b32_e32 v9, 0x37800000
	v_lshlrev_b32_e32 v7, 21, v7
	v_and_b32_e32 v3, 0x80000000, v3
	v_lshl_add_u32 v9, v11, 23, v9
	v_or3_b32 v3, v3, v9, v7
.LBB120_1933:
	s_or_b64 exec, exec, s[18:19]
	s_mov_b64 s[16:17], 0
	s_branch .LBB120_1939
.LBB120_1934:
	s_mov_b64 s[16:17], -1
                                        ; implicit-def: $vgpr3
	s_branch .LBB120_1945
.LBB120_1935:
	s_or_saveexec_b64 s[20:21], s[20:21]
	v_mov_b32_e32 v3, s27
	s_xor_b64 exec, exec, s[20:21]
	s_cbranch_execz .LBB120_1918
.LBB120_1936:
	v_cmp_ne_u16_e32 vcc, 0, v7
	s_andn2_b64 s[18:19], s[18:19], exec
	s_and_b64 s[22:23], vcc, exec
	v_mov_b32_e32 v3, 0
	s_or_b64 s[18:19], s[18:19], s[22:23]
	s_or_b64 exec, exec, s[20:21]
	s_and_saveexec_b64 s[20:21], s[18:19]
	s_cbranch_execnz .LBB120_1919
	s_branch .LBB120_1920
.LBB120_1937:
	s_mov_b64 s[16:17], -1
                                        ; implicit-def: $vgpr3
	s_branch .LBB120_1942
.LBB120_1938:
	s_mov_b64 s[16:17], -1
                                        ; implicit-def: $vgpr3
.LBB120_1939:
	s_and_b64 vcc, exec, s[16:17]
	s_cbranch_vccz .LBB120_1941
; %bb.1940:
	global_load_ubyte v3, v[18:19], off
	s_mov_b32 s16, 0x7f800000
	s_waitcnt vmcnt(0)
	v_lshlrev_b32_e32 v3, 24, v3
	v_and_b32_e32 v7, 0x7f000000, v3
	v_ffbh_u32_e32 v9, v7
	v_min_u32_e32 v9, 32, v9
	v_sub_u32_e64 v9, v9, 4 clamp
	v_lshlrev_b32_e32 v13, v9, v7
	v_lshlrev_b32_e32 v9, 23, v9
	v_lshrrev_b32_e32 v13, 4, v13
	v_add_u32_e32 v11, 0x1000000, v7
	v_sub_u32_e32 v9, v13, v9
	v_ashrrev_i32_e32 v11, 8, v11
	v_add_u32_e32 v9, 0x3c000000, v9
	v_and_or_b32 v9, v11, s16, v9
	v_cmp_ne_u32_e32 vcc, 0, v7
	v_cndmask_b32_e32 v7, 0, v9, vcc
	s_brev_b32 s16, 1
	v_and_or_b32 v3, v3, s16, v7
.LBB120_1941:
	s_mov_b64 s[16:17], 0
.LBB120_1942:
	s_andn2_b64 vcc, exec, s[16:17]
	s_cbranch_vccnz .LBB120_1944
; %bb.1943:
	global_load_ubyte v3, v[18:19], off
	s_movk_i32 s16, 0x7f00
	s_brev_b32 s17, 16
	s_waitcnt vmcnt(0)
	v_lshlrev_b16_e32 v7, 8, v3
	v_lshlrev_b32_e32 v3, 25, v3
	v_lshrrev_b32_e32 v9, 4, v3
	v_and_or_b32 v11, v7, s16, 0.5
	v_or_b32_e32 v9, 0x70000000, v9
	v_add_f32_e32 v11, -0.5, v11
	v_mul_f32_e32 v9, 0x7800000, v9
	v_cmp_gt_u32_e32 vcc, s17, v3
	v_bfe_i32 v7, v7, 0, 16
	v_cndmask_b32_e32 v3, v9, v11, vcc
	s_brev_b32 s16, 1
	v_and_or_b32 v3, v7, s16, v3
.LBB120_1944:
	s_mov_b64 s[16:17], 0
	s_mov_b64 s[18:19], -1
.LBB120_1945:
	s_andn2_b64 vcc, exec, s[16:17]
	s_mov_b64 s[16:17], 0
	s_cbranch_vccnz .LBB120_1956
; %bb.1946:
	v_mov_b32_e32 v3, 14
	v_cmp_gt_i16_sdwa s[16:17], s25, v3 src0_sel:BYTE_0 src1_sel:DWORD
	s_and_b64 vcc, exec, s[16:17]
	s_cbranch_vccz .LBB120_1949
; %bb.1947:
	v_mov_b32_e32 v3, 15
	v_cmp_eq_u16_sdwa s[6:7], s25, v3 src0_sel:BYTE_0 src1_sel:DWORD
	s_and_b64 vcc, exec, s[6:7]
	s_cbranch_vccz .LBB120_1952
; %bb.1948:
	global_load_ushort v3, v[18:19], off
	s_mov_b64 s[6:7], 0
	s_mov_b64 s[18:19], -1
	s_waitcnt vmcnt(0)
	v_lshlrev_b32_e32 v3, 16, v3
	s_branch .LBB120_1953
.LBB120_1949:
	s_mov_b64 s[20:21], -1
                                        ; implicit-def: $vgpr3
	s_branch .LBB120_1954
.LBB120_1950:
	s_or_saveexec_b64 s[18:19], s[18:19]
	v_mov_b32_e32 v3, s22
	s_xor_b64 exec, exec, s[18:19]
	s_cbranch_execz .LBB120_1931
.LBB120_1951:
	v_cmp_ne_u16_e32 vcc, 0, v7
	s_andn2_b64 s[16:17], s[16:17], exec
	s_and_b64 s[20:21], vcc, exec
	v_mov_b32_e32 v3, 0
	s_or_b64 s[16:17], s[16:17], s[20:21]
	s_or_b64 exec, exec, s[18:19]
	s_and_saveexec_b64 s[18:19], s[16:17]
	s_cbranch_execnz .LBB120_1932
	s_branch .LBB120_1933
.LBB120_1952:
	s_mov_b64 s[6:7], -1
                                        ; implicit-def: $vgpr3
.LBB120_1953:
	s_mov_b64 s[20:21], 0
.LBB120_1954:
	s_mov_b64 s[16:17], 0
	s_and_b64 vcc, exec, s[20:21]
	s_cbranch_vccz .LBB120_1956
; %bb.1955:
	v_mov_b32_e32 v3, 11
	v_cmp_ne_u16_sdwa s[6:7], s25, v3 src0_sel:BYTE_0 src1_sel:DWORD
	s_mov_b64 s[16:17], -1
                                        ; implicit-def: $vgpr3
.LBB120_1956:
	s_and_b64 vcc, exec, s[6:7]
	s_cbranch_vccnz .LBB120_2019
; %bb.1957:
	s_andn2_b64 vcc, exec, s[16:17]
	s_cbranch_vccnz .LBB120_1959
.LBB120_1958:
	global_load_ubyte v3, v[18:19], off
	s_mov_b64 s[18:19], -1
	s_waitcnt vmcnt(0)
	v_cmp_ne_u16_e32 vcc, 0, v3
	v_cndmask_b32_e64 v3, 0, 1.0, vcc
.LBB120_1959:
	s_branch .LBB120_1887
.LBB120_1960:
	v_mov_b32_e32 v3, 5
	v_cmp_lt_i16_sdwa s[6:7], s25, v3 src0_sel:BYTE_0 src1_sel:DWORD
	s_and_b64 vcc, exec, s[6:7]
	s_cbranch_vccnz .LBB120_1965
; %bb.1961:
	v_mov_b32_e32 v3, 8
	v_cmp_lt_i16_sdwa s[6:7], s25, v3 src0_sel:BYTE_0 src1_sel:DWORD
	s_and_b64 vcc, exec, s[6:7]
	s_cbranch_vccnz .LBB120_1966
; %bb.1962:
	;; [unrolled: 5-line block ×3, first 2 shown]
	v_cmp_gt_i16_sdwa s[6:7], s25, v3 src0_sel:BYTE_0 src1_sel:DWORD
	s_and_b64 vcc, exec, s[6:7]
	s_cbranch_vccz .LBB120_1968
; %bb.1964:
	global_load_dwordx2 v[20:21], v[18:19], off
	s_mov_b64 s[6:7], 0
	s_waitcnt vmcnt(0)
	v_cvt_f32_f64_e32 v3, v[20:21]
	s_branch .LBB120_1969
.LBB120_1965:
	s_mov_b64 s[6:7], -1
                                        ; implicit-def: $vgpr3
	s_branch .LBB120_1987
.LBB120_1966:
	s_mov_b64 s[6:7], -1
                                        ; implicit-def: $vgpr3
	s_branch .LBB120_1975
.LBB120_1967:
	s_mov_b64 s[6:7], -1
                                        ; implicit-def: $vgpr3
	s_branch .LBB120_1972
.LBB120_1968:
	s_mov_b64 s[6:7], -1
                                        ; implicit-def: $vgpr3
.LBB120_1969:
	s_andn2_b64 vcc, exec, s[6:7]
	s_cbranch_vccnz .LBB120_1971
; %bb.1970:
	global_load_dword v3, v[18:19], off
.LBB120_1971:
	s_mov_b64 s[6:7], 0
.LBB120_1972:
	s_andn2_b64 vcc, exec, s[6:7]
	s_cbranch_vccnz .LBB120_1974
; %bb.1973:
	global_load_dword v3, v[18:19], off
	s_waitcnt vmcnt(0)
	v_cvt_f32_f16_e32 v3, v3
.LBB120_1974:
	s_mov_b64 s[6:7], 0
.LBB120_1975:
	s_andn2_b64 vcc, exec, s[6:7]
	s_cbranch_vccnz .LBB120_1986
; %bb.1976:
	s_waitcnt vmcnt(0)
	v_mov_b32_e32 v3, 6
	v_cmp_lt_i16_sdwa s[6:7], s25, v3 src0_sel:BYTE_0 src1_sel:DWORD
	s_and_b64 vcc, exec, s[6:7]
	s_cbranch_vccnz .LBB120_1979
; %bb.1977:
	v_cmp_gt_i16_sdwa s[6:7], s25, v3 src0_sel:BYTE_0 src1_sel:DWORD
	s_and_b64 vcc, exec, s[6:7]
	s_cbranch_vccz .LBB120_1980
; %bb.1978:
	global_load_dwordx2 v[20:21], v[18:19], off
	s_mov_b64 s[6:7], 0
	s_waitcnt vmcnt(0)
	v_cvt_f32_f64_e32 v3, v[20:21]
	s_branch .LBB120_1981
.LBB120_1979:
	s_mov_b64 s[6:7], -1
                                        ; implicit-def: $vgpr3
	s_branch .LBB120_1984
.LBB120_1980:
	s_mov_b64 s[6:7], -1
                                        ; implicit-def: $vgpr3
.LBB120_1981:
	s_andn2_b64 vcc, exec, s[6:7]
	s_cbranch_vccnz .LBB120_1983
; %bb.1982:
	global_load_dword v3, v[18:19], off
.LBB120_1983:
	s_mov_b64 s[6:7], 0
.LBB120_1984:
	s_andn2_b64 vcc, exec, s[6:7]
	s_cbranch_vccnz .LBB120_1986
; %bb.1985:
	global_load_ushort v3, v[18:19], off
	s_waitcnt vmcnt(0)
	v_cvt_f32_f16_e32 v3, v3
.LBB120_1986:
	s_mov_b64 s[6:7], 0
.LBB120_1987:
	s_andn2_b64 vcc, exec, s[6:7]
	s_cbranch_vccnz .LBB120_2007
; %bb.1988:
	s_waitcnt vmcnt(0)
	v_mov_b32_e32 v3, 2
	v_cmp_lt_i16_sdwa s[6:7], s25, v3 src0_sel:BYTE_0 src1_sel:DWORD
	s_and_b64 vcc, exec, s[6:7]
	s_cbranch_vccnz .LBB120_1992
; %bb.1989:
	v_mov_b32_e32 v3, 3
	v_cmp_lt_i16_sdwa s[6:7], s25, v3 src0_sel:BYTE_0 src1_sel:DWORD
	s_and_b64 vcc, exec, s[6:7]
	s_cbranch_vccnz .LBB120_1993
; %bb.1990:
	v_cmp_gt_i16_sdwa s[6:7], s25, v3 src0_sel:BYTE_0 src1_sel:DWORD
	s_and_b64 vcc, exec, s[6:7]
	s_cbranch_vccz .LBB120_1994
; %bb.1991:
	global_load_dwordx2 v[20:21], v[18:19], off
	s_mov_b64 s[6:7], 0
	s_waitcnt vmcnt(0)
	v_xor_b32_e32 v7, v20, v21
	v_ffbh_i32_e32 v3, v21
	v_ashrrev_i32_e32 v7, 31, v7
	v_add_u32_e32 v3, -1, v3
	v_add_u32_e32 v7, 32, v7
	v_min_u32_e32 v3, v3, v7
	v_lshlrev_b64 v[20:21], v3, v[20:21]
	v_min_u32_e32 v7, 1, v20
	v_or_b32_e32 v7, v21, v7
	v_cvt_f32_i32_e32 v7, v7
	v_sub_u32_e32 v3, 32, v3
	v_ldexp_f32 v3, v7, v3
	s_branch .LBB120_1995
.LBB120_1992:
	s_mov_b64 s[6:7], -1
                                        ; implicit-def: $vgpr3
	s_branch .LBB120_2001
.LBB120_1993:
	s_mov_b64 s[6:7], -1
                                        ; implicit-def: $vgpr3
	s_branch .LBB120_1998
.LBB120_1994:
	s_mov_b64 s[6:7], -1
                                        ; implicit-def: $vgpr3
.LBB120_1995:
	s_andn2_b64 vcc, exec, s[6:7]
	s_cbranch_vccnz .LBB120_1997
; %bb.1996:
	global_load_dword v3, v[18:19], off
	s_waitcnt vmcnt(0)
	v_cvt_f32_i32_e32 v3, v3
.LBB120_1997:
	s_mov_b64 s[6:7], 0
.LBB120_1998:
	s_andn2_b64 vcc, exec, s[6:7]
	s_cbranch_vccnz .LBB120_2000
; %bb.1999:
	global_load_sshort v3, v[18:19], off
	s_waitcnt vmcnt(0)
	v_cvt_f32_i32_e32 v3, v3
.LBB120_2000:
	s_mov_b64 s[6:7], 0
.LBB120_2001:
	s_andn2_b64 vcc, exec, s[6:7]
	s_cbranch_vccnz .LBB120_2007
; %bb.2002:
	v_mov_b32_e32 v3, 0
	v_cmp_gt_i16_sdwa s[6:7], s25, v3 src0_sel:BYTE_0 src1_sel:DWORD
	s_and_b64 vcc, exec, s[6:7]
	s_cbranch_vccz .LBB120_2004
; %bb.2003:
	global_load_sbyte v3, v[18:19], off
	s_mov_b64 s[6:7], 0
	s_waitcnt vmcnt(0)
	v_cvt_f32_i32_e32 v3, v3
	s_branch .LBB120_2005
.LBB120_2004:
	s_mov_b64 s[6:7], -1
                                        ; implicit-def: $vgpr3
.LBB120_2005:
	s_andn2_b64 vcc, exec, s[6:7]
	s_cbranch_vccnz .LBB120_2007
; %bb.2006:
	global_load_ubyte v3, v[18:19], off
	s_waitcnt vmcnt(0)
	v_cvt_f32_ubyte0_e32 v3, v3
.LBB120_2007:
.LBB120_2008:
	v_mov_b32_e32 v7, s1
	v_add_co_u32_e32 v16, vcc, s0, v16
	v_addc_co_u32_e32 v17, vcc, 0, v7, vcc
	s_and_b64 vcc, exec, s[2:3]
	s_cbranch_vccnz .LBB120_2015
; %bb.2009:
	v_cmp_gt_i16_e64 s[6:7], s26, 25
	s_mov_b64 s[16:17], 0
	s_and_b64 vcc, exec, s[6:7]
	s_cbranch_vccz .LBB120_2016
; %bb.2010:
	v_cmp_gt_i16_e64 s[6:7], s26, 28
	s_and_b64 vcc, exec, s[6:7]
	s_cbranch_vccz .LBB120_2017
; %bb.2011:
	v_cmp_gt_i16_e64 s[6:7], s26, 43
	s_and_b64 vcc, exec, s[6:7]
	s_cbranch_vccz .LBB120_2018
; %bb.2012:
	v_cmp_gt_i16_e64 s[6:7], s26, 45
	s_and_b64 vcc, exec, s[6:7]
	s_cbranch_vccz .LBB120_2020
; %bb.2013:
	v_cmp_eq_u16_e64 s[6:7], s26, 46
	s_mov_b64 s[20:21], 0
	s_and_b64 vcc, exec, s[6:7]
	s_cbranch_vccz .LBB120_2021
; %bb.2014:
	global_load_dword v7, v[16:17], off
	s_mov_b64 s[6:7], 0
	s_mov_b64 s[18:19], -1
	s_waitcnt vmcnt(0)
	v_lshlrev_b32_e32 v18, 16, v7
	s_branch .LBB120_2022
.LBB120_2015:
	s_mov_b64 s[6:7], -1
	s_mov_b64 s[18:19], 0
                                        ; implicit-def: $vgpr18
	s_branch .LBB120_2088
.LBB120_2016:
	s_mov_b64 s[20:21], -1
	s_mov_b64 s[18:19], 0
	s_mov_b64 s[6:7], 0
                                        ; implicit-def: $vgpr18
	s_branch .LBB120_2051
.LBB120_2017:
	s_mov_b64 s[20:21], -1
	s_mov_b64 s[18:19], 0
	s_mov_b64 s[6:7], 0
                                        ; implicit-def: $vgpr18
	s_branch .LBB120_2032
.LBB120_2018:
	s_mov_b64 s[20:21], -1
	s_mov_b64 s[18:19], 0
	s_mov_b64 s[6:7], 0
                                        ; implicit-def: $vgpr18
	s_branch .LBB120_2027
.LBB120_2019:
	s_trap 2
	s_or_b64 s[4:5], s[4:5], exec
                                        ; implicit-def: $vgpr3
	s_cbranch_execz .LBB120_1958
	s_branch .LBB120_1959
.LBB120_2020:
	s_mov_b64 s[20:21], -1
	s_mov_b64 s[18:19], 0
	s_mov_b64 s[6:7], 0
                                        ; implicit-def: $vgpr18
	s_branch .LBB120_2022
.LBB120_2021:
	s_mov_b64 s[6:7], -1
                                        ; implicit-def: $vgpr18
	s_mov_b64 s[18:19], 0
.LBB120_2022:
	s_and_b64 vcc, exec, s[20:21]
	s_cbranch_vccz .LBB120_2026
; %bb.2023:
	v_cmp_eq_u16_e64 s[6:7], s26, 44
	s_and_b64 vcc, exec, s[6:7]
	s_cbranch_vccz .LBB120_2025
; %bb.2024:
	global_load_ubyte v7, v[16:17], off
	s_movk_i32 s18, 0xff
	v_mov_b32_e32 v9, 0x7f800001
	v_mov_b32_e32 v11, 0x400000
	s_mov_b64 s[6:7], 0
	s_waitcnt vmcnt(0)
	v_lshlrev_b32_e32 v13, 23, v7
	v_cmp_ne_u32_e32 vcc, s18, v7
	v_cndmask_b32_e32 v9, v9, v13, vcc
	v_cmp_ne_u32_e32 vcc, 0, v7
	v_cndmask_b32_e32 v18, v11, v9, vcc
	s_mov_b64 s[18:19], -1
	s_branch .LBB120_2026
.LBB120_2025:
	s_mov_b64 s[6:7], -1
                                        ; implicit-def: $vgpr18
.LBB120_2026:
	s_mov_b64 s[20:21], 0
.LBB120_2027:
	s_and_b64 vcc, exec, s[20:21]
	s_cbranch_vccz .LBB120_2031
; %bb.2028:
	v_cmp_eq_u16_e64 s[6:7], s26, 29
	s_and_b64 vcc, exec, s[6:7]
	s_cbranch_vccz .LBB120_2030
; %bb.2029:
	global_load_dwordx2 v[18:19], v[16:17], off
	s_mov_b64 s[6:7], 0
	s_mov_b64 s[18:19], -1
	s_mov_b64 s[20:21], 0
	s_waitcnt vmcnt(0)
	v_ffbh_u32_e32 v7, v19
	v_min_u32_e32 v7, 32, v7
	v_lshlrev_b64 v[18:19], v7, v[18:19]
	v_min_u32_e32 v9, 1, v18
	v_or_b32_e32 v9, v19, v9
	v_cvt_f32_u32_e32 v9, v9
	v_sub_u32_e32 v7, 32, v7
	v_ldexp_f32 v18, v9, v7
	s_branch .LBB120_2032
.LBB120_2030:
	s_mov_b64 s[6:7], -1
                                        ; implicit-def: $vgpr18
.LBB120_2031:
	s_mov_b64 s[20:21], 0
.LBB120_2032:
	s_and_b64 vcc, exec, s[20:21]
	s_cbranch_vccz .LBB120_2050
; %bb.2033:
	v_cmp_lt_i16_e64 s[18:19], s26, 27
	s_and_b64 vcc, exec, s[18:19]
	s_cbranch_vccnz .LBB120_2036
; %bb.2034:
	v_cmp_gt_i16_e64 s[18:19], s26, 27
	s_and_b64 vcc, exec, s[18:19]
	s_cbranch_vccz .LBB120_2037
; %bb.2035:
	global_load_dword v7, v[16:17], off
	s_mov_b64 s[18:19], 0
	s_waitcnt vmcnt(0)
	v_cvt_f32_u32_e32 v18, v7
	s_branch .LBB120_2038
.LBB120_2036:
	s_mov_b64 s[18:19], -1
                                        ; implicit-def: $vgpr18
	s_branch .LBB120_2041
.LBB120_2037:
	s_mov_b64 s[18:19], -1
                                        ; implicit-def: $vgpr18
.LBB120_2038:
	s_andn2_b64 vcc, exec, s[18:19]
	s_cbranch_vccnz .LBB120_2040
; %bb.2039:
	global_load_ushort v7, v[16:17], off
	s_waitcnt vmcnt(0)
	v_cvt_f32_u32_e32 v18, v7
.LBB120_2040:
	s_mov_b64 s[18:19], 0
.LBB120_2041:
	s_andn2_b64 vcc, exec, s[18:19]
	s_cbranch_vccnz .LBB120_2049
; %bb.2042:
	global_load_ubyte v7, v[16:17], off
	s_movk_i32 s18, 0x7f
                                        ; implicit-def: $sgpr27
	s_waitcnt vmcnt(0)
	v_cmp_lt_i16_e32 vcc, s18, v7
	s_mov_b64 s[18:19], 0
	s_and_saveexec_b64 s[20:21], vcc
	s_xor_b64 s[20:21], exec, s[20:21]
	s_cbranch_execz .LBB120_2063
; %bb.2043:
	s_movk_i32 s18, 0x80
	v_cmp_eq_u16_e32 vcc, s18, v7
	s_mov_b64 s[18:19], -1
                                        ; implicit-def: $sgpr27
	s_and_saveexec_b64 s[22:23], vcc
; %bb.2044:
	s_mov_b32 s27, 0x7f800001
	s_xor_b64 s[18:19], exec, -1
; %bb.2045:
	s_or_b64 exec, exec, s[22:23]
	s_and_b64 s[18:19], s[18:19], exec
	s_or_saveexec_b64 s[20:21], s[20:21]
	v_mov_b32_e32 v18, s27
	s_xor_b64 exec, exec, s[20:21]
	s_cbranch_execnz .LBB120_2064
.LBB120_2046:
	s_or_b64 exec, exec, s[20:21]
	s_and_saveexec_b64 s[20:21], s[18:19]
	s_cbranch_execz .LBB120_2048
.LBB120_2047:
	v_lshlrev_b32_e32 v9, 24, v7
	v_and_b32_e32 v7, 0xffff, v7
	v_and_b32_e32 v11, 7, v7
	v_ffbh_u32_e32 v15, v11
	v_min_u32_e32 v15, 32, v15
	v_subrev_u32_e32 v18, 28, v15
	v_bfe_u32 v13, v7, 3, 4
	v_lshlrev_b32_e32 v7, v18, v7
	v_sub_u32_e32 v15, 29, v15
	v_and_b32_e32 v7, 7, v7
	v_cmp_eq_u32_e32 vcc, 0, v13
	v_cndmask_b32_e32 v13, v13, v15, vcc
	v_cndmask_b32_e32 v7, v11, v7, vcc
	v_mov_b32_e32 v11, 0x3b800000
	v_lshlrev_b32_e32 v7, 20, v7
	v_and_b32_e32 v9, 0x80000000, v9
	v_lshl_add_u32 v11, v13, 23, v11
	v_or3_b32 v18, v9, v11, v7
.LBB120_2048:
	s_or_b64 exec, exec, s[20:21]
.LBB120_2049:
	s_mov_b64 s[18:19], -1
.LBB120_2050:
	s_mov_b64 s[20:21], 0
.LBB120_2051:
	s_and_b64 vcc, exec, s[20:21]
	s_cbranch_vccz .LBB120_2084
; %bb.2052:
	v_cmp_gt_i16_e64 s[16:17], s26, 22
	s_and_b64 vcc, exec, s[16:17]
	s_cbranch_vccz .LBB120_2062
; %bb.2053:
	v_cmp_lt_i16_e64 s[16:17], s26, 24
	s_and_b64 vcc, exec, s[16:17]
	s_cbranch_vccnz .LBB120_2065
; %bb.2054:
	v_cmp_gt_i16_e64 s[16:17], s26, 24
	s_and_b64 vcc, exec, s[16:17]
	s_cbranch_vccz .LBB120_2066
; %bb.2055:
	global_load_ubyte v7, v[16:17], off
	s_movk_i32 s16, 0x7f
                                        ; implicit-def: $sgpr22
	s_waitcnt vmcnt(0)
	v_cmp_lt_i16_e32 vcc, s16, v7
	s_mov_b64 s[16:17], 0
	s_and_saveexec_b64 s[18:19], vcc
	s_xor_b64 s[18:19], exec, s[18:19]
	s_cbranch_execz .LBB120_2078
; %bb.2056:
	s_movk_i32 s16, 0x80
	v_cmp_eq_u16_e32 vcc, s16, v7
	s_mov_b64 s[16:17], -1
                                        ; implicit-def: $sgpr22
	s_and_saveexec_b64 s[20:21], vcc
; %bb.2057:
	s_mov_b32 s22, 0x7f800001
	s_xor_b64 s[16:17], exec, -1
; %bb.2058:
	s_or_b64 exec, exec, s[20:21]
	s_and_b64 s[16:17], s[16:17], exec
	s_or_saveexec_b64 s[18:19], s[18:19]
	v_mov_b32_e32 v18, s22
	s_xor_b64 exec, exec, s[18:19]
	s_cbranch_execnz .LBB120_2079
.LBB120_2059:
	s_or_b64 exec, exec, s[18:19]
	s_and_saveexec_b64 s[18:19], s[16:17]
	s_cbranch_execz .LBB120_2061
.LBB120_2060:
	v_lshlrev_b32_e32 v9, 24, v7
	v_and_b32_e32 v7, 0xffff, v7
	v_and_b32_e32 v11, 3, v7
	v_ffbh_u32_e32 v15, v11
	v_min_u32_e32 v15, 32, v15
	v_subrev_u32_e32 v18, 29, v15
	v_bfe_u32 v13, v7, 2, 5
	v_lshlrev_b32_e32 v7, v18, v7
	v_sub_u32_e32 v15, 30, v15
	v_and_b32_e32 v7, 3, v7
	v_cmp_eq_u32_e32 vcc, 0, v13
	v_cndmask_b32_e32 v13, v13, v15, vcc
	v_cndmask_b32_e32 v7, v11, v7, vcc
	v_mov_b32_e32 v11, 0x37800000
	v_lshlrev_b32_e32 v7, 21, v7
	v_and_b32_e32 v9, 0x80000000, v9
	v_lshl_add_u32 v11, v13, 23, v11
	v_or3_b32 v18, v9, v11, v7
.LBB120_2061:
	s_or_b64 exec, exec, s[18:19]
	s_mov_b64 s[16:17], 0
	s_branch .LBB120_2067
.LBB120_2062:
	s_mov_b64 s[16:17], -1
                                        ; implicit-def: $vgpr18
	s_branch .LBB120_2073
.LBB120_2063:
	s_or_saveexec_b64 s[20:21], s[20:21]
	v_mov_b32_e32 v18, s27
	s_xor_b64 exec, exec, s[20:21]
	s_cbranch_execz .LBB120_2046
.LBB120_2064:
	v_cmp_ne_u16_e32 vcc, 0, v7
	s_andn2_b64 s[18:19], s[18:19], exec
	s_and_b64 s[22:23], vcc, exec
	v_mov_b32_e32 v18, 0
	s_or_b64 s[18:19], s[18:19], s[22:23]
	s_or_b64 exec, exec, s[20:21]
	s_and_saveexec_b64 s[20:21], s[18:19]
	s_cbranch_execnz .LBB120_2047
	s_branch .LBB120_2048
.LBB120_2065:
	s_mov_b64 s[16:17], -1
                                        ; implicit-def: $vgpr18
	s_branch .LBB120_2070
.LBB120_2066:
	s_mov_b64 s[16:17], -1
                                        ; implicit-def: $vgpr18
.LBB120_2067:
	s_and_b64 vcc, exec, s[16:17]
	s_cbranch_vccz .LBB120_2069
; %bb.2068:
	global_load_ubyte v7, v[16:17], off
	s_mov_b32 s16, 0x7f800000
	s_waitcnt vmcnt(0)
	v_lshlrev_b32_e32 v7, 24, v7
	v_and_b32_e32 v9, 0x7f000000, v7
	v_ffbh_u32_e32 v11, v9
	v_min_u32_e32 v11, 32, v11
	v_sub_u32_e64 v11, v11, 4 clamp
	v_lshlrev_b32_e32 v15, v11, v9
	v_lshlrev_b32_e32 v11, 23, v11
	v_lshrrev_b32_e32 v15, 4, v15
	v_add_u32_e32 v13, 0x1000000, v9
	v_sub_u32_e32 v11, v15, v11
	v_ashrrev_i32_e32 v13, 8, v13
	v_add_u32_e32 v11, 0x3c000000, v11
	v_and_or_b32 v11, v13, s16, v11
	v_cmp_ne_u32_e32 vcc, 0, v9
	v_cndmask_b32_e32 v9, 0, v11, vcc
	s_brev_b32 s16, 1
	v_and_or_b32 v18, v7, s16, v9
.LBB120_2069:
	s_mov_b64 s[16:17], 0
.LBB120_2070:
	s_andn2_b64 vcc, exec, s[16:17]
	s_cbranch_vccnz .LBB120_2072
; %bb.2071:
	global_load_ubyte v7, v[16:17], off
	s_movk_i32 s16, 0x7f00
	s_brev_b32 s17, 16
	s_waitcnt vmcnt(0)
	v_lshlrev_b16_e32 v9, 8, v7
	v_lshlrev_b32_e32 v7, 25, v7
	v_lshrrev_b32_e32 v11, 4, v7
	v_and_or_b32 v13, v9, s16, 0.5
	v_or_b32_e32 v11, 0x70000000, v11
	v_add_f32_e32 v13, -0.5, v13
	v_mul_f32_e32 v11, 0x7800000, v11
	v_cmp_gt_u32_e32 vcc, s17, v7
	v_bfe_i32 v9, v9, 0, 16
	v_cndmask_b32_e32 v7, v11, v13, vcc
	s_brev_b32 s16, 1
	v_and_or_b32 v18, v9, s16, v7
.LBB120_2072:
	s_mov_b64 s[16:17], 0
	s_mov_b64 s[18:19], -1
.LBB120_2073:
	s_andn2_b64 vcc, exec, s[16:17]
	s_mov_b64 s[16:17], 0
	s_cbranch_vccnz .LBB120_2084
; %bb.2074:
	v_cmp_gt_i16_e64 s[16:17], s26, 14
	s_and_b64 vcc, exec, s[16:17]
	s_cbranch_vccz .LBB120_2077
; %bb.2075:
	v_cmp_eq_u16_e64 s[6:7], s26, 15
	s_and_b64 vcc, exec, s[6:7]
	s_cbranch_vccz .LBB120_2080
; %bb.2076:
	global_load_ushort v7, v[16:17], off
	s_mov_b64 s[6:7], 0
	s_mov_b64 s[18:19], -1
	s_waitcnt vmcnt(0)
	v_lshlrev_b32_e32 v18, 16, v7
	s_branch .LBB120_2081
.LBB120_2077:
	s_mov_b64 s[20:21], -1
                                        ; implicit-def: $vgpr18
	s_branch .LBB120_2082
.LBB120_2078:
	s_or_saveexec_b64 s[18:19], s[18:19]
	v_mov_b32_e32 v18, s22
	s_xor_b64 exec, exec, s[18:19]
	s_cbranch_execz .LBB120_2059
.LBB120_2079:
	v_cmp_ne_u16_e32 vcc, 0, v7
	s_andn2_b64 s[16:17], s[16:17], exec
	s_and_b64 s[20:21], vcc, exec
	v_mov_b32_e32 v18, 0
	s_or_b64 s[16:17], s[16:17], s[20:21]
	s_or_b64 exec, exec, s[18:19]
	s_and_saveexec_b64 s[18:19], s[16:17]
	s_cbranch_execnz .LBB120_2060
	s_branch .LBB120_2061
.LBB120_2080:
	s_mov_b64 s[6:7], -1
                                        ; implicit-def: $vgpr18
.LBB120_2081:
	s_mov_b64 s[20:21], 0
.LBB120_2082:
	s_mov_b64 s[16:17], 0
	s_and_b64 vcc, exec, s[20:21]
	s_cbranch_vccz .LBB120_2084
; %bb.2083:
	v_cmp_ne_u16_e64 s[6:7], s26, 11
	s_mov_b64 s[16:17], -1
                                        ; implicit-def: $vgpr18
.LBB120_2084:
	s_and_b64 vcc, exec, s[6:7]
	s_cbranch_vccnz .LBB120_2149
; %bb.2085:
	s_andn2_b64 vcc, exec, s[16:17]
	s_cbranch_vccnz .LBB120_2087
.LBB120_2086:
	global_load_ubyte v7, v[16:17], off
	s_mov_b64 s[18:19], -1
	s_waitcnt vmcnt(0)
	v_cmp_ne_u16_e32 vcc, 0, v7
	v_cndmask_b32_e64 v18, 0, 1.0, vcc
.LBB120_2087:
	s_mov_b64 s[6:7], 0
.LBB120_2088:
	s_and_b64 vcc, exec, s[6:7]
	s_cbranch_vccz .LBB120_2137
; %bb.2089:
	v_cmp_lt_i16_e64 s[6:7], s26, 5
	s_and_b64 vcc, exec, s[6:7]
	s_cbranch_vccnz .LBB120_2094
; %bb.2090:
	v_cmp_lt_i16_e64 s[6:7], s26, 8
	s_and_b64 vcc, exec, s[6:7]
	s_cbranch_vccnz .LBB120_2095
	;; [unrolled: 4-line block ×3, first 2 shown]
; %bb.2092:
	v_cmp_gt_i16_e64 s[6:7], s26, 9
	s_and_b64 vcc, exec, s[6:7]
	s_cbranch_vccz .LBB120_2097
; %bb.2093:
	global_load_dwordx2 v[18:19], v[16:17], off
	s_mov_b64 s[6:7], 0
	s_waitcnt vmcnt(0)
	v_cvt_f32_f64_e32 v18, v[18:19]
	s_branch .LBB120_2098
.LBB120_2094:
	s_mov_b64 s[6:7], -1
                                        ; implicit-def: $vgpr18
	s_branch .LBB120_2116
.LBB120_2095:
	s_mov_b64 s[6:7], -1
                                        ; implicit-def: $vgpr18
	s_branch .LBB120_2104
.LBB120_2096:
	s_mov_b64 s[6:7], -1
                                        ; implicit-def: $vgpr18
	s_branch .LBB120_2101
.LBB120_2097:
	s_mov_b64 s[6:7], -1
                                        ; implicit-def: $vgpr18
.LBB120_2098:
	s_andn2_b64 vcc, exec, s[6:7]
	s_cbranch_vccnz .LBB120_2100
; %bb.2099:
	global_load_dword v18, v[16:17], off
.LBB120_2100:
	s_mov_b64 s[6:7], 0
.LBB120_2101:
	s_andn2_b64 vcc, exec, s[6:7]
	s_cbranch_vccnz .LBB120_2103
; %bb.2102:
	global_load_dword v7, v[16:17], off
	s_waitcnt vmcnt(0)
	v_cvt_f32_f16_e32 v18, v7
.LBB120_2103:
	s_mov_b64 s[6:7], 0
.LBB120_2104:
	s_andn2_b64 vcc, exec, s[6:7]
	s_cbranch_vccnz .LBB120_2115
; %bb.2105:
	v_cmp_lt_i16_e64 s[6:7], s26, 6
	s_and_b64 vcc, exec, s[6:7]
	s_cbranch_vccnz .LBB120_2108
; %bb.2106:
	v_cmp_gt_i16_e64 s[6:7], s26, 6
	s_and_b64 vcc, exec, s[6:7]
	s_cbranch_vccz .LBB120_2109
; %bb.2107:
	global_load_dwordx2 v[18:19], v[16:17], off
	s_mov_b64 s[6:7], 0
	s_waitcnt vmcnt(0)
	v_cvt_f32_f64_e32 v18, v[18:19]
	s_branch .LBB120_2110
.LBB120_2108:
	s_mov_b64 s[6:7], -1
                                        ; implicit-def: $vgpr18
	s_branch .LBB120_2113
.LBB120_2109:
	s_mov_b64 s[6:7], -1
                                        ; implicit-def: $vgpr18
.LBB120_2110:
	s_andn2_b64 vcc, exec, s[6:7]
	s_cbranch_vccnz .LBB120_2112
; %bb.2111:
	global_load_dword v18, v[16:17], off
.LBB120_2112:
	s_mov_b64 s[6:7], 0
.LBB120_2113:
	s_andn2_b64 vcc, exec, s[6:7]
	s_cbranch_vccnz .LBB120_2115
; %bb.2114:
	global_load_ushort v7, v[16:17], off
	s_waitcnt vmcnt(0)
	v_cvt_f32_f16_e32 v18, v7
.LBB120_2115:
	s_mov_b64 s[6:7], 0
.LBB120_2116:
	s_andn2_b64 vcc, exec, s[6:7]
	s_cbranch_vccnz .LBB120_2136
; %bb.2117:
	v_cmp_lt_i16_e64 s[6:7], s26, 2
	s_and_b64 vcc, exec, s[6:7]
	s_cbranch_vccnz .LBB120_2121
; %bb.2118:
	v_cmp_lt_i16_e64 s[6:7], s26, 3
	s_and_b64 vcc, exec, s[6:7]
	s_cbranch_vccnz .LBB120_2122
; %bb.2119:
	v_cmp_gt_i16_e64 s[6:7], s26, 3
	s_and_b64 vcc, exec, s[6:7]
	s_cbranch_vccz .LBB120_2123
; %bb.2120:
	global_load_dwordx2 v[18:19], v[16:17], off
	s_mov_b64 s[6:7], 0
	s_waitcnt vmcnt(0)
	v_xor_b32_e32 v9, v18, v19
	v_ffbh_i32_e32 v7, v19
	v_ashrrev_i32_e32 v9, 31, v9
	v_add_u32_e32 v7, -1, v7
	v_add_u32_e32 v9, 32, v9
	v_min_u32_e32 v7, v7, v9
	v_lshlrev_b64 v[18:19], v7, v[18:19]
	v_min_u32_e32 v9, 1, v18
	v_or_b32_e32 v9, v19, v9
	v_cvt_f32_i32_e32 v9, v9
	v_sub_u32_e32 v7, 32, v7
	v_ldexp_f32 v18, v9, v7
	s_branch .LBB120_2124
.LBB120_2121:
	s_mov_b64 s[6:7], -1
                                        ; implicit-def: $vgpr18
	s_branch .LBB120_2130
.LBB120_2122:
	s_mov_b64 s[6:7], -1
                                        ; implicit-def: $vgpr18
	s_branch .LBB120_2127
.LBB120_2123:
	s_mov_b64 s[6:7], -1
                                        ; implicit-def: $vgpr18
.LBB120_2124:
	s_andn2_b64 vcc, exec, s[6:7]
	s_cbranch_vccnz .LBB120_2126
; %bb.2125:
	global_load_dword v7, v[16:17], off
	s_waitcnt vmcnt(0)
	v_cvt_f32_i32_e32 v18, v7
.LBB120_2126:
	s_mov_b64 s[6:7], 0
.LBB120_2127:
	s_andn2_b64 vcc, exec, s[6:7]
	s_cbranch_vccnz .LBB120_2129
; %bb.2128:
	global_load_sshort v7, v[16:17], off
	s_waitcnt vmcnt(0)
	v_cvt_f32_i32_e32 v18, v7
.LBB120_2129:
	s_mov_b64 s[6:7], 0
.LBB120_2130:
	s_andn2_b64 vcc, exec, s[6:7]
	s_cbranch_vccnz .LBB120_2136
; %bb.2131:
	v_cmp_gt_i16_e64 s[6:7], s26, 0
	s_and_b64 vcc, exec, s[6:7]
	s_cbranch_vccz .LBB120_2133
; %bb.2132:
	global_load_sbyte v7, v[16:17], off
	s_mov_b64 s[6:7], 0
	s_waitcnt vmcnt(0)
	v_cvt_f32_i32_e32 v18, v7
	s_branch .LBB120_2134
.LBB120_2133:
	s_mov_b64 s[6:7], -1
                                        ; implicit-def: $vgpr18
.LBB120_2134:
	s_andn2_b64 vcc, exec, s[6:7]
	s_cbranch_vccnz .LBB120_2136
; %bb.2135:
	global_load_ubyte v7, v[16:17], off
	s_waitcnt vmcnt(0)
	v_cvt_f32_ubyte0_e32 v18, v7
.LBB120_2136:
	s_mov_b64 s[18:19], -1
.LBB120_2137:
	s_andn2_b64 vcc, exec, s[18:19]
	s_cbranch_vccnz .LBB120_3113
; %bb.2138:
	v_mov_b32_e32 v7, s11
	v_add_co_u32_e32 v14, vcc, s10, v14
	v_addc_co_u32_e32 v15, vcc, 0, v7, vcc
	v_mov_b32_e32 v7, 11
	v_cmp_lt_i16_sdwa s[6:7], s25, v7 src0_sel:BYTE_0 src1_sel:DWORD
	s_and_b64 vcc, exec, s[6:7]
	s_cbranch_vccnz .LBB120_2145
; %bb.2139:
	v_mov_b32_e32 v7, 25
	v_cmp_gt_i16_sdwa s[6:7], s25, v7 src0_sel:BYTE_0 src1_sel:DWORD
	s_mov_b64 s[16:17], 0
	s_and_b64 vcc, exec, s[6:7]
	s_cbranch_vccz .LBB120_2146
; %bb.2140:
	v_mov_b32_e32 v7, 28
	v_cmp_gt_i16_sdwa s[6:7], s25, v7 src0_sel:BYTE_0 src1_sel:DWORD
	s_and_b64 vcc, exec, s[6:7]
	s_cbranch_vccz .LBB120_2147
; %bb.2141:
	v_mov_b32_e32 v7, 43
	v_cmp_gt_i16_sdwa s[6:7], s25, v7 src0_sel:BYTE_0 src1_sel:DWORD
	;; [unrolled: 5-line block ×3, first 2 shown]
	s_and_b64 vcc, exec, s[6:7]
	s_cbranch_vccz .LBB120_2150
; %bb.2143:
	v_mov_b32_e32 v7, 46
	v_cmp_eq_u16_sdwa s[6:7], s25, v7 src0_sel:BYTE_0 src1_sel:DWORD
	s_mov_b64 s[20:21], 0
	s_and_b64 vcc, exec, s[6:7]
	s_cbranch_vccz .LBB120_2151
; %bb.2144:
	global_load_dword v7, v[14:15], off
	s_mov_b64 s[6:7], 0
	s_mov_b64 s[18:19], -1
	s_waitcnt vmcnt(0)
	v_lshlrev_b32_e32 v16, 16, v7
	s_branch .LBB120_2152
.LBB120_2145:
	s_mov_b64 s[6:7], -1
	s_mov_b64 s[18:19], 0
                                        ; implicit-def: $vgpr16
	s_branch .LBB120_2218
.LBB120_2146:
	s_mov_b64 s[20:21], -1
	s_mov_b64 s[18:19], 0
	s_mov_b64 s[6:7], 0
                                        ; implicit-def: $vgpr16
	s_branch .LBB120_2181
.LBB120_2147:
	s_mov_b64 s[20:21], -1
	s_mov_b64 s[18:19], 0
	s_mov_b64 s[6:7], 0
                                        ; implicit-def: $vgpr16
	s_branch .LBB120_2162
.LBB120_2148:
	s_mov_b64 s[20:21], -1
	s_mov_b64 s[18:19], 0
	s_mov_b64 s[6:7], 0
                                        ; implicit-def: $vgpr16
	s_branch .LBB120_2157
.LBB120_2149:
	s_trap 2
	s_or_b64 s[4:5], s[4:5], exec
                                        ; implicit-def: $vgpr18
	s_cbranch_execz .LBB120_2086
	s_branch .LBB120_2087
.LBB120_2150:
	s_mov_b64 s[20:21], -1
	s_mov_b64 s[18:19], 0
	s_mov_b64 s[6:7], 0
                                        ; implicit-def: $vgpr16
	s_branch .LBB120_2152
.LBB120_2151:
	s_mov_b64 s[6:7], -1
                                        ; implicit-def: $vgpr16
	s_mov_b64 s[18:19], 0
.LBB120_2152:
	s_and_b64 vcc, exec, s[20:21]
	s_cbranch_vccz .LBB120_2156
; %bb.2153:
	v_mov_b32_e32 v7, 44
	v_cmp_eq_u16_sdwa s[6:7], s25, v7 src0_sel:BYTE_0 src1_sel:DWORD
	s_and_b64 vcc, exec, s[6:7]
	s_cbranch_vccz .LBB120_2155
; %bb.2154:
	global_load_ubyte v7, v[14:15], off
	s_movk_i32 s18, 0xff
	v_mov_b32_e32 v9, 0x7f800001
	v_mov_b32_e32 v11, 0x400000
	s_mov_b64 s[6:7], 0
	s_waitcnt vmcnt(0)
	v_lshlrev_b32_e32 v13, 23, v7
	v_cmp_ne_u32_e32 vcc, s18, v7
	v_cndmask_b32_e32 v9, v9, v13, vcc
	v_cmp_ne_u32_e32 vcc, 0, v7
	v_cndmask_b32_e32 v16, v11, v9, vcc
	s_mov_b64 s[18:19], -1
	s_branch .LBB120_2156
.LBB120_2155:
	s_mov_b64 s[6:7], -1
                                        ; implicit-def: $vgpr16
.LBB120_2156:
	s_mov_b64 s[20:21], 0
.LBB120_2157:
	s_and_b64 vcc, exec, s[20:21]
	s_cbranch_vccz .LBB120_2161
; %bb.2158:
	v_mov_b32_e32 v7, 29
	v_cmp_eq_u16_sdwa s[6:7], s25, v7 src0_sel:BYTE_0 src1_sel:DWORD
	s_and_b64 vcc, exec, s[6:7]
	s_cbranch_vccz .LBB120_2160
; %bb.2159:
	global_load_dwordx2 v[16:17], v[14:15], off
	s_mov_b64 s[6:7], 0
	s_mov_b64 s[18:19], -1
	s_mov_b64 s[20:21], 0
	s_waitcnt vmcnt(0)
	v_ffbh_u32_e32 v7, v17
	v_min_u32_e32 v7, 32, v7
	v_lshlrev_b64 v[16:17], v7, v[16:17]
	v_min_u32_e32 v9, 1, v16
	v_or_b32_e32 v9, v17, v9
	v_cvt_f32_u32_e32 v9, v9
	v_sub_u32_e32 v7, 32, v7
	v_ldexp_f32 v16, v9, v7
	s_branch .LBB120_2162
.LBB120_2160:
	s_mov_b64 s[6:7], -1
                                        ; implicit-def: $vgpr16
.LBB120_2161:
	s_mov_b64 s[20:21], 0
.LBB120_2162:
	s_and_b64 vcc, exec, s[20:21]
	s_cbranch_vccz .LBB120_2180
; %bb.2163:
	v_mov_b32_e32 v7, 27
	v_cmp_lt_i16_sdwa s[18:19], s25, v7 src0_sel:BYTE_0 src1_sel:DWORD
	s_and_b64 vcc, exec, s[18:19]
	s_cbranch_vccnz .LBB120_2166
; %bb.2164:
	v_cmp_gt_i16_sdwa s[18:19], s25, v7 src0_sel:BYTE_0 src1_sel:DWORD
	s_and_b64 vcc, exec, s[18:19]
	s_cbranch_vccz .LBB120_2167
; %bb.2165:
	global_load_dword v7, v[14:15], off
	s_mov_b64 s[18:19], 0
	s_waitcnt vmcnt(0)
	v_cvt_f32_u32_e32 v16, v7
	s_branch .LBB120_2168
.LBB120_2166:
	s_mov_b64 s[18:19], -1
                                        ; implicit-def: $vgpr16
	s_branch .LBB120_2171
.LBB120_2167:
	s_mov_b64 s[18:19], -1
                                        ; implicit-def: $vgpr16
.LBB120_2168:
	s_andn2_b64 vcc, exec, s[18:19]
	s_cbranch_vccnz .LBB120_2170
; %bb.2169:
	global_load_ushort v7, v[14:15], off
	s_waitcnt vmcnt(0)
	v_cvt_f32_u32_e32 v16, v7
.LBB120_2170:
	s_mov_b64 s[18:19], 0
.LBB120_2171:
	s_andn2_b64 vcc, exec, s[18:19]
	s_cbranch_vccnz .LBB120_2179
; %bb.2172:
	global_load_ubyte v7, v[14:15], off
	s_movk_i32 s18, 0x7f
                                        ; implicit-def: $sgpr27
	s_waitcnt vmcnt(0)
	v_cmp_lt_i16_e32 vcc, s18, v7
	s_mov_b64 s[18:19], 0
	s_and_saveexec_b64 s[20:21], vcc
	s_xor_b64 s[20:21], exec, s[20:21]
	s_cbranch_execz .LBB120_2193
; %bb.2173:
	s_movk_i32 s18, 0x80
	v_cmp_eq_u16_e32 vcc, s18, v7
	s_mov_b64 s[18:19], -1
                                        ; implicit-def: $sgpr27
	s_and_saveexec_b64 s[22:23], vcc
; %bb.2174:
	s_mov_b32 s27, 0x7f800001
	s_xor_b64 s[18:19], exec, -1
; %bb.2175:
	s_or_b64 exec, exec, s[22:23]
	s_and_b64 s[18:19], s[18:19], exec
	s_or_saveexec_b64 s[20:21], s[20:21]
	v_mov_b32_e32 v16, s27
	s_xor_b64 exec, exec, s[20:21]
	s_cbranch_execnz .LBB120_2194
.LBB120_2176:
	s_or_b64 exec, exec, s[20:21]
	s_and_saveexec_b64 s[20:21], s[18:19]
	s_cbranch_execz .LBB120_2178
.LBB120_2177:
	v_lshlrev_b32_e32 v9, 24, v7
	v_and_b32_e32 v7, 0xffff, v7
	v_and_b32_e32 v11, 7, v7
	v_ffbh_u32_e32 v16, v11
	v_min_u32_e32 v16, 32, v16
	v_subrev_u32_e32 v17, 28, v16
	v_bfe_u32 v13, v7, 3, 4
	v_lshlrev_b32_e32 v7, v17, v7
	v_sub_u32_e32 v16, 29, v16
	v_and_b32_e32 v7, 7, v7
	v_cmp_eq_u32_e32 vcc, 0, v13
	v_cndmask_b32_e32 v13, v13, v16, vcc
	v_cndmask_b32_e32 v7, v11, v7, vcc
	v_mov_b32_e32 v11, 0x3b800000
	v_lshlrev_b32_e32 v7, 20, v7
	v_and_b32_e32 v9, 0x80000000, v9
	v_lshl_add_u32 v11, v13, 23, v11
	v_or3_b32 v16, v9, v11, v7
.LBB120_2178:
	s_or_b64 exec, exec, s[20:21]
.LBB120_2179:
	s_mov_b64 s[18:19], -1
.LBB120_2180:
	s_mov_b64 s[20:21], 0
.LBB120_2181:
	s_and_b64 vcc, exec, s[20:21]
	s_cbranch_vccz .LBB120_2214
; %bb.2182:
	v_mov_b32_e32 v7, 22
	v_cmp_gt_i16_sdwa s[16:17], s25, v7 src0_sel:BYTE_0 src1_sel:DWORD
	s_and_b64 vcc, exec, s[16:17]
	s_cbranch_vccz .LBB120_2192
; %bb.2183:
	v_mov_b32_e32 v7, 24
	v_cmp_lt_i16_sdwa s[16:17], s25, v7 src0_sel:BYTE_0 src1_sel:DWORD
	s_and_b64 vcc, exec, s[16:17]
	s_cbranch_vccnz .LBB120_2195
; %bb.2184:
	v_cmp_gt_i16_sdwa s[16:17], s25, v7 src0_sel:BYTE_0 src1_sel:DWORD
	s_and_b64 vcc, exec, s[16:17]
	s_cbranch_vccz .LBB120_2196
; %bb.2185:
	global_load_ubyte v7, v[14:15], off
	s_movk_i32 s16, 0x7f
                                        ; implicit-def: $sgpr22
	s_waitcnt vmcnt(0)
	v_cmp_lt_i16_e32 vcc, s16, v7
	s_mov_b64 s[16:17], 0
	s_and_saveexec_b64 s[18:19], vcc
	s_xor_b64 s[18:19], exec, s[18:19]
	s_cbranch_execz .LBB120_2208
; %bb.2186:
	s_movk_i32 s16, 0x80
	v_cmp_eq_u16_e32 vcc, s16, v7
	s_mov_b64 s[16:17], -1
                                        ; implicit-def: $sgpr22
	s_and_saveexec_b64 s[20:21], vcc
; %bb.2187:
	s_mov_b32 s22, 0x7f800001
	s_xor_b64 s[16:17], exec, -1
; %bb.2188:
	s_or_b64 exec, exec, s[20:21]
	s_and_b64 s[16:17], s[16:17], exec
	s_or_saveexec_b64 s[18:19], s[18:19]
	v_mov_b32_e32 v16, s22
	s_xor_b64 exec, exec, s[18:19]
	s_cbranch_execnz .LBB120_2209
.LBB120_2189:
	s_or_b64 exec, exec, s[18:19]
	s_and_saveexec_b64 s[18:19], s[16:17]
	s_cbranch_execz .LBB120_2191
.LBB120_2190:
	v_lshlrev_b32_e32 v9, 24, v7
	v_and_b32_e32 v7, 0xffff, v7
	v_and_b32_e32 v11, 3, v7
	v_ffbh_u32_e32 v16, v11
	v_min_u32_e32 v16, 32, v16
	v_subrev_u32_e32 v17, 29, v16
	v_bfe_u32 v13, v7, 2, 5
	v_lshlrev_b32_e32 v7, v17, v7
	v_sub_u32_e32 v16, 30, v16
	v_and_b32_e32 v7, 3, v7
	v_cmp_eq_u32_e32 vcc, 0, v13
	v_cndmask_b32_e32 v13, v13, v16, vcc
	v_cndmask_b32_e32 v7, v11, v7, vcc
	v_mov_b32_e32 v11, 0x37800000
	v_lshlrev_b32_e32 v7, 21, v7
	v_and_b32_e32 v9, 0x80000000, v9
	v_lshl_add_u32 v11, v13, 23, v11
	v_or3_b32 v16, v9, v11, v7
.LBB120_2191:
	s_or_b64 exec, exec, s[18:19]
	s_mov_b64 s[16:17], 0
	s_branch .LBB120_2197
.LBB120_2192:
	s_mov_b64 s[16:17], -1
                                        ; implicit-def: $vgpr16
	s_branch .LBB120_2203
.LBB120_2193:
	s_or_saveexec_b64 s[20:21], s[20:21]
	v_mov_b32_e32 v16, s27
	s_xor_b64 exec, exec, s[20:21]
	s_cbranch_execz .LBB120_2176
.LBB120_2194:
	v_cmp_ne_u16_e32 vcc, 0, v7
	s_andn2_b64 s[18:19], s[18:19], exec
	s_and_b64 s[22:23], vcc, exec
	v_mov_b32_e32 v16, 0
	s_or_b64 s[18:19], s[18:19], s[22:23]
	s_or_b64 exec, exec, s[20:21]
	s_and_saveexec_b64 s[20:21], s[18:19]
	s_cbranch_execnz .LBB120_2177
	s_branch .LBB120_2178
.LBB120_2195:
	s_mov_b64 s[16:17], -1
                                        ; implicit-def: $vgpr16
	s_branch .LBB120_2200
.LBB120_2196:
	s_mov_b64 s[16:17], -1
                                        ; implicit-def: $vgpr16
.LBB120_2197:
	s_and_b64 vcc, exec, s[16:17]
	s_cbranch_vccz .LBB120_2199
; %bb.2198:
	global_load_ubyte v7, v[14:15], off
	s_mov_b32 s16, 0x7f800000
	s_waitcnt vmcnt(0)
	v_lshlrev_b32_e32 v7, 24, v7
	v_and_b32_e32 v9, 0x7f000000, v7
	v_ffbh_u32_e32 v11, v9
	v_min_u32_e32 v11, 32, v11
	v_sub_u32_e64 v11, v11, 4 clamp
	v_lshlrev_b32_e32 v16, v11, v9
	v_lshlrev_b32_e32 v11, 23, v11
	v_lshrrev_b32_e32 v16, 4, v16
	v_add_u32_e32 v13, 0x1000000, v9
	v_sub_u32_e32 v11, v16, v11
	v_ashrrev_i32_e32 v13, 8, v13
	v_add_u32_e32 v11, 0x3c000000, v11
	v_and_or_b32 v11, v13, s16, v11
	v_cmp_ne_u32_e32 vcc, 0, v9
	v_cndmask_b32_e32 v9, 0, v11, vcc
	s_brev_b32 s16, 1
	v_and_or_b32 v16, v7, s16, v9
.LBB120_2199:
	s_mov_b64 s[16:17], 0
.LBB120_2200:
	s_andn2_b64 vcc, exec, s[16:17]
	s_cbranch_vccnz .LBB120_2202
; %bb.2201:
	global_load_ubyte v7, v[14:15], off
	s_movk_i32 s16, 0x7f00
	s_brev_b32 s17, 16
	s_waitcnt vmcnt(0)
	v_lshlrev_b16_e32 v9, 8, v7
	v_lshlrev_b32_e32 v7, 25, v7
	v_lshrrev_b32_e32 v11, 4, v7
	v_and_or_b32 v13, v9, s16, 0.5
	v_or_b32_e32 v11, 0x70000000, v11
	v_add_f32_e32 v13, -0.5, v13
	v_mul_f32_e32 v11, 0x7800000, v11
	v_cmp_gt_u32_e32 vcc, s17, v7
	v_bfe_i32 v9, v9, 0, 16
	v_cndmask_b32_e32 v7, v11, v13, vcc
	s_brev_b32 s16, 1
	v_and_or_b32 v16, v9, s16, v7
.LBB120_2202:
	s_mov_b64 s[16:17], 0
	s_mov_b64 s[18:19], -1
.LBB120_2203:
	s_andn2_b64 vcc, exec, s[16:17]
	s_mov_b64 s[16:17], 0
	s_cbranch_vccnz .LBB120_2214
; %bb.2204:
	v_mov_b32_e32 v7, 14
	v_cmp_gt_i16_sdwa s[16:17], s25, v7 src0_sel:BYTE_0 src1_sel:DWORD
	s_and_b64 vcc, exec, s[16:17]
	s_cbranch_vccz .LBB120_2207
; %bb.2205:
	v_mov_b32_e32 v7, 15
	v_cmp_eq_u16_sdwa s[6:7], s25, v7 src0_sel:BYTE_0 src1_sel:DWORD
	s_and_b64 vcc, exec, s[6:7]
	s_cbranch_vccz .LBB120_2210
; %bb.2206:
	global_load_ushort v7, v[14:15], off
	s_mov_b64 s[6:7], 0
	s_mov_b64 s[18:19], -1
	s_waitcnt vmcnt(0)
	v_lshlrev_b32_e32 v16, 16, v7
	s_branch .LBB120_2211
.LBB120_2207:
	s_mov_b64 s[20:21], -1
                                        ; implicit-def: $vgpr16
	s_branch .LBB120_2212
.LBB120_2208:
	s_or_saveexec_b64 s[18:19], s[18:19]
	v_mov_b32_e32 v16, s22
	s_xor_b64 exec, exec, s[18:19]
	s_cbranch_execz .LBB120_2189
.LBB120_2209:
	v_cmp_ne_u16_e32 vcc, 0, v7
	s_andn2_b64 s[16:17], s[16:17], exec
	s_and_b64 s[20:21], vcc, exec
	v_mov_b32_e32 v16, 0
	s_or_b64 s[16:17], s[16:17], s[20:21]
	s_or_b64 exec, exec, s[18:19]
	s_and_saveexec_b64 s[18:19], s[16:17]
	s_cbranch_execnz .LBB120_2190
	s_branch .LBB120_2191
.LBB120_2210:
	s_mov_b64 s[6:7], -1
                                        ; implicit-def: $vgpr16
.LBB120_2211:
	s_mov_b64 s[20:21], 0
.LBB120_2212:
	s_mov_b64 s[16:17], 0
	s_and_b64 vcc, exec, s[20:21]
	s_cbranch_vccz .LBB120_2214
; %bb.2213:
	v_mov_b32_e32 v7, 11
	v_cmp_ne_u16_sdwa s[6:7], s25, v7 src0_sel:BYTE_0 src1_sel:DWORD
	s_mov_b64 s[16:17], -1
                                        ; implicit-def: $vgpr16
.LBB120_2214:
	s_and_b64 vcc, exec, s[6:7]
	s_cbranch_vccnz .LBB120_2279
; %bb.2215:
	s_andn2_b64 vcc, exec, s[16:17]
	s_cbranch_vccnz .LBB120_2217
.LBB120_2216:
	global_load_ubyte v7, v[14:15], off
	s_mov_b64 s[18:19], -1
	s_waitcnt vmcnt(0)
	v_cmp_ne_u16_e32 vcc, 0, v7
	v_cndmask_b32_e64 v16, 0, 1.0, vcc
.LBB120_2217:
	s_mov_b64 s[6:7], 0
.LBB120_2218:
	s_and_b64 vcc, exec, s[6:7]
	s_cbranch_vccz .LBB120_2267
; %bb.2219:
	v_mov_b32_e32 v7, 5
	v_cmp_lt_i16_sdwa s[6:7], s25, v7 src0_sel:BYTE_0 src1_sel:DWORD
	s_and_b64 vcc, exec, s[6:7]
	s_cbranch_vccnz .LBB120_2224
; %bb.2220:
	v_mov_b32_e32 v7, 8
	v_cmp_lt_i16_sdwa s[6:7], s25, v7 src0_sel:BYTE_0 src1_sel:DWORD
	s_and_b64 vcc, exec, s[6:7]
	s_cbranch_vccnz .LBB120_2225
; %bb.2221:
	v_mov_b32_e32 v7, 9
	v_cmp_lt_i16_sdwa s[6:7], s25, v7 src0_sel:BYTE_0 src1_sel:DWORD
	s_and_b64 vcc, exec, s[6:7]
	s_cbranch_vccnz .LBB120_2226
; %bb.2222:
	v_cmp_gt_i16_sdwa s[6:7], s25, v7 src0_sel:BYTE_0 src1_sel:DWORD
	s_and_b64 vcc, exec, s[6:7]
	s_cbranch_vccz .LBB120_2227
; %bb.2223:
	global_load_dwordx2 v[16:17], v[14:15], off
	s_mov_b64 s[6:7], 0
	s_waitcnt vmcnt(0)
	v_cvt_f32_f64_e32 v16, v[16:17]
	s_branch .LBB120_2228
.LBB120_2224:
	s_mov_b64 s[6:7], -1
                                        ; implicit-def: $vgpr16
	s_branch .LBB120_2246
.LBB120_2225:
	s_mov_b64 s[6:7], -1
                                        ; implicit-def: $vgpr16
	s_branch .LBB120_2234
.LBB120_2226:
	s_mov_b64 s[6:7], -1
                                        ; implicit-def: $vgpr16
	s_branch .LBB120_2231
.LBB120_2227:
	s_mov_b64 s[6:7], -1
                                        ; implicit-def: $vgpr16
.LBB120_2228:
	s_andn2_b64 vcc, exec, s[6:7]
	s_cbranch_vccnz .LBB120_2230
; %bb.2229:
	global_load_dword v16, v[14:15], off
.LBB120_2230:
	s_mov_b64 s[6:7], 0
.LBB120_2231:
	s_andn2_b64 vcc, exec, s[6:7]
	s_cbranch_vccnz .LBB120_2233
; %bb.2232:
	global_load_dword v7, v[14:15], off
	s_waitcnt vmcnt(0)
	v_cvt_f32_f16_e32 v16, v7
.LBB120_2233:
	s_mov_b64 s[6:7], 0
.LBB120_2234:
	s_andn2_b64 vcc, exec, s[6:7]
	s_cbranch_vccnz .LBB120_2245
; %bb.2235:
	v_mov_b32_e32 v7, 6
	v_cmp_lt_i16_sdwa s[6:7], s25, v7 src0_sel:BYTE_0 src1_sel:DWORD
	s_and_b64 vcc, exec, s[6:7]
	s_cbranch_vccnz .LBB120_2238
; %bb.2236:
	v_cmp_gt_i16_sdwa s[6:7], s25, v7 src0_sel:BYTE_0 src1_sel:DWORD
	s_and_b64 vcc, exec, s[6:7]
	s_cbranch_vccz .LBB120_2239
; %bb.2237:
	global_load_dwordx2 v[16:17], v[14:15], off
	s_mov_b64 s[6:7], 0
	s_waitcnt vmcnt(0)
	v_cvt_f32_f64_e32 v16, v[16:17]
	s_branch .LBB120_2240
.LBB120_2238:
	s_mov_b64 s[6:7], -1
                                        ; implicit-def: $vgpr16
	s_branch .LBB120_2243
.LBB120_2239:
	s_mov_b64 s[6:7], -1
                                        ; implicit-def: $vgpr16
.LBB120_2240:
	s_andn2_b64 vcc, exec, s[6:7]
	s_cbranch_vccnz .LBB120_2242
; %bb.2241:
	global_load_dword v16, v[14:15], off
.LBB120_2242:
	s_mov_b64 s[6:7], 0
.LBB120_2243:
	s_andn2_b64 vcc, exec, s[6:7]
	s_cbranch_vccnz .LBB120_2245
; %bb.2244:
	global_load_ushort v7, v[14:15], off
	s_waitcnt vmcnt(0)
	v_cvt_f32_f16_e32 v16, v7
.LBB120_2245:
	s_mov_b64 s[6:7], 0
.LBB120_2246:
	s_andn2_b64 vcc, exec, s[6:7]
	s_cbranch_vccnz .LBB120_2266
; %bb.2247:
	v_mov_b32_e32 v7, 2
	v_cmp_lt_i16_sdwa s[6:7], s25, v7 src0_sel:BYTE_0 src1_sel:DWORD
	s_and_b64 vcc, exec, s[6:7]
	s_cbranch_vccnz .LBB120_2251
; %bb.2248:
	v_mov_b32_e32 v7, 3
	v_cmp_lt_i16_sdwa s[6:7], s25, v7 src0_sel:BYTE_0 src1_sel:DWORD
	s_and_b64 vcc, exec, s[6:7]
	s_cbranch_vccnz .LBB120_2252
; %bb.2249:
	v_cmp_gt_i16_sdwa s[6:7], s25, v7 src0_sel:BYTE_0 src1_sel:DWORD
	s_and_b64 vcc, exec, s[6:7]
	s_cbranch_vccz .LBB120_2253
; %bb.2250:
	global_load_dwordx2 v[16:17], v[14:15], off
	s_mov_b64 s[6:7], 0
	s_waitcnt vmcnt(0)
	v_xor_b32_e32 v9, v16, v17
	v_ffbh_i32_e32 v7, v17
	v_ashrrev_i32_e32 v9, 31, v9
	v_add_u32_e32 v7, -1, v7
	v_add_u32_e32 v9, 32, v9
	v_min_u32_e32 v7, v7, v9
	v_lshlrev_b64 v[16:17], v7, v[16:17]
	v_min_u32_e32 v9, 1, v16
	v_or_b32_e32 v9, v17, v9
	v_cvt_f32_i32_e32 v9, v9
	v_sub_u32_e32 v7, 32, v7
	v_ldexp_f32 v16, v9, v7
	s_branch .LBB120_2254
.LBB120_2251:
	s_mov_b64 s[6:7], -1
                                        ; implicit-def: $vgpr16
	s_branch .LBB120_2260
.LBB120_2252:
	s_mov_b64 s[6:7], -1
                                        ; implicit-def: $vgpr16
	s_branch .LBB120_2257
.LBB120_2253:
	s_mov_b64 s[6:7], -1
                                        ; implicit-def: $vgpr16
.LBB120_2254:
	s_andn2_b64 vcc, exec, s[6:7]
	s_cbranch_vccnz .LBB120_2256
; %bb.2255:
	global_load_dword v7, v[14:15], off
	s_waitcnt vmcnt(0)
	v_cvt_f32_i32_e32 v16, v7
.LBB120_2256:
	s_mov_b64 s[6:7], 0
.LBB120_2257:
	s_andn2_b64 vcc, exec, s[6:7]
	s_cbranch_vccnz .LBB120_2259
; %bb.2258:
	global_load_sshort v7, v[14:15], off
	s_waitcnt vmcnt(0)
	v_cvt_f32_i32_e32 v16, v7
.LBB120_2259:
	s_mov_b64 s[6:7], 0
.LBB120_2260:
	s_andn2_b64 vcc, exec, s[6:7]
	s_cbranch_vccnz .LBB120_2266
; %bb.2261:
	v_mov_b32_e32 v7, 0
	v_cmp_gt_i16_sdwa s[6:7], s25, v7 src0_sel:BYTE_0 src1_sel:DWORD
	s_and_b64 vcc, exec, s[6:7]
	s_cbranch_vccz .LBB120_2263
; %bb.2262:
	global_load_sbyte v7, v[14:15], off
	s_mov_b64 s[6:7], 0
	s_waitcnt vmcnt(0)
	v_cvt_f32_i32_e32 v16, v7
	s_branch .LBB120_2264
.LBB120_2263:
	s_mov_b64 s[6:7], -1
                                        ; implicit-def: $vgpr16
.LBB120_2264:
	s_andn2_b64 vcc, exec, s[6:7]
	s_cbranch_vccnz .LBB120_2266
; %bb.2265:
	global_load_ubyte v7, v[14:15], off
	s_waitcnt vmcnt(0)
	v_cvt_f32_ubyte0_e32 v16, v7
.LBB120_2266:
	s_mov_b64 s[18:19], -1
.LBB120_2267:
	s_andn2_b64 vcc, exec, s[18:19]
	s_cbranch_vccnz .LBB120_3113
; %bb.2268:
	v_mov_b32_e32 v7, s1
	v_add_co_u32_e32 v12, vcc, s0, v12
	v_addc_co_u32_e32 v13, vcc, 0, v7, vcc
	s_and_b64 vcc, exec, s[2:3]
	s_cbranch_vccnz .LBB120_2275
; %bb.2269:
	v_cmp_gt_i16_e64 s[6:7], s26, 25
	s_mov_b64 s[16:17], 0
	s_and_b64 vcc, exec, s[6:7]
	s_cbranch_vccz .LBB120_2276
; %bb.2270:
	v_cmp_gt_i16_e64 s[6:7], s26, 28
	s_and_b64 vcc, exec, s[6:7]
	s_cbranch_vccz .LBB120_2277
; %bb.2271:
	v_cmp_gt_i16_e64 s[6:7], s26, 43
	;; [unrolled: 4-line block ×3, first 2 shown]
	s_and_b64 vcc, exec, s[6:7]
	s_cbranch_vccz .LBB120_2280
; %bb.2273:
	v_cmp_eq_u16_e64 s[6:7], s26, 46
	s_mov_b64 s[20:21], 0
	s_and_b64 vcc, exec, s[6:7]
	s_cbranch_vccz .LBB120_2283
; %bb.2274:
	global_load_dword v7, v[12:13], off
	s_mov_b64 s[6:7], 0
	s_mov_b64 s[18:19], -1
	s_waitcnt vmcnt(0)
	v_lshlrev_b32_e32 v14, 16, v7
	s_branch .LBB120_2284
.LBB120_2275:
	s_mov_b64 s[6:7], -1
	s_mov_b64 s[18:19], 0
                                        ; implicit-def: $vgpr14
	s_branch .LBB120_2350
.LBB120_2276:
	s_mov_b64 s[20:21], -1
	s_mov_b64 s[18:19], 0
	s_mov_b64 s[6:7], 0
                                        ; implicit-def: $vgpr14
	s_branch .LBB120_2313
.LBB120_2277:
	s_mov_b64 s[20:21], -1
	s_mov_b64 s[18:19], 0
	s_mov_b64 s[6:7], 0
                                        ; implicit-def: $vgpr14
	s_branch .LBB120_2294
.LBB120_2278:
	s_mov_b64 s[20:21], -1
	s_mov_b64 s[18:19], 0
	s_mov_b64 s[6:7], 0
                                        ; implicit-def: $vgpr14
	s_branch .LBB120_2289
.LBB120_2279:
	s_trap 2
	s_or_b64 s[4:5], s[4:5], exec
                                        ; implicit-def: $vgpr16
	s_cbranch_execz .LBB120_2216
	s_branch .LBB120_2217
.LBB120_2280:
	s_mov_b64 s[20:21], -1
	s_mov_b64 s[18:19], 0
	s_mov_b64 s[6:7], 0
                                        ; implicit-def: $vgpr14
	s_branch .LBB120_2284
.LBB120_2281:
	s_or_saveexec_b64 s[62:63], s[62:63]
                                        ; implicit-def: $sgpr64
	s_xor_b64 exec, exec, s[62:63]
	s_cbranch_execz .LBB120_1116
.LBB120_2282:
	s_mov_b32 s64, 0x42800000
	v_add_f32_e64 v3, |v10|, s64
	v_and_b32_e32 v3, 0xff, v3
	v_cmp_ne_u32_e32 vcc, 0, v3
	s_andn2_b64 s[60:61], s[60:61], exec
	s_and_b64 s[70:71], vcc, exec
	s_mov_b32 s64, 0
	s_or_b64 s[60:61], s[60:61], s[70:71]
	s_or_b64 exec, exec, s[62:63]
	v_mov_b32_e32 v4, s64
	s_and_saveexec_b64 s[62:63], s[60:61]
	s_cbranch_execnz .LBB120_1117
	s_branch .LBB120_1118
.LBB120_2283:
	s_mov_b64 s[6:7], -1
                                        ; implicit-def: $vgpr14
	s_mov_b64 s[18:19], 0
.LBB120_2284:
	s_and_b64 vcc, exec, s[20:21]
	s_cbranch_vccz .LBB120_2288
; %bb.2285:
	v_cmp_eq_u16_e64 s[6:7], s26, 44
	s_and_b64 vcc, exec, s[6:7]
	s_cbranch_vccz .LBB120_2287
; %bb.2286:
	global_load_ubyte v7, v[12:13], off
	s_movk_i32 s18, 0xff
	v_mov_b32_e32 v9, 0x7f800001
	v_mov_b32_e32 v11, 0x400000
	s_mov_b64 s[6:7], 0
	s_waitcnt vmcnt(0)
	v_lshlrev_b32_e32 v14, 23, v7
	v_cmp_ne_u32_e32 vcc, s18, v7
	v_cndmask_b32_e32 v9, v9, v14, vcc
	v_cmp_ne_u32_e32 vcc, 0, v7
	v_cndmask_b32_e32 v14, v11, v9, vcc
	s_mov_b64 s[18:19], -1
	s_branch .LBB120_2288
.LBB120_2287:
	s_mov_b64 s[6:7], -1
                                        ; implicit-def: $vgpr14
.LBB120_2288:
	s_mov_b64 s[20:21], 0
.LBB120_2289:
	s_and_b64 vcc, exec, s[20:21]
	s_cbranch_vccz .LBB120_2293
; %bb.2290:
	v_cmp_eq_u16_e64 s[6:7], s26, 29
	s_and_b64 vcc, exec, s[6:7]
	s_cbranch_vccz .LBB120_2292
; %bb.2291:
	global_load_dwordx2 v[14:15], v[12:13], off
	s_mov_b64 s[6:7], 0
	s_mov_b64 s[18:19], -1
	s_mov_b64 s[20:21], 0
	s_waitcnt vmcnt(0)
	v_ffbh_u32_e32 v7, v15
	v_min_u32_e32 v7, 32, v7
	v_lshlrev_b64 v[14:15], v7, v[14:15]
	v_min_u32_e32 v9, 1, v14
	v_or_b32_e32 v9, v15, v9
	v_cvt_f32_u32_e32 v9, v9
	v_sub_u32_e32 v7, 32, v7
	v_ldexp_f32 v14, v9, v7
	s_branch .LBB120_2294
.LBB120_2292:
	s_mov_b64 s[6:7], -1
                                        ; implicit-def: $vgpr14
.LBB120_2293:
	s_mov_b64 s[20:21], 0
.LBB120_2294:
	s_and_b64 vcc, exec, s[20:21]
	s_cbranch_vccz .LBB120_2312
; %bb.2295:
	v_cmp_lt_i16_e64 s[18:19], s26, 27
	s_and_b64 vcc, exec, s[18:19]
	s_cbranch_vccnz .LBB120_2298
; %bb.2296:
	v_cmp_gt_i16_e64 s[18:19], s26, 27
	s_and_b64 vcc, exec, s[18:19]
	s_cbranch_vccz .LBB120_2299
; %bb.2297:
	global_load_dword v7, v[12:13], off
	s_mov_b64 s[18:19], 0
	s_waitcnt vmcnt(0)
	v_cvt_f32_u32_e32 v14, v7
	s_branch .LBB120_2300
.LBB120_2298:
	s_mov_b64 s[18:19], -1
                                        ; implicit-def: $vgpr14
	s_branch .LBB120_2303
.LBB120_2299:
	s_mov_b64 s[18:19], -1
                                        ; implicit-def: $vgpr14
.LBB120_2300:
	s_andn2_b64 vcc, exec, s[18:19]
	s_cbranch_vccnz .LBB120_2302
; %bb.2301:
	global_load_ushort v7, v[12:13], off
	s_waitcnt vmcnt(0)
	v_cvt_f32_u32_e32 v14, v7
.LBB120_2302:
	s_mov_b64 s[18:19], 0
.LBB120_2303:
	s_andn2_b64 vcc, exec, s[18:19]
	s_cbranch_vccnz .LBB120_2311
; %bb.2304:
	global_load_ubyte v7, v[12:13], off
	s_movk_i32 s18, 0x7f
                                        ; implicit-def: $sgpr27
	s_waitcnt vmcnt(0)
	v_cmp_lt_i16_e32 vcc, s18, v7
	s_mov_b64 s[18:19], 0
	s_and_saveexec_b64 s[20:21], vcc
	s_xor_b64 s[20:21], exec, s[20:21]
	s_cbranch_execz .LBB120_2325
; %bb.2305:
	s_movk_i32 s18, 0x80
	v_cmp_eq_u16_e32 vcc, s18, v7
	s_mov_b64 s[18:19], -1
                                        ; implicit-def: $sgpr27
	s_and_saveexec_b64 s[22:23], vcc
; %bb.2306:
	s_mov_b32 s27, 0x7f800001
	s_xor_b64 s[18:19], exec, -1
; %bb.2307:
	s_or_b64 exec, exec, s[22:23]
	s_and_b64 s[18:19], s[18:19], exec
	s_or_saveexec_b64 s[20:21], s[20:21]
	v_mov_b32_e32 v14, s27
	s_xor_b64 exec, exec, s[20:21]
	s_cbranch_execnz .LBB120_2326
.LBB120_2308:
	s_or_b64 exec, exec, s[20:21]
	s_and_saveexec_b64 s[20:21], s[18:19]
	s_cbranch_execz .LBB120_2310
.LBB120_2309:
	v_lshlrev_b32_e32 v9, 24, v7
	v_and_b32_e32 v7, 0xffff, v7
	v_and_b32_e32 v11, 7, v7
	v_ffbh_u32_e32 v15, v11
	v_min_u32_e32 v15, 32, v15
	v_subrev_u32_e32 v17, 28, v15
	v_bfe_u32 v14, v7, 3, 4
	v_lshlrev_b32_e32 v7, v17, v7
	v_sub_u32_e32 v15, 29, v15
	v_and_b32_e32 v7, 7, v7
	v_cmp_eq_u32_e32 vcc, 0, v14
	v_cndmask_b32_e32 v14, v14, v15, vcc
	v_cndmask_b32_e32 v7, v11, v7, vcc
	v_mov_b32_e32 v11, 0x3b800000
	v_lshlrev_b32_e32 v7, 20, v7
	v_and_b32_e32 v9, 0x80000000, v9
	v_lshl_add_u32 v11, v14, 23, v11
	v_or3_b32 v14, v9, v11, v7
.LBB120_2310:
	s_or_b64 exec, exec, s[20:21]
.LBB120_2311:
	s_mov_b64 s[18:19], -1
.LBB120_2312:
	s_mov_b64 s[20:21], 0
.LBB120_2313:
	s_and_b64 vcc, exec, s[20:21]
	s_cbranch_vccz .LBB120_2346
; %bb.2314:
	v_cmp_gt_i16_e64 s[16:17], s26, 22
	s_and_b64 vcc, exec, s[16:17]
	s_cbranch_vccz .LBB120_2324
; %bb.2315:
	v_cmp_lt_i16_e64 s[16:17], s26, 24
	s_and_b64 vcc, exec, s[16:17]
	s_cbranch_vccnz .LBB120_2327
; %bb.2316:
	v_cmp_gt_i16_e64 s[16:17], s26, 24
	s_and_b64 vcc, exec, s[16:17]
	s_cbranch_vccz .LBB120_2328
; %bb.2317:
	global_load_ubyte v7, v[12:13], off
	s_movk_i32 s16, 0x7f
                                        ; implicit-def: $sgpr22
	s_waitcnt vmcnt(0)
	v_cmp_lt_i16_e32 vcc, s16, v7
	s_mov_b64 s[16:17], 0
	s_and_saveexec_b64 s[18:19], vcc
	s_xor_b64 s[18:19], exec, s[18:19]
	s_cbranch_execz .LBB120_2340
; %bb.2318:
	s_movk_i32 s16, 0x80
	v_cmp_eq_u16_e32 vcc, s16, v7
	s_mov_b64 s[16:17], -1
                                        ; implicit-def: $sgpr22
	s_and_saveexec_b64 s[20:21], vcc
; %bb.2319:
	s_mov_b32 s22, 0x7f800001
	s_xor_b64 s[16:17], exec, -1
; %bb.2320:
	s_or_b64 exec, exec, s[20:21]
	s_and_b64 s[16:17], s[16:17], exec
	s_or_saveexec_b64 s[18:19], s[18:19]
	v_mov_b32_e32 v14, s22
	s_xor_b64 exec, exec, s[18:19]
	s_cbranch_execnz .LBB120_2341
.LBB120_2321:
	s_or_b64 exec, exec, s[18:19]
	s_and_saveexec_b64 s[18:19], s[16:17]
	s_cbranch_execz .LBB120_2323
.LBB120_2322:
	v_lshlrev_b32_e32 v9, 24, v7
	v_and_b32_e32 v7, 0xffff, v7
	v_and_b32_e32 v11, 3, v7
	v_ffbh_u32_e32 v15, v11
	v_min_u32_e32 v15, 32, v15
	v_subrev_u32_e32 v17, 29, v15
	v_bfe_u32 v14, v7, 2, 5
	v_lshlrev_b32_e32 v7, v17, v7
	v_sub_u32_e32 v15, 30, v15
	v_and_b32_e32 v7, 3, v7
	v_cmp_eq_u32_e32 vcc, 0, v14
	v_cndmask_b32_e32 v14, v14, v15, vcc
	v_cndmask_b32_e32 v7, v11, v7, vcc
	v_mov_b32_e32 v11, 0x37800000
	v_lshlrev_b32_e32 v7, 21, v7
	v_and_b32_e32 v9, 0x80000000, v9
	v_lshl_add_u32 v11, v14, 23, v11
	v_or3_b32 v14, v9, v11, v7
.LBB120_2323:
	s_or_b64 exec, exec, s[18:19]
	s_mov_b64 s[16:17], 0
	s_branch .LBB120_2329
.LBB120_2324:
	s_mov_b64 s[16:17], -1
                                        ; implicit-def: $vgpr14
	s_branch .LBB120_2335
.LBB120_2325:
	s_or_saveexec_b64 s[20:21], s[20:21]
	v_mov_b32_e32 v14, s27
	s_xor_b64 exec, exec, s[20:21]
	s_cbranch_execz .LBB120_2308
.LBB120_2326:
	v_cmp_ne_u16_e32 vcc, 0, v7
	s_andn2_b64 s[18:19], s[18:19], exec
	s_and_b64 s[22:23], vcc, exec
	v_mov_b32_e32 v14, 0
	s_or_b64 s[18:19], s[18:19], s[22:23]
	s_or_b64 exec, exec, s[20:21]
	s_and_saveexec_b64 s[20:21], s[18:19]
	s_cbranch_execnz .LBB120_2309
	s_branch .LBB120_2310
.LBB120_2327:
	s_mov_b64 s[16:17], -1
                                        ; implicit-def: $vgpr14
	s_branch .LBB120_2332
.LBB120_2328:
	s_mov_b64 s[16:17], -1
                                        ; implicit-def: $vgpr14
.LBB120_2329:
	s_and_b64 vcc, exec, s[16:17]
	s_cbranch_vccz .LBB120_2331
; %bb.2330:
	global_load_ubyte v7, v[12:13], off
	s_mov_b32 s16, 0x7f800000
	s_waitcnt vmcnt(0)
	v_lshlrev_b32_e32 v7, 24, v7
	v_and_b32_e32 v9, 0x7f000000, v7
	v_ffbh_u32_e32 v11, v9
	v_min_u32_e32 v11, 32, v11
	v_sub_u32_e64 v11, v11, 4 clamp
	v_lshlrev_b32_e32 v15, v11, v9
	v_lshlrev_b32_e32 v11, 23, v11
	v_lshrrev_b32_e32 v15, 4, v15
	v_add_u32_e32 v14, 0x1000000, v9
	v_sub_u32_e32 v11, v15, v11
	v_ashrrev_i32_e32 v14, 8, v14
	v_add_u32_e32 v11, 0x3c000000, v11
	v_and_or_b32 v11, v14, s16, v11
	v_cmp_ne_u32_e32 vcc, 0, v9
	v_cndmask_b32_e32 v9, 0, v11, vcc
	s_brev_b32 s16, 1
	v_and_or_b32 v14, v7, s16, v9
.LBB120_2331:
	s_mov_b64 s[16:17], 0
.LBB120_2332:
	s_andn2_b64 vcc, exec, s[16:17]
	s_cbranch_vccnz .LBB120_2334
; %bb.2333:
	global_load_ubyte v7, v[12:13], off
	s_movk_i32 s16, 0x7f00
	s_brev_b32 s17, 16
	s_waitcnt vmcnt(0)
	v_lshlrev_b16_e32 v9, 8, v7
	v_lshlrev_b32_e32 v7, 25, v7
	v_lshrrev_b32_e32 v11, 4, v7
	v_and_or_b32 v14, v9, s16, 0.5
	v_or_b32_e32 v11, 0x70000000, v11
	v_add_f32_e32 v14, -0.5, v14
	v_mul_f32_e32 v11, 0x7800000, v11
	v_cmp_gt_u32_e32 vcc, s17, v7
	v_bfe_i32 v9, v9, 0, 16
	v_cndmask_b32_e32 v7, v11, v14, vcc
	s_brev_b32 s16, 1
	v_and_or_b32 v14, v9, s16, v7
.LBB120_2334:
	s_mov_b64 s[16:17], 0
	s_mov_b64 s[18:19], -1
.LBB120_2335:
	s_andn2_b64 vcc, exec, s[16:17]
	s_mov_b64 s[16:17], 0
	s_cbranch_vccnz .LBB120_2346
; %bb.2336:
	v_cmp_gt_i16_e64 s[16:17], s26, 14
	s_and_b64 vcc, exec, s[16:17]
	s_cbranch_vccz .LBB120_2339
; %bb.2337:
	v_cmp_eq_u16_e64 s[6:7], s26, 15
	s_and_b64 vcc, exec, s[6:7]
	s_cbranch_vccz .LBB120_2342
; %bb.2338:
	global_load_ushort v7, v[12:13], off
	s_mov_b64 s[6:7], 0
	s_mov_b64 s[18:19], -1
	s_waitcnt vmcnt(0)
	v_lshlrev_b32_e32 v14, 16, v7
	s_branch .LBB120_2343
.LBB120_2339:
	s_mov_b64 s[20:21], -1
                                        ; implicit-def: $vgpr14
	s_branch .LBB120_2344
.LBB120_2340:
	s_or_saveexec_b64 s[18:19], s[18:19]
	v_mov_b32_e32 v14, s22
	s_xor_b64 exec, exec, s[18:19]
	s_cbranch_execz .LBB120_2321
.LBB120_2341:
	v_cmp_ne_u16_e32 vcc, 0, v7
	s_andn2_b64 s[16:17], s[16:17], exec
	s_and_b64 s[20:21], vcc, exec
	v_mov_b32_e32 v14, 0
	s_or_b64 s[16:17], s[16:17], s[20:21]
	s_or_b64 exec, exec, s[18:19]
	s_and_saveexec_b64 s[18:19], s[16:17]
	s_cbranch_execnz .LBB120_2322
	s_branch .LBB120_2323
.LBB120_2342:
	s_mov_b64 s[6:7], -1
                                        ; implicit-def: $vgpr14
.LBB120_2343:
	s_mov_b64 s[20:21], 0
.LBB120_2344:
	s_mov_b64 s[16:17], 0
	s_and_b64 vcc, exec, s[20:21]
	s_cbranch_vccz .LBB120_2346
; %bb.2345:
	v_cmp_ne_u16_e64 s[6:7], s26, 11
	s_mov_b64 s[16:17], -1
                                        ; implicit-def: $vgpr14
.LBB120_2346:
	s_and_b64 vcc, exec, s[6:7]
	s_cbranch_vccnz .LBB120_2411
; %bb.2347:
	s_andn2_b64 vcc, exec, s[16:17]
	s_cbranch_vccnz .LBB120_2349
.LBB120_2348:
	global_load_ubyte v7, v[12:13], off
	s_mov_b64 s[18:19], -1
	s_waitcnt vmcnt(0)
	v_cmp_ne_u16_e32 vcc, 0, v7
	v_cndmask_b32_e64 v14, 0, 1.0, vcc
.LBB120_2349:
	s_mov_b64 s[6:7], 0
.LBB120_2350:
	s_and_b64 vcc, exec, s[6:7]
	s_cbranch_vccz .LBB120_2399
; %bb.2351:
	v_cmp_lt_i16_e64 s[6:7], s26, 5
	s_and_b64 vcc, exec, s[6:7]
	s_cbranch_vccnz .LBB120_2356
; %bb.2352:
	v_cmp_lt_i16_e64 s[6:7], s26, 8
	s_and_b64 vcc, exec, s[6:7]
	s_cbranch_vccnz .LBB120_2357
	;; [unrolled: 4-line block ×3, first 2 shown]
; %bb.2354:
	v_cmp_gt_i16_e64 s[6:7], s26, 9
	s_and_b64 vcc, exec, s[6:7]
	s_cbranch_vccz .LBB120_2359
; %bb.2355:
	global_load_dwordx2 v[14:15], v[12:13], off
	s_mov_b64 s[6:7], 0
	s_waitcnt vmcnt(0)
	v_cvt_f32_f64_e32 v14, v[14:15]
	s_branch .LBB120_2360
.LBB120_2356:
	s_mov_b64 s[6:7], -1
                                        ; implicit-def: $vgpr14
	s_branch .LBB120_2378
.LBB120_2357:
	s_mov_b64 s[6:7], -1
                                        ; implicit-def: $vgpr14
	s_branch .LBB120_2366
.LBB120_2358:
	s_mov_b64 s[6:7], -1
                                        ; implicit-def: $vgpr14
	s_branch .LBB120_2363
.LBB120_2359:
	s_mov_b64 s[6:7], -1
                                        ; implicit-def: $vgpr14
.LBB120_2360:
	s_andn2_b64 vcc, exec, s[6:7]
	s_cbranch_vccnz .LBB120_2362
; %bb.2361:
	global_load_dword v14, v[12:13], off
.LBB120_2362:
	s_mov_b64 s[6:7], 0
.LBB120_2363:
	s_andn2_b64 vcc, exec, s[6:7]
	s_cbranch_vccnz .LBB120_2365
; %bb.2364:
	global_load_dword v7, v[12:13], off
	s_waitcnt vmcnt(0)
	v_cvt_f32_f16_e32 v14, v7
.LBB120_2365:
	s_mov_b64 s[6:7], 0
.LBB120_2366:
	s_andn2_b64 vcc, exec, s[6:7]
	s_cbranch_vccnz .LBB120_2377
; %bb.2367:
	v_cmp_lt_i16_e64 s[6:7], s26, 6
	s_and_b64 vcc, exec, s[6:7]
	s_cbranch_vccnz .LBB120_2370
; %bb.2368:
	v_cmp_gt_i16_e64 s[6:7], s26, 6
	s_and_b64 vcc, exec, s[6:7]
	s_cbranch_vccz .LBB120_2371
; %bb.2369:
	global_load_dwordx2 v[14:15], v[12:13], off
	s_mov_b64 s[6:7], 0
	s_waitcnt vmcnt(0)
	v_cvt_f32_f64_e32 v14, v[14:15]
	s_branch .LBB120_2372
.LBB120_2370:
	s_mov_b64 s[6:7], -1
                                        ; implicit-def: $vgpr14
	s_branch .LBB120_2375
.LBB120_2371:
	s_mov_b64 s[6:7], -1
                                        ; implicit-def: $vgpr14
.LBB120_2372:
	s_andn2_b64 vcc, exec, s[6:7]
	s_cbranch_vccnz .LBB120_2374
; %bb.2373:
	global_load_dword v14, v[12:13], off
.LBB120_2374:
	s_mov_b64 s[6:7], 0
.LBB120_2375:
	s_andn2_b64 vcc, exec, s[6:7]
	s_cbranch_vccnz .LBB120_2377
; %bb.2376:
	global_load_ushort v7, v[12:13], off
	s_waitcnt vmcnt(0)
	v_cvt_f32_f16_e32 v14, v7
.LBB120_2377:
	s_mov_b64 s[6:7], 0
.LBB120_2378:
	s_andn2_b64 vcc, exec, s[6:7]
	s_cbranch_vccnz .LBB120_2398
; %bb.2379:
	v_cmp_lt_i16_e64 s[6:7], s26, 2
	s_and_b64 vcc, exec, s[6:7]
	s_cbranch_vccnz .LBB120_2383
; %bb.2380:
	v_cmp_lt_i16_e64 s[6:7], s26, 3
	s_and_b64 vcc, exec, s[6:7]
	s_cbranch_vccnz .LBB120_2384
; %bb.2381:
	v_cmp_gt_i16_e64 s[6:7], s26, 3
	s_and_b64 vcc, exec, s[6:7]
	s_cbranch_vccz .LBB120_2385
; %bb.2382:
	global_load_dwordx2 v[14:15], v[12:13], off
	s_mov_b64 s[6:7], 0
	s_waitcnt vmcnt(0)
	v_xor_b32_e32 v9, v14, v15
	v_ffbh_i32_e32 v7, v15
	v_ashrrev_i32_e32 v9, 31, v9
	v_add_u32_e32 v7, -1, v7
	v_add_u32_e32 v9, 32, v9
	v_min_u32_e32 v7, v7, v9
	v_lshlrev_b64 v[14:15], v7, v[14:15]
	v_min_u32_e32 v9, 1, v14
	v_or_b32_e32 v9, v15, v9
	v_cvt_f32_i32_e32 v9, v9
	v_sub_u32_e32 v7, 32, v7
	v_ldexp_f32 v14, v9, v7
	s_branch .LBB120_2386
.LBB120_2383:
	s_mov_b64 s[6:7], -1
                                        ; implicit-def: $vgpr14
	s_branch .LBB120_2392
.LBB120_2384:
	s_mov_b64 s[6:7], -1
                                        ; implicit-def: $vgpr14
	s_branch .LBB120_2389
.LBB120_2385:
	s_mov_b64 s[6:7], -1
                                        ; implicit-def: $vgpr14
.LBB120_2386:
	s_andn2_b64 vcc, exec, s[6:7]
	s_cbranch_vccnz .LBB120_2388
; %bb.2387:
	global_load_dword v7, v[12:13], off
	s_waitcnt vmcnt(0)
	v_cvt_f32_i32_e32 v14, v7
.LBB120_2388:
	s_mov_b64 s[6:7], 0
.LBB120_2389:
	s_andn2_b64 vcc, exec, s[6:7]
	s_cbranch_vccnz .LBB120_2391
; %bb.2390:
	global_load_sshort v7, v[12:13], off
	s_waitcnt vmcnt(0)
	v_cvt_f32_i32_e32 v14, v7
.LBB120_2391:
	s_mov_b64 s[6:7], 0
.LBB120_2392:
	s_andn2_b64 vcc, exec, s[6:7]
	s_cbranch_vccnz .LBB120_2398
; %bb.2393:
	v_cmp_gt_i16_e64 s[6:7], s26, 0
	s_and_b64 vcc, exec, s[6:7]
	s_cbranch_vccz .LBB120_2395
; %bb.2394:
	global_load_sbyte v7, v[12:13], off
	s_mov_b64 s[6:7], 0
	s_waitcnt vmcnt(0)
	v_cvt_f32_i32_e32 v14, v7
	s_branch .LBB120_2396
.LBB120_2395:
	s_mov_b64 s[6:7], -1
                                        ; implicit-def: $vgpr14
.LBB120_2396:
	s_andn2_b64 vcc, exec, s[6:7]
	s_cbranch_vccnz .LBB120_2398
; %bb.2397:
	global_load_ubyte v7, v[12:13], off
	s_waitcnt vmcnt(0)
	v_cvt_f32_ubyte0_e32 v14, v7
.LBB120_2398:
	s_mov_b64 s[18:19], -1
.LBB120_2399:
	s_andn2_b64 vcc, exec, s[18:19]
	s_cbranch_vccnz .LBB120_3113
; %bb.2400:
	v_mov_b32_e32 v7, s11
	v_add_co_u32_e32 v10, vcc, s10, v10
	v_addc_co_u32_e32 v11, vcc, 0, v7, vcc
	v_mov_b32_e32 v7, 11
	v_cmp_lt_i16_sdwa s[6:7], s25, v7 src0_sel:BYTE_0 src1_sel:DWORD
	s_and_b64 vcc, exec, s[6:7]
	s_cbranch_vccnz .LBB120_2407
; %bb.2401:
	v_mov_b32_e32 v7, 25
	v_cmp_gt_i16_sdwa s[6:7], s25, v7 src0_sel:BYTE_0 src1_sel:DWORD
	s_mov_b64 s[10:11], 0
	s_and_b64 vcc, exec, s[6:7]
	s_cbranch_vccz .LBB120_2408
; %bb.2402:
	v_mov_b32_e32 v7, 28
	v_cmp_gt_i16_sdwa s[6:7], s25, v7 src0_sel:BYTE_0 src1_sel:DWORD
	s_and_b64 vcc, exec, s[6:7]
	s_cbranch_vccz .LBB120_2409
; %bb.2403:
	v_mov_b32_e32 v7, 43
	v_cmp_gt_i16_sdwa s[6:7], s25, v7 src0_sel:BYTE_0 src1_sel:DWORD
	s_and_b64 vcc, exec, s[6:7]
	s_cbranch_vccz .LBB120_2410
; %bb.2404:
	v_mov_b32_e32 v7, 45
	v_cmp_gt_i16_sdwa s[6:7], s25, v7 src0_sel:BYTE_0 src1_sel:DWORD
	s_and_b64 vcc, exec, s[6:7]
	s_cbranch_vccz .LBB120_2412
; %bb.2405:
	v_mov_b32_e32 v7, 46
	v_cmp_eq_u16_sdwa s[6:7], s25, v7 src0_sel:BYTE_0 src1_sel:DWORD
	s_mov_b64 s[18:19], 0
	s_and_b64 vcc, exec, s[6:7]
	s_cbranch_vccz .LBB120_2413
; %bb.2406:
	global_load_dword v7, v[10:11], off
	s_mov_b64 s[6:7], 0
	s_mov_b64 s[16:17], -1
	s_waitcnt vmcnt(0)
	v_lshlrev_b32_e32 v12, 16, v7
	s_branch .LBB120_2414
.LBB120_2407:
	s_mov_b64 s[6:7], -1
	s_mov_b64 s[16:17], 0
                                        ; implicit-def: $vgpr12
	s_branch .LBB120_2480
.LBB120_2408:
	s_mov_b64 s[18:19], -1
	s_mov_b64 s[16:17], 0
	s_mov_b64 s[6:7], 0
                                        ; implicit-def: $vgpr12
	s_branch .LBB120_2443
.LBB120_2409:
	s_mov_b64 s[18:19], -1
	s_mov_b64 s[16:17], 0
	s_mov_b64 s[6:7], 0
                                        ; implicit-def: $vgpr12
	s_branch .LBB120_2424
.LBB120_2410:
	s_mov_b64 s[18:19], -1
	s_mov_b64 s[16:17], 0
	s_mov_b64 s[6:7], 0
                                        ; implicit-def: $vgpr12
	s_branch .LBB120_2419
.LBB120_2411:
	s_trap 2
	s_or_b64 s[4:5], s[4:5], exec
                                        ; implicit-def: $vgpr14
	s_cbranch_execz .LBB120_2348
	s_branch .LBB120_2349
.LBB120_2412:
	s_mov_b64 s[18:19], -1
	s_mov_b64 s[16:17], 0
	s_mov_b64 s[6:7], 0
                                        ; implicit-def: $vgpr12
	s_branch .LBB120_2414
.LBB120_2413:
	s_mov_b64 s[6:7], -1
                                        ; implicit-def: $vgpr12
	s_mov_b64 s[16:17], 0
.LBB120_2414:
	s_and_b64 vcc, exec, s[18:19]
	s_cbranch_vccz .LBB120_2418
; %bb.2415:
	v_mov_b32_e32 v7, 44
	v_cmp_eq_u16_sdwa s[6:7], s25, v7 src0_sel:BYTE_0 src1_sel:DWORD
	s_and_b64 vcc, exec, s[6:7]
	s_cbranch_vccz .LBB120_2417
; %bb.2416:
	global_load_ubyte v7, v[10:11], off
	s_movk_i32 s16, 0xff
	v_mov_b32_e32 v9, 0x7f800001
	v_mov_b32_e32 v12, 0x400000
	s_mov_b64 s[6:7], 0
	s_waitcnt vmcnt(0)
	v_lshlrev_b32_e32 v13, 23, v7
	v_cmp_ne_u32_e32 vcc, s16, v7
	v_cndmask_b32_e32 v9, v9, v13, vcc
	v_cmp_ne_u32_e32 vcc, 0, v7
	v_cndmask_b32_e32 v12, v12, v9, vcc
	s_mov_b64 s[16:17], -1
	s_branch .LBB120_2418
.LBB120_2417:
	s_mov_b64 s[6:7], -1
                                        ; implicit-def: $vgpr12
.LBB120_2418:
	s_mov_b64 s[18:19], 0
.LBB120_2419:
	s_and_b64 vcc, exec, s[18:19]
	s_cbranch_vccz .LBB120_2423
; %bb.2420:
	v_mov_b32_e32 v7, 29
	v_cmp_eq_u16_sdwa s[6:7], s25, v7 src0_sel:BYTE_0 src1_sel:DWORD
	s_and_b64 vcc, exec, s[6:7]
	s_cbranch_vccz .LBB120_2422
; %bb.2421:
	global_load_dwordx2 v[12:13], v[10:11], off
	s_mov_b64 s[6:7], 0
	s_mov_b64 s[16:17], -1
	s_mov_b64 s[18:19], 0
	s_waitcnt vmcnt(0)
	v_ffbh_u32_e32 v7, v13
	v_min_u32_e32 v7, 32, v7
	v_lshlrev_b64 v[12:13], v7, v[12:13]
	v_min_u32_e32 v9, 1, v12
	v_or_b32_e32 v9, v13, v9
	v_cvt_f32_u32_e32 v9, v9
	v_sub_u32_e32 v7, 32, v7
	v_ldexp_f32 v12, v9, v7
	s_branch .LBB120_2424
.LBB120_2422:
	s_mov_b64 s[6:7], -1
                                        ; implicit-def: $vgpr12
.LBB120_2423:
	s_mov_b64 s[18:19], 0
.LBB120_2424:
	s_and_b64 vcc, exec, s[18:19]
	s_cbranch_vccz .LBB120_2442
; %bb.2425:
	v_mov_b32_e32 v7, 27
	v_cmp_lt_i16_sdwa s[16:17], s25, v7 src0_sel:BYTE_0 src1_sel:DWORD
	s_and_b64 vcc, exec, s[16:17]
	s_cbranch_vccnz .LBB120_2428
; %bb.2426:
	v_cmp_gt_i16_sdwa s[16:17], s25, v7 src0_sel:BYTE_0 src1_sel:DWORD
	s_and_b64 vcc, exec, s[16:17]
	s_cbranch_vccz .LBB120_2429
; %bb.2427:
	global_load_dword v7, v[10:11], off
	s_mov_b64 s[16:17], 0
	s_waitcnt vmcnt(0)
	v_cvt_f32_u32_e32 v12, v7
	s_branch .LBB120_2430
.LBB120_2428:
	s_mov_b64 s[16:17], -1
                                        ; implicit-def: $vgpr12
	s_branch .LBB120_2433
.LBB120_2429:
	s_mov_b64 s[16:17], -1
                                        ; implicit-def: $vgpr12
.LBB120_2430:
	s_andn2_b64 vcc, exec, s[16:17]
	s_cbranch_vccnz .LBB120_2432
; %bb.2431:
	global_load_ushort v7, v[10:11], off
	s_waitcnt vmcnt(0)
	v_cvt_f32_u32_e32 v12, v7
.LBB120_2432:
	s_mov_b64 s[16:17], 0
.LBB120_2433:
	s_andn2_b64 vcc, exec, s[16:17]
	s_cbranch_vccnz .LBB120_2441
; %bb.2434:
	global_load_ubyte v7, v[10:11], off
	s_movk_i32 s16, 0x7f
                                        ; implicit-def: $sgpr22
	s_waitcnt vmcnt(0)
	v_cmp_lt_i16_e32 vcc, s16, v7
	s_mov_b64 s[16:17], 0
	s_and_saveexec_b64 s[18:19], vcc
	s_xor_b64 s[18:19], exec, s[18:19]
	s_cbranch_execz .LBB120_2455
; %bb.2435:
	s_movk_i32 s16, 0x80
	v_cmp_eq_u16_e32 vcc, s16, v7
	s_mov_b64 s[16:17], -1
                                        ; implicit-def: $sgpr22
	s_and_saveexec_b64 s[20:21], vcc
; %bb.2436:
	s_mov_b32 s22, 0x7f800001
	s_xor_b64 s[16:17], exec, -1
; %bb.2437:
	s_or_b64 exec, exec, s[20:21]
	s_and_b64 s[16:17], s[16:17], exec
	s_or_saveexec_b64 s[18:19], s[18:19]
	v_mov_b32_e32 v12, s22
	s_xor_b64 exec, exec, s[18:19]
	s_cbranch_execnz .LBB120_2456
.LBB120_2438:
	s_or_b64 exec, exec, s[18:19]
	s_and_saveexec_b64 s[18:19], s[16:17]
	s_cbranch_execz .LBB120_2440
.LBB120_2439:
	v_lshlrev_b32_e32 v9, 24, v7
	v_and_b32_e32 v7, 0xffff, v7
	v_and_b32_e32 v12, 7, v7
	v_ffbh_u32_e32 v15, v12
	v_min_u32_e32 v15, 32, v15
	v_subrev_u32_e32 v17, 28, v15
	v_bfe_u32 v13, v7, 3, 4
	v_lshlrev_b32_e32 v7, v17, v7
	v_sub_u32_e32 v15, 29, v15
	v_and_b32_e32 v7, 7, v7
	v_cmp_eq_u32_e32 vcc, 0, v13
	v_cndmask_b32_e32 v13, v13, v15, vcc
	v_cndmask_b32_e32 v7, v12, v7, vcc
	v_mov_b32_e32 v12, 0x3b800000
	v_lshlrev_b32_e32 v7, 20, v7
	v_and_b32_e32 v9, 0x80000000, v9
	v_lshl_add_u32 v12, v13, 23, v12
	v_or3_b32 v12, v9, v12, v7
.LBB120_2440:
	s_or_b64 exec, exec, s[18:19]
.LBB120_2441:
	s_mov_b64 s[16:17], -1
.LBB120_2442:
	s_mov_b64 s[18:19], 0
.LBB120_2443:
	s_and_b64 vcc, exec, s[18:19]
	s_cbranch_vccz .LBB120_2476
; %bb.2444:
	v_mov_b32_e32 v7, 22
	v_cmp_gt_i16_sdwa s[10:11], s25, v7 src0_sel:BYTE_0 src1_sel:DWORD
	s_and_b64 vcc, exec, s[10:11]
	s_cbranch_vccz .LBB120_2454
; %bb.2445:
	v_mov_b32_e32 v7, 24
	v_cmp_lt_i16_sdwa s[10:11], s25, v7 src0_sel:BYTE_0 src1_sel:DWORD
	s_and_b64 vcc, exec, s[10:11]
	s_cbranch_vccnz .LBB120_2457
; %bb.2446:
	v_cmp_gt_i16_sdwa s[10:11], s25, v7 src0_sel:BYTE_0 src1_sel:DWORD
	s_and_b64 vcc, exec, s[10:11]
	s_cbranch_vccz .LBB120_2458
; %bb.2447:
	global_load_ubyte v7, v[10:11], off
	s_movk_i32 s10, 0x7f
                                        ; implicit-def: $sgpr20
	s_waitcnt vmcnt(0)
	v_cmp_lt_i16_e32 vcc, s10, v7
	s_mov_b64 s[10:11], 0
	s_and_saveexec_b64 s[16:17], vcc
	s_xor_b64 s[16:17], exec, s[16:17]
	s_cbranch_execz .LBB120_2470
; %bb.2448:
	s_movk_i32 s10, 0x80
	v_cmp_eq_u16_e32 vcc, s10, v7
	s_mov_b64 s[10:11], -1
                                        ; implicit-def: $sgpr20
	s_and_saveexec_b64 s[18:19], vcc
; %bb.2449:
	s_mov_b32 s20, 0x7f800001
	s_xor_b64 s[10:11], exec, -1
; %bb.2450:
	s_or_b64 exec, exec, s[18:19]
	s_and_b64 s[10:11], s[10:11], exec
	s_or_saveexec_b64 s[16:17], s[16:17]
	v_mov_b32_e32 v12, s20
	s_xor_b64 exec, exec, s[16:17]
	s_cbranch_execnz .LBB120_2471
.LBB120_2451:
	s_or_b64 exec, exec, s[16:17]
	s_and_saveexec_b64 s[16:17], s[10:11]
	s_cbranch_execz .LBB120_2453
.LBB120_2452:
	v_lshlrev_b32_e32 v9, 24, v7
	v_and_b32_e32 v7, 0xffff, v7
	v_and_b32_e32 v12, 3, v7
	v_ffbh_u32_e32 v15, v12
	v_min_u32_e32 v15, 32, v15
	v_subrev_u32_e32 v17, 29, v15
	v_bfe_u32 v13, v7, 2, 5
	v_lshlrev_b32_e32 v7, v17, v7
	v_sub_u32_e32 v15, 30, v15
	v_and_b32_e32 v7, 3, v7
	v_cmp_eq_u32_e32 vcc, 0, v13
	v_cndmask_b32_e32 v13, v13, v15, vcc
	v_cndmask_b32_e32 v7, v12, v7, vcc
	v_mov_b32_e32 v12, 0x37800000
	v_lshlrev_b32_e32 v7, 21, v7
	v_and_b32_e32 v9, 0x80000000, v9
	v_lshl_add_u32 v12, v13, 23, v12
	v_or3_b32 v12, v9, v12, v7
.LBB120_2453:
	s_or_b64 exec, exec, s[16:17]
	s_mov_b64 s[10:11], 0
	s_branch .LBB120_2459
.LBB120_2454:
	s_mov_b64 s[10:11], -1
                                        ; implicit-def: $vgpr12
	s_branch .LBB120_2465
.LBB120_2455:
	s_or_saveexec_b64 s[18:19], s[18:19]
	v_mov_b32_e32 v12, s22
	s_xor_b64 exec, exec, s[18:19]
	s_cbranch_execz .LBB120_2438
.LBB120_2456:
	v_cmp_ne_u16_e32 vcc, 0, v7
	s_andn2_b64 s[16:17], s[16:17], exec
	s_and_b64 s[20:21], vcc, exec
	v_mov_b32_e32 v12, 0
	s_or_b64 s[16:17], s[16:17], s[20:21]
	s_or_b64 exec, exec, s[18:19]
	s_and_saveexec_b64 s[18:19], s[16:17]
	s_cbranch_execnz .LBB120_2439
	s_branch .LBB120_2440
.LBB120_2457:
	s_mov_b64 s[10:11], -1
                                        ; implicit-def: $vgpr12
	s_branch .LBB120_2462
.LBB120_2458:
	s_mov_b64 s[10:11], -1
                                        ; implicit-def: $vgpr12
.LBB120_2459:
	s_and_b64 vcc, exec, s[10:11]
	s_cbranch_vccz .LBB120_2461
; %bb.2460:
	global_load_ubyte v7, v[10:11], off
	s_mov_b32 s10, 0x7f800000
	s_waitcnt vmcnt(0)
	v_lshlrev_b32_e32 v7, 24, v7
	v_and_b32_e32 v9, 0x7f000000, v7
	v_ffbh_u32_e32 v12, v9
	v_min_u32_e32 v12, 32, v12
	v_sub_u32_e64 v12, v12, 4 clamp
	v_lshlrev_b32_e32 v15, v12, v9
	v_lshlrev_b32_e32 v12, 23, v12
	v_lshrrev_b32_e32 v15, 4, v15
	v_add_u32_e32 v13, 0x1000000, v9
	v_sub_u32_e32 v12, v15, v12
	v_ashrrev_i32_e32 v13, 8, v13
	v_add_u32_e32 v12, 0x3c000000, v12
	v_and_or_b32 v12, v13, s10, v12
	v_cmp_ne_u32_e32 vcc, 0, v9
	v_cndmask_b32_e32 v9, 0, v12, vcc
	s_brev_b32 s10, 1
	v_and_or_b32 v12, v7, s10, v9
.LBB120_2461:
	s_mov_b64 s[10:11], 0
.LBB120_2462:
	s_andn2_b64 vcc, exec, s[10:11]
	s_cbranch_vccnz .LBB120_2464
; %bb.2463:
	global_load_ubyte v7, v[10:11], off
	s_movk_i32 s10, 0x7f00
	s_brev_b32 s11, 16
	s_waitcnt vmcnt(0)
	v_lshlrev_b16_e32 v9, 8, v7
	v_lshlrev_b32_e32 v7, 25, v7
	v_lshrrev_b32_e32 v12, 4, v7
	v_and_or_b32 v13, v9, s10, 0.5
	v_or_b32_e32 v12, 0x70000000, v12
	v_add_f32_e32 v13, -0.5, v13
	v_mul_f32_e32 v12, 0x7800000, v12
	v_cmp_gt_u32_e32 vcc, s11, v7
	v_bfe_i32 v9, v9, 0, 16
	v_cndmask_b32_e32 v7, v12, v13, vcc
	s_brev_b32 s10, 1
	v_and_or_b32 v12, v9, s10, v7
.LBB120_2464:
	s_mov_b64 s[10:11], 0
	s_mov_b64 s[16:17], -1
.LBB120_2465:
	s_andn2_b64 vcc, exec, s[10:11]
	s_mov_b64 s[10:11], 0
	s_cbranch_vccnz .LBB120_2476
; %bb.2466:
	v_mov_b32_e32 v7, 14
	v_cmp_gt_i16_sdwa s[10:11], s25, v7 src0_sel:BYTE_0 src1_sel:DWORD
	s_and_b64 vcc, exec, s[10:11]
	s_cbranch_vccz .LBB120_2469
; %bb.2467:
	v_mov_b32_e32 v7, 15
	v_cmp_eq_u16_sdwa s[6:7], s25, v7 src0_sel:BYTE_0 src1_sel:DWORD
	s_and_b64 vcc, exec, s[6:7]
	s_cbranch_vccz .LBB120_2472
; %bb.2468:
	global_load_ushort v7, v[10:11], off
	s_mov_b64 s[6:7], 0
	s_mov_b64 s[16:17], -1
	s_waitcnt vmcnt(0)
	v_lshlrev_b32_e32 v12, 16, v7
	s_branch .LBB120_2473
.LBB120_2469:
	s_mov_b64 s[18:19], -1
                                        ; implicit-def: $vgpr12
	s_branch .LBB120_2474
.LBB120_2470:
	s_or_saveexec_b64 s[16:17], s[16:17]
	v_mov_b32_e32 v12, s20
	s_xor_b64 exec, exec, s[16:17]
	s_cbranch_execz .LBB120_2451
.LBB120_2471:
	v_cmp_ne_u16_e32 vcc, 0, v7
	s_andn2_b64 s[10:11], s[10:11], exec
	s_and_b64 s[18:19], vcc, exec
	v_mov_b32_e32 v12, 0
	s_or_b64 s[10:11], s[10:11], s[18:19]
	s_or_b64 exec, exec, s[16:17]
	s_and_saveexec_b64 s[16:17], s[10:11]
	s_cbranch_execnz .LBB120_2452
	s_branch .LBB120_2453
.LBB120_2472:
	s_mov_b64 s[6:7], -1
                                        ; implicit-def: $vgpr12
.LBB120_2473:
	s_mov_b64 s[18:19], 0
.LBB120_2474:
	s_mov_b64 s[10:11], 0
	s_and_b64 vcc, exec, s[18:19]
	s_cbranch_vccz .LBB120_2476
; %bb.2475:
	v_mov_b32_e32 v7, 11
	v_cmp_ne_u16_sdwa s[6:7], s25, v7 src0_sel:BYTE_0 src1_sel:DWORD
	s_mov_b64 s[10:11], -1
                                        ; implicit-def: $vgpr12
.LBB120_2476:
	s_and_b64 vcc, exec, s[6:7]
	s_cbranch_vccnz .LBB120_2541
; %bb.2477:
	s_andn2_b64 vcc, exec, s[10:11]
	s_cbranch_vccnz .LBB120_2479
.LBB120_2478:
	global_load_ubyte v7, v[10:11], off
	s_mov_b64 s[16:17], -1
	s_waitcnt vmcnt(0)
	v_cmp_ne_u16_e32 vcc, 0, v7
	v_cndmask_b32_e64 v12, 0, 1.0, vcc
.LBB120_2479:
	s_mov_b64 s[6:7], 0
.LBB120_2480:
	s_and_b64 vcc, exec, s[6:7]
	s_cbranch_vccz .LBB120_2529
; %bb.2481:
	v_mov_b32_e32 v7, 5
	v_cmp_lt_i16_sdwa s[6:7], s25, v7 src0_sel:BYTE_0 src1_sel:DWORD
	s_and_b64 vcc, exec, s[6:7]
	s_cbranch_vccnz .LBB120_2486
; %bb.2482:
	v_mov_b32_e32 v7, 8
	v_cmp_lt_i16_sdwa s[6:7], s25, v7 src0_sel:BYTE_0 src1_sel:DWORD
	s_and_b64 vcc, exec, s[6:7]
	s_cbranch_vccnz .LBB120_2487
	;; [unrolled: 5-line block ×3, first 2 shown]
; %bb.2484:
	v_cmp_gt_i16_sdwa s[6:7], s25, v7 src0_sel:BYTE_0 src1_sel:DWORD
	s_and_b64 vcc, exec, s[6:7]
	s_cbranch_vccz .LBB120_2489
; %bb.2485:
	global_load_dwordx2 v[12:13], v[10:11], off
	s_mov_b64 s[6:7], 0
	s_waitcnt vmcnt(0)
	v_cvt_f32_f64_e32 v12, v[12:13]
	s_branch .LBB120_2490
.LBB120_2486:
	s_mov_b64 s[6:7], -1
                                        ; implicit-def: $vgpr12
	s_branch .LBB120_2508
.LBB120_2487:
	s_mov_b64 s[6:7], -1
                                        ; implicit-def: $vgpr12
	s_branch .LBB120_2496
.LBB120_2488:
	s_mov_b64 s[6:7], -1
                                        ; implicit-def: $vgpr12
	s_branch .LBB120_2493
.LBB120_2489:
	s_mov_b64 s[6:7], -1
                                        ; implicit-def: $vgpr12
.LBB120_2490:
	s_andn2_b64 vcc, exec, s[6:7]
	s_cbranch_vccnz .LBB120_2492
; %bb.2491:
	global_load_dword v12, v[10:11], off
.LBB120_2492:
	s_mov_b64 s[6:7], 0
.LBB120_2493:
	s_andn2_b64 vcc, exec, s[6:7]
	s_cbranch_vccnz .LBB120_2495
; %bb.2494:
	global_load_dword v7, v[10:11], off
	s_waitcnt vmcnt(0)
	v_cvt_f32_f16_e32 v12, v7
.LBB120_2495:
	s_mov_b64 s[6:7], 0
.LBB120_2496:
	s_andn2_b64 vcc, exec, s[6:7]
	s_cbranch_vccnz .LBB120_2507
; %bb.2497:
	v_mov_b32_e32 v7, 6
	v_cmp_lt_i16_sdwa s[6:7], s25, v7 src0_sel:BYTE_0 src1_sel:DWORD
	s_and_b64 vcc, exec, s[6:7]
	s_cbranch_vccnz .LBB120_2500
; %bb.2498:
	v_cmp_gt_i16_sdwa s[6:7], s25, v7 src0_sel:BYTE_0 src1_sel:DWORD
	s_and_b64 vcc, exec, s[6:7]
	s_cbranch_vccz .LBB120_2501
; %bb.2499:
	global_load_dwordx2 v[12:13], v[10:11], off
	s_mov_b64 s[6:7], 0
	s_waitcnt vmcnt(0)
	v_cvt_f32_f64_e32 v12, v[12:13]
	s_branch .LBB120_2502
.LBB120_2500:
	s_mov_b64 s[6:7], -1
                                        ; implicit-def: $vgpr12
	s_branch .LBB120_2505
.LBB120_2501:
	s_mov_b64 s[6:7], -1
                                        ; implicit-def: $vgpr12
.LBB120_2502:
	s_andn2_b64 vcc, exec, s[6:7]
	s_cbranch_vccnz .LBB120_2504
; %bb.2503:
	global_load_dword v12, v[10:11], off
.LBB120_2504:
	s_mov_b64 s[6:7], 0
.LBB120_2505:
	s_andn2_b64 vcc, exec, s[6:7]
	s_cbranch_vccnz .LBB120_2507
; %bb.2506:
	global_load_ushort v7, v[10:11], off
	s_waitcnt vmcnt(0)
	v_cvt_f32_f16_e32 v12, v7
.LBB120_2507:
	s_mov_b64 s[6:7], 0
.LBB120_2508:
	s_andn2_b64 vcc, exec, s[6:7]
	s_cbranch_vccnz .LBB120_2528
; %bb.2509:
	v_mov_b32_e32 v7, 2
	v_cmp_lt_i16_sdwa s[6:7], s25, v7 src0_sel:BYTE_0 src1_sel:DWORD
	s_and_b64 vcc, exec, s[6:7]
	s_cbranch_vccnz .LBB120_2513
; %bb.2510:
	v_mov_b32_e32 v7, 3
	v_cmp_lt_i16_sdwa s[6:7], s25, v7 src0_sel:BYTE_0 src1_sel:DWORD
	s_and_b64 vcc, exec, s[6:7]
	s_cbranch_vccnz .LBB120_2514
; %bb.2511:
	v_cmp_gt_i16_sdwa s[6:7], s25, v7 src0_sel:BYTE_0 src1_sel:DWORD
	s_and_b64 vcc, exec, s[6:7]
	s_cbranch_vccz .LBB120_2515
; %bb.2512:
	global_load_dwordx2 v[12:13], v[10:11], off
	s_mov_b64 s[6:7], 0
	s_waitcnt vmcnt(0)
	v_xor_b32_e32 v9, v12, v13
	v_ffbh_i32_e32 v7, v13
	v_ashrrev_i32_e32 v9, 31, v9
	v_add_u32_e32 v7, -1, v7
	v_add_u32_e32 v9, 32, v9
	v_min_u32_e32 v7, v7, v9
	v_lshlrev_b64 v[12:13], v7, v[12:13]
	v_min_u32_e32 v9, 1, v12
	v_or_b32_e32 v9, v13, v9
	v_cvt_f32_i32_e32 v9, v9
	v_sub_u32_e32 v7, 32, v7
	v_ldexp_f32 v12, v9, v7
	s_branch .LBB120_2516
.LBB120_2513:
	s_mov_b64 s[6:7], -1
                                        ; implicit-def: $vgpr12
	s_branch .LBB120_2522
.LBB120_2514:
	s_mov_b64 s[6:7], -1
                                        ; implicit-def: $vgpr12
	s_branch .LBB120_2519
.LBB120_2515:
	s_mov_b64 s[6:7], -1
                                        ; implicit-def: $vgpr12
.LBB120_2516:
	s_andn2_b64 vcc, exec, s[6:7]
	s_cbranch_vccnz .LBB120_2518
; %bb.2517:
	global_load_dword v7, v[10:11], off
	s_waitcnt vmcnt(0)
	v_cvt_f32_i32_e32 v12, v7
.LBB120_2518:
	s_mov_b64 s[6:7], 0
.LBB120_2519:
	s_andn2_b64 vcc, exec, s[6:7]
	s_cbranch_vccnz .LBB120_2521
; %bb.2520:
	global_load_sshort v7, v[10:11], off
	s_waitcnt vmcnt(0)
	v_cvt_f32_i32_e32 v12, v7
.LBB120_2521:
	s_mov_b64 s[6:7], 0
.LBB120_2522:
	s_andn2_b64 vcc, exec, s[6:7]
	s_cbranch_vccnz .LBB120_2528
; %bb.2523:
	v_mov_b32_e32 v7, 0
	v_cmp_gt_i16_sdwa s[6:7], s25, v7 src0_sel:BYTE_0 src1_sel:DWORD
	s_and_b64 vcc, exec, s[6:7]
	s_cbranch_vccz .LBB120_2525
; %bb.2524:
	global_load_sbyte v7, v[10:11], off
	s_mov_b64 s[6:7], 0
	s_waitcnt vmcnt(0)
	v_cvt_f32_i32_e32 v12, v7
	s_branch .LBB120_2526
.LBB120_2525:
	s_mov_b64 s[6:7], -1
                                        ; implicit-def: $vgpr12
.LBB120_2526:
	s_andn2_b64 vcc, exec, s[6:7]
	s_cbranch_vccnz .LBB120_2528
; %bb.2527:
	global_load_ubyte v7, v[10:11], off
	s_waitcnt vmcnt(0)
	v_cvt_f32_ubyte0_e32 v12, v7
.LBB120_2528:
	s_mov_b64 s[16:17], -1
.LBB120_2529:
	s_andn2_b64 vcc, exec, s[16:17]
	s_cbranch_vccnz .LBB120_3113
; %bb.2530:
	v_mov_b32_e32 v7, s1
	v_add_co_u32_e32 v8, vcc, s0, v8
	v_addc_co_u32_e32 v9, vcc, 0, v7, vcc
	s_and_b64 vcc, exec, s[2:3]
	s_cbranch_vccnz .LBB120_2537
; %bb.2531:
	v_cmp_gt_i16_e64 s[0:1], s26, 25
	s_mov_b64 s[2:3], 0
	s_and_b64 vcc, exec, s[0:1]
	s_cbranch_vccz .LBB120_2538
; %bb.2532:
	v_cmp_gt_i16_e64 s[0:1], s26, 28
	s_and_b64 vcc, exec, s[0:1]
	s_cbranch_vccz .LBB120_2539
; %bb.2533:
	v_cmp_gt_i16_e64 s[0:1], s26, 43
	;; [unrolled: 4-line block ×3, first 2 shown]
	s_and_b64 vcc, exec, s[0:1]
	s_cbranch_vccz .LBB120_2542
; %bb.2535:
	v_cmp_eq_u16_e64 s[0:1], s26, 46
	s_mov_b64 s[10:11], 0
	s_and_b64 vcc, exec, s[0:1]
	s_cbranch_vccz .LBB120_2543
; %bb.2536:
	global_load_dword v7, v[8:9], off
	s_mov_b64 s[0:1], 0
	s_mov_b64 s[6:7], -1
	s_waitcnt vmcnt(0)
	v_lshlrev_b32_e32 v10, 16, v7
	s_branch .LBB120_2544
.LBB120_2537:
	s_mov_b64 s[0:1], -1
	s_mov_b64 s[6:7], 0
                                        ; implicit-def: $vgpr10
	s_branch .LBB120_2610
.LBB120_2538:
	s_mov_b64 s[10:11], -1
	s_mov_b64 s[6:7], 0
	s_mov_b64 s[0:1], 0
                                        ; implicit-def: $vgpr10
	s_branch .LBB120_2573
.LBB120_2539:
	s_mov_b64 s[10:11], -1
	s_mov_b64 s[6:7], 0
	s_mov_b64 s[0:1], 0
                                        ; implicit-def: $vgpr10
	s_branch .LBB120_2554
.LBB120_2540:
	s_mov_b64 s[10:11], -1
	s_mov_b64 s[6:7], 0
	s_mov_b64 s[0:1], 0
                                        ; implicit-def: $vgpr10
	s_branch .LBB120_2549
.LBB120_2541:
	s_trap 2
	s_or_b64 s[4:5], s[4:5], exec
                                        ; implicit-def: $vgpr12
	s_cbranch_execz .LBB120_2478
	s_branch .LBB120_2479
.LBB120_2542:
	s_mov_b64 s[10:11], -1
	s_mov_b64 s[6:7], 0
	s_mov_b64 s[0:1], 0
                                        ; implicit-def: $vgpr10
	s_branch .LBB120_2544
.LBB120_2543:
	s_mov_b64 s[0:1], -1
                                        ; implicit-def: $vgpr10
	s_mov_b64 s[6:7], 0
.LBB120_2544:
	s_and_b64 vcc, exec, s[10:11]
	s_cbranch_vccz .LBB120_2548
; %bb.2545:
	v_cmp_eq_u16_e64 s[0:1], s26, 44
	s_and_b64 vcc, exec, s[0:1]
	s_cbranch_vccz .LBB120_2547
; %bb.2546:
	global_load_ubyte v7, v[8:9], off
	s_movk_i32 s6, 0xff
	v_mov_b32_e32 v10, 0x7f800001
	v_mov_b32_e32 v11, 0x400000
	s_mov_b64 s[0:1], 0
	s_waitcnt vmcnt(0)
	v_lshlrev_b32_e32 v13, 23, v7
	v_cmp_ne_u32_e32 vcc, s6, v7
	v_cndmask_b32_e32 v10, v10, v13, vcc
	v_cmp_ne_u32_e32 vcc, 0, v7
	v_cndmask_b32_e32 v10, v11, v10, vcc
	s_mov_b64 s[6:7], -1
	s_branch .LBB120_2548
.LBB120_2547:
	s_mov_b64 s[0:1], -1
                                        ; implicit-def: $vgpr10
.LBB120_2548:
	s_mov_b64 s[10:11], 0
.LBB120_2549:
	s_and_b64 vcc, exec, s[10:11]
	s_cbranch_vccz .LBB120_2553
; %bb.2550:
	v_cmp_eq_u16_e64 s[0:1], s26, 29
	s_and_b64 vcc, exec, s[0:1]
	s_cbranch_vccz .LBB120_2552
; %bb.2551:
	global_load_dwordx2 v[10:11], v[8:9], off
	s_mov_b64 s[0:1], 0
	s_mov_b64 s[6:7], -1
	s_mov_b64 s[10:11], 0
	s_waitcnt vmcnt(0)
	v_ffbh_u32_e32 v7, v11
	v_min_u32_e32 v7, 32, v7
	v_lshlrev_b64 v[10:11], v7, v[10:11]
	v_min_u32_e32 v10, 1, v10
	v_or_b32_e32 v10, v11, v10
	v_cvt_f32_u32_e32 v10, v10
	v_sub_u32_e32 v7, 32, v7
	v_ldexp_f32 v10, v10, v7
	s_branch .LBB120_2554
.LBB120_2552:
	s_mov_b64 s[0:1], -1
                                        ; implicit-def: $vgpr10
.LBB120_2553:
	s_mov_b64 s[10:11], 0
.LBB120_2554:
	s_and_b64 vcc, exec, s[10:11]
	s_cbranch_vccz .LBB120_2572
; %bb.2555:
	v_cmp_lt_i16_e64 s[6:7], s26, 27
	s_and_b64 vcc, exec, s[6:7]
	s_cbranch_vccnz .LBB120_2558
; %bb.2556:
	v_cmp_gt_i16_e64 s[6:7], s26, 27
	s_and_b64 vcc, exec, s[6:7]
	s_cbranch_vccz .LBB120_2559
; %bb.2557:
	global_load_dword v7, v[8:9], off
	s_mov_b64 s[6:7], 0
	s_waitcnt vmcnt(0)
	v_cvt_f32_u32_e32 v10, v7
	s_branch .LBB120_2560
.LBB120_2558:
	s_mov_b64 s[6:7], -1
                                        ; implicit-def: $vgpr10
	s_branch .LBB120_2563
.LBB120_2559:
	s_mov_b64 s[6:7], -1
                                        ; implicit-def: $vgpr10
.LBB120_2560:
	s_andn2_b64 vcc, exec, s[6:7]
	s_cbranch_vccnz .LBB120_2562
; %bb.2561:
	global_load_ushort v7, v[8:9], off
	s_waitcnt vmcnt(0)
	v_cvt_f32_u32_e32 v10, v7
.LBB120_2562:
	s_mov_b64 s[6:7], 0
.LBB120_2563:
	s_andn2_b64 vcc, exec, s[6:7]
	s_cbranch_vccnz .LBB120_2571
; %bb.2564:
	global_load_ubyte v7, v[8:9], off
	s_movk_i32 s6, 0x7f
                                        ; implicit-def: $sgpr18
	s_waitcnt vmcnt(0)
	v_cmp_lt_i16_e32 vcc, s6, v7
	s_mov_b64 s[6:7], 0
	s_and_saveexec_b64 s[10:11], vcc
	s_xor_b64 s[10:11], exec, s[10:11]
	s_cbranch_execz .LBB120_2585
; %bb.2565:
	s_movk_i32 s6, 0x80
	v_cmp_eq_u16_e32 vcc, s6, v7
	s_mov_b64 s[6:7], -1
                                        ; implicit-def: $sgpr18
	s_and_saveexec_b64 s[16:17], vcc
; %bb.2566:
	s_mov_b32 s18, 0x7f800001
	s_xor_b64 s[6:7], exec, -1
; %bb.2567:
	s_or_b64 exec, exec, s[16:17]
	s_and_b64 s[6:7], s[6:7], exec
	s_or_saveexec_b64 s[10:11], s[10:11]
	v_mov_b32_e32 v10, s18
	s_xor_b64 exec, exec, s[10:11]
	s_cbranch_execnz .LBB120_2586
.LBB120_2568:
	s_or_b64 exec, exec, s[10:11]
	s_and_saveexec_b64 s[10:11], s[6:7]
	s_cbranch_execz .LBB120_2570
.LBB120_2569:
	v_lshlrev_b32_e32 v10, 24, v7
	v_and_b32_e32 v7, 0xffff, v7
	v_and_b32_e32 v11, 7, v7
	v_ffbh_u32_e32 v15, v11
	v_min_u32_e32 v15, 32, v15
	v_subrev_u32_e32 v17, 28, v15
	v_bfe_u32 v13, v7, 3, 4
	v_lshlrev_b32_e32 v7, v17, v7
	v_sub_u32_e32 v15, 29, v15
	v_and_b32_e32 v7, 7, v7
	v_cmp_eq_u32_e32 vcc, 0, v13
	v_cndmask_b32_e32 v13, v13, v15, vcc
	v_cndmask_b32_e32 v7, v11, v7, vcc
	v_mov_b32_e32 v11, 0x3b800000
	v_lshlrev_b32_e32 v7, 20, v7
	v_and_b32_e32 v10, 0x80000000, v10
	v_lshl_add_u32 v11, v13, 23, v11
	v_or3_b32 v10, v10, v11, v7
.LBB120_2570:
	s_or_b64 exec, exec, s[10:11]
.LBB120_2571:
	s_mov_b64 s[6:7], -1
.LBB120_2572:
	s_mov_b64 s[10:11], 0
.LBB120_2573:
	s_and_b64 vcc, exec, s[10:11]
	s_cbranch_vccz .LBB120_2606
; %bb.2574:
	v_cmp_gt_i16_e64 s[2:3], s26, 22
	s_and_b64 vcc, exec, s[2:3]
	s_cbranch_vccz .LBB120_2584
; %bb.2575:
	v_cmp_lt_i16_e64 s[2:3], s26, 24
	s_and_b64 vcc, exec, s[2:3]
	s_cbranch_vccnz .LBB120_2587
; %bb.2576:
	v_cmp_gt_i16_e64 s[2:3], s26, 24
	s_and_b64 vcc, exec, s[2:3]
	s_cbranch_vccz .LBB120_2588
; %bb.2577:
	global_load_ubyte v7, v[8:9], off
	s_movk_i32 s2, 0x7f
                                        ; implicit-def: $sgpr16
	s_waitcnt vmcnt(0)
	v_cmp_lt_i16_e32 vcc, s2, v7
	s_mov_b64 s[2:3], 0
	s_and_saveexec_b64 s[6:7], vcc
	s_xor_b64 s[6:7], exec, s[6:7]
	s_cbranch_execz .LBB120_2600
; %bb.2578:
	s_movk_i32 s2, 0x80
	v_cmp_eq_u16_e32 vcc, s2, v7
	s_mov_b64 s[2:3], -1
                                        ; implicit-def: $sgpr16
	s_and_saveexec_b64 s[10:11], vcc
; %bb.2579:
	s_mov_b32 s16, 0x7f800001
	s_xor_b64 s[2:3], exec, -1
; %bb.2580:
	s_or_b64 exec, exec, s[10:11]
	s_and_b64 s[2:3], s[2:3], exec
	s_or_saveexec_b64 s[6:7], s[6:7]
	v_mov_b32_e32 v10, s16
	s_xor_b64 exec, exec, s[6:7]
	s_cbranch_execnz .LBB120_2601
.LBB120_2581:
	s_or_b64 exec, exec, s[6:7]
	s_and_saveexec_b64 s[6:7], s[2:3]
	s_cbranch_execz .LBB120_2583
.LBB120_2582:
	v_lshlrev_b32_e32 v10, 24, v7
	v_and_b32_e32 v7, 0xffff, v7
	v_and_b32_e32 v11, 3, v7
	v_ffbh_u32_e32 v15, v11
	v_min_u32_e32 v15, 32, v15
	v_subrev_u32_e32 v17, 29, v15
	v_bfe_u32 v13, v7, 2, 5
	v_lshlrev_b32_e32 v7, v17, v7
	v_sub_u32_e32 v15, 30, v15
	v_and_b32_e32 v7, 3, v7
	v_cmp_eq_u32_e32 vcc, 0, v13
	v_cndmask_b32_e32 v13, v13, v15, vcc
	v_cndmask_b32_e32 v7, v11, v7, vcc
	v_mov_b32_e32 v11, 0x37800000
	v_lshlrev_b32_e32 v7, 21, v7
	v_and_b32_e32 v10, 0x80000000, v10
	v_lshl_add_u32 v11, v13, 23, v11
	v_or3_b32 v10, v10, v11, v7
.LBB120_2583:
	s_or_b64 exec, exec, s[6:7]
	s_mov_b64 s[2:3], 0
	s_branch .LBB120_2589
.LBB120_2584:
	s_mov_b64 s[2:3], -1
                                        ; implicit-def: $vgpr10
	s_branch .LBB120_2595
.LBB120_2585:
	s_or_saveexec_b64 s[10:11], s[10:11]
	v_mov_b32_e32 v10, s18
	s_xor_b64 exec, exec, s[10:11]
	s_cbranch_execz .LBB120_2568
.LBB120_2586:
	v_cmp_ne_u16_e32 vcc, 0, v7
	s_andn2_b64 s[6:7], s[6:7], exec
	s_and_b64 s[16:17], vcc, exec
	v_mov_b32_e32 v10, 0
	s_or_b64 s[6:7], s[6:7], s[16:17]
	s_or_b64 exec, exec, s[10:11]
	s_and_saveexec_b64 s[10:11], s[6:7]
	s_cbranch_execnz .LBB120_2569
	s_branch .LBB120_2570
.LBB120_2587:
	s_mov_b64 s[2:3], -1
                                        ; implicit-def: $vgpr10
	s_branch .LBB120_2592
.LBB120_2588:
	s_mov_b64 s[2:3], -1
                                        ; implicit-def: $vgpr10
.LBB120_2589:
	s_and_b64 vcc, exec, s[2:3]
	s_cbranch_vccz .LBB120_2591
; %bb.2590:
	global_load_ubyte v7, v[8:9], off
	s_mov_b32 s2, 0x7f800000
	s_waitcnt vmcnt(0)
	v_lshlrev_b32_e32 v7, 24, v7
	v_and_b32_e32 v10, 0x7f000000, v7
	v_ffbh_u32_e32 v11, v10
	v_min_u32_e32 v11, 32, v11
	v_sub_u32_e64 v11, v11, 4 clamp
	v_lshlrev_b32_e32 v15, v11, v10
	v_lshlrev_b32_e32 v11, 23, v11
	v_lshrrev_b32_e32 v15, 4, v15
	v_add_u32_e32 v13, 0x1000000, v10
	v_sub_u32_e32 v11, v15, v11
	v_ashrrev_i32_e32 v13, 8, v13
	v_add_u32_e32 v11, 0x3c000000, v11
	v_and_or_b32 v11, v13, s2, v11
	v_cmp_ne_u32_e32 vcc, 0, v10
	v_cndmask_b32_e32 v10, 0, v11, vcc
	s_brev_b32 s2, 1
	v_and_or_b32 v10, v7, s2, v10
.LBB120_2591:
	s_mov_b64 s[2:3], 0
.LBB120_2592:
	s_andn2_b64 vcc, exec, s[2:3]
	s_cbranch_vccnz .LBB120_2594
; %bb.2593:
	global_load_ubyte v7, v[8:9], off
	s_movk_i32 s2, 0x7f00
	s_brev_b32 s3, 16
	s_waitcnt vmcnt(0)
	v_lshlrev_b16_e32 v10, 8, v7
	v_lshlrev_b32_e32 v7, 25, v7
	v_lshrrev_b32_e32 v11, 4, v7
	v_and_or_b32 v13, v10, s2, 0.5
	v_or_b32_e32 v11, 0x70000000, v11
	v_add_f32_e32 v13, -0.5, v13
	v_mul_f32_e32 v11, 0x7800000, v11
	v_cmp_gt_u32_e32 vcc, s3, v7
	v_bfe_i32 v10, v10, 0, 16
	v_cndmask_b32_e32 v7, v11, v13, vcc
	s_brev_b32 s2, 1
	v_and_or_b32 v10, v10, s2, v7
.LBB120_2594:
	s_mov_b64 s[2:3], 0
	s_mov_b64 s[6:7], -1
.LBB120_2595:
	s_andn2_b64 vcc, exec, s[2:3]
	s_mov_b64 s[2:3], 0
	s_cbranch_vccnz .LBB120_2606
; %bb.2596:
	v_cmp_gt_i16_e64 s[2:3], s26, 14
	s_and_b64 vcc, exec, s[2:3]
	s_cbranch_vccz .LBB120_2599
; %bb.2597:
	v_cmp_eq_u16_e64 s[0:1], s26, 15
	s_and_b64 vcc, exec, s[0:1]
	s_cbranch_vccz .LBB120_2602
; %bb.2598:
	global_load_ushort v7, v[8:9], off
	s_mov_b64 s[0:1], 0
	s_mov_b64 s[6:7], -1
	s_waitcnt vmcnt(0)
	v_lshlrev_b32_e32 v10, 16, v7
	s_branch .LBB120_2603
.LBB120_2599:
	s_mov_b64 s[10:11], -1
                                        ; implicit-def: $vgpr10
	s_branch .LBB120_2604
.LBB120_2600:
	s_or_saveexec_b64 s[6:7], s[6:7]
	v_mov_b32_e32 v10, s16
	s_xor_b64 exec, exec, s[6:7]
	s_cbranch_execz .LBB120_2581
.LBB120_2601:
	v_cmp_ne_u16_e32 vcc, 0, v7
	s_andn2_b64 s[2:3], s[2:3], exec
	s_and_b64 s[10:11], vcc, exec
	v_mov_b32_e32 v10, 0
	s_or_b64 s[2:3], s[2:3], s[10:11]
	s_or_b64 exec, exec, s[6:7]
	s_and_saveexec_b64 s[6:7], s[2:3]
	s_cbranch_execnz .LBB120_2582
	s_branch .LBB120_2583
.LBB120_2602:
	s_mov_b64 s[0:1], -1
                                        ; implicit-def: $vgpr10
.LBB120_2603:
	s_mov_b64 s[10:11], 0
.LBB120_2604:
	s_mov_b64 s[2:3], 0
	s_and_b64 vcc, exec, s[10:11]
	s_cbranch_vccz .LBB120_2606
; %bb.2605:
	v_cmp_ne_u16_e64 s[0:1], s26, 11
	s_mov_b64 s[2:3], -1
                                        ; implicit-def: $vgpr10
.LBB120_2606:
	s_and_b64 vcc, exec, s[0:1]
	s_cbranch_vccnz .LBB120_2670
; %bb.2607:
	s_andn2_b64 vcc, exec, s[2:3]
	s_cbranch_vccnz .LBB120_2609
.LBB120_2608:
	global_load_ubyte v7, v[8:9], off
	s_mov_b64 s[6:7], -1
	s_waitcnt vmcnt(0)
	v_cmp_ne_u16_e32 vcc, 0, v7
	v_cndmask_b32_e64 v10, 0, 1.0, vcc
.LBB120_2609:
	s_mov_b64 s[0:1], 0
.LBB120_2610:
	s_and_b64 vcc, exec, s[0:1]
	s_cbranch_vccz .LBB120_2659
; %bb.2611:
	v_cmp_lt_i16_e64 s[0:1], s26, 5
	s_and_b64 vcc, exec, s[0:1]
	s_cbranch_vccnz .LBB120_2616
; %bb.2612:
	v_cmp_lt_i16_e64 s[0:1], s26, 8
	s_and_b64 vcc, exec, s[0:1]
	s_cbranch_vccnz .LBB120_2617
	;; [unrolled: 4-line block ×3, first 2 shown]
; %bb.2614:
	v_cmp_gt_i16_e64 s[0:1], s26, 9
	s_and_b64 vcc, exec, s[0:1]
	s_cbranch_vccz .LBB120_2619
; %bb.2615:
	global_load_dwordx2 v[10:11], v[8:9], off
	s_mov_b64 s[0:1], 0
	s_waitcnt vmcnt(0)
	v_cvt_f32_f64_e32 v10, v[10:11]
	s_branch .LBB120_2620
.LBB120_2616:
	s_mov_b64 s[0:1], -1
                                        ; implicit-def: $vgpr10
	s_branch .LBB120_2638
.LBB120_2617:
	s_mov_b64 s[0:1], -1
                                        ; implicit-def: $vgpr10
	s_branch .LBB120_2626
.LBB120_2618:
	s_mov_b64 s[0:1], -1
                                        ; implicit-def: $vgpr10
	s_branch .LBB120_2623
.LBB120_2619:
	s_mov_b64 s[0:1], -1
                                        ; implicit-def: $vgpr10
.LBB120_2620:
	s_andn2_b64 vcc, exec, s[0:1]
	s_cbranch_vccnz .LBB120_2622
; %bb.2621:
	global_load_dword v10, v[8:9], off
.LBB120_2622:
	s_mov_b64 s[0:1], 0
.LBB120_2623:
	s_andn2_b64 vcc, exec, s[0:1]
	s_cbranch_vccnz .LBB120_2625
; %bb.2624:
	global_load_dword v7, v[8:9], off
	s_waitcnt vmcnt(0)
	v_cvt_f32_f16_e32 v10, v7
.LBB120_2625:
	s_mov_b64 s[0:1], 0
.LBB120_2626:
	s_andn2_b64 vcc, exec, s[0:1]
	s_cbranch_vccnz .LBB120_2637
; %bb.2627:
	v_cmp_lt_i16_e64 s[0:1], s26, 6
	s_and_b64 vcc, exec, s[0:1]
	s_cbranch_vccnz .LBB120_2630
; %bb.2628:
	v_cmp_gt_i16_e64 s[0:1], s26, 6
	s_and_b64 vcc, exec, s[0:1]
	s_cbranch_vccz .LBB120_2631
; %bb.2629:
	global_load_dwordx2 v[10:11], v[8:9], off
	s_mov_b64 s[0:1], 0
	s_waitcnt vmcnt(0)
	v_cvt_f32_f64_e32 v10, v[10:11]
	s_branch .LBB120_2632
.LBB120_2630:
	s_mov_b64 s[0:1], -1
                                        ; implicit-def: $vgpr10
	s_branch .LBB120_2635
.LBB120_2631:
	s_mov_b64 s[0:1], -1
                                        ; implicit-def: $vgpr10
.LBB120_2632:
	s_andn2_b64 vcc, exec, s[0:1]
	s_cbranch_vccnz .LBB120_2634
; %bb.2633:
	global_load_dword v10, v[8:9], off
.LBB120_2634:
	s_mov_b64 s[0:1], 0
.LBB120_2635:
	s_andn2_b64 vcc, exec, s[0:1]
	s_cbranch_vccnz .LBB120_2637
; %bb.2636:
	global_load_ushort v7, v[8:9], off
	s_waitcnt vmcnt(0)
	v_cvt_f32_f16_e32 v10, v7
.LBB120_2637:
	s_mov_b64 s[0:1], 0
.LBB120_2638:
	s_andn2_b64 vcc, exec, s[0:1]
	s_cbranch_vccnz .LBB120_2658
; %bb.2639:
	v_cmp_lt_i16_e64 s[0:1], s26, 2
	s_and_b64 vcc, exec, s[0:1]
	s_cbranch_vccnz .LBB120_2643
; %bb.2640:
	v_cmp_lt_i16_e64 s[0:1], s26, 3
	s_and_b64 vcc, exec, s[0:1]
	s_cbranch_vccnz .LBB120_2644
; %bb.2641:
	v_cmp_gt_i16_e64 s[0:1], s26, 3
	s_and_b64 vcc, exec, s[0:1]
	s_cbranch_vccz .LBB120_2645
; %bb.2642:
	global_load_dwordx2 v[10:11], v[8:9], off
	s_mov_b64 s[0:1], 0
	s_waitcnt vmcnt(0)
	v_xor_b32_e32 v13, v10, v11
	v_ffbh_i32_e32 v7, v11
	v_ashrrev_i32_e32 v13, 31, v13
	v_add_u32_e32 v7, -1, v7
	v_add_u32_e32 v13, 32, v13
	v_min_u32_e32 v7, v7, v13
	v_lshlrev_b64 v[10:11], v7, v[10:11]
	v_min_u32_e32 v10, 1, v10
	v_or_b32_e32 v10, v11, v10
	v_cvt_f32_i32_e32 v10, v10
	v_sub_u32_e32 v7, 32, v7
	v_ldexp_f32 v10, v10, v7
	s_branch .LBB120_2646
.LBB120_2643:
	s_mov_b64 s[0:1], -1
                                        ; implicit-def: $vgpr10
	s_branch .LBB120_2652
.LBB120_2644:
	s_mov_b64 s[0:1], -1
                                        ; implicit-def: $vgpr10
	s_branch .LBB120_2649
.LBB120_2645:
	s_mov_b64 s[0:1], -1
                                        ; implicit-def: $vgpr10
.LBB120_2646:
	s_andn2_b64 vcc, exec, s[0:1]
	s_cbranch_vccnz .LBB120_2648
; %bb.2647:
	global_load_dword v7, v[8:9], off
	s_waitcnt vmcnt(0)
	v_cvt_f32_i32_e32 v10, v7
.LBB120_2648:
	s_mov_b64 s[0:1], 0
.LBB120_2649:
	s_andn2_b64 vcc, exec, s[0:1]
	s_cbranch_vccnz .LBB120_2651
; %bb.2650:
	global_load_sshort v7, v[8:9], off
	s_waitcnt vmcnt(0)
	v_cvt_f32_i32_e32 v10, v7
.LBB120_2651:
	s_mov_b64 s[0:1], 0
.LBB120_2652:
	s_andn2_b64 vcc, exec, s[0:1]
	s_cbranch_vccnz .LBB120_2658
; %bb.2653:
	v_cmp_gt_i16_e64 s[0:1], s26, 0
	s_and_b64 vcc, exec, s[0:1]
	s_cbranch_vccz .LBB120_2655
; %bb.2654:
	global_load_sbyte v7, v[8:9], off
	s_mov_b64 s[0:1], 0
	s_waitcnt vmcnt(0)
	v_cvt_f32_i32_e32 v10, v7
	s_branch .LBB120_2656
.LBB120_2655:
	s_mov_b64 s[0:1], -1
                                        ; implicit-def: $vgpr10
.LBB120_2656:
	s_andn2_b64 vcc, exec, s[0:1]
	s_cbranch_vccnz .LBB120_2658
; %bb.2657:
	global_load_ubyte v7, v[8:9], off
	s_waitcnt vmcnt(0)
	v_cvt_f32_ubyte0_e32 v10, v7
.LBB120_2658:
	s_mov_b64 s[6:7], -1
.LBB120_2659:
	s_andn2_b64 vcc, exec, s[6:7]
	s_cbranch_vccnz .LBB120_3113
; %bb.2660:
	s_brev_b32 s0, -2
	s_waitcnt vmcnt(0)
	v_bfi_b32 v8, s0, v1, v5
	v_mov_b32_e32 v5, s9
	v_add_co_u32_e32 v6, vcc, s8, v6
	s_lshr_b32 s18, s24, 8
	v_addc_co_u32_e32 v7, vcc, 0, v5, vcc
	v_mov_b32_e32 v5, 11
	v_cmp_lt_i16_sdwa s[0:1], s18, v5 src0_sel:BYTE_0 src1_sel:DWORD
	s_and_b64 vcc, exec, s[0:1]
	s_cbranch_vccnz .LBB120_2667
; %bb.2661:
	v_mov_b32_e32 v5, 25
	v_cmp_gt_i16_sdwa s[0:1], s18, v5 src0_sel:BYTE_0 src1_sel:DWORD
	s_mov_b64 s[10:11], -1
	s_mov_b64 s[2:3], 0
	s_and_b64 vcc, exec, s[0:1]
	s_mov_b64 s[6:7], 0
	s_mov_b64 s[0:1], 0
	s_cbranch_vccz .LBB120_2699
; %bb.2662:
	v_mov_b32_e32 v5, 28
	v_cmp_gt_i16_sdwa s[0:1], s18, v5 src0_sel:BYTE_0 src1_sel:DWORD
	s_and_b64 vcc, exec, s[0:1]
	s_cbranch_vccz .LBB120_2668
; %bb.2663:
	v_mov_b32_e32 v5, 43
	v_cmp_gt_i16_sdwa s[0:1], s18, v5 src0_sel:BYTE_0 src1_sel:DWORD
	s_and_b64 vcc, exec, s[0:1]
	;; [unrolled: 5-line block ×3, first 2 shown]
	s_cbranch_vccz .LBB120_2671
; %bb.2665:
	v_mov_b32_e32 v5, 46
	v_cmp_eq_u16_sdwa s[6:7], s18, v5 src0_sel:BYTE_0 src1_sel:DWORD
	s_mov_b64 s[0:1], -1
	s_mov_b64 s[10:11], 0
	s_and_b64 vcc, exec, s[6:7]
	s_mov_b64 s[6:7], 0
	s_cbranch_vccz .LBB120_2672
; %bb.2666:
	v_bfe_u32 v5, v8, 16, 1
	s_movk_i32 s0, 0x7fff
	v_add3_u32 v5, v8, v5, s0
	v_lshrrev_b32_e32 v5, 16, v5
	v_mov_b32_e32 v9, 0x7fc0
	v_cmp_o_f32_e32 vcc, v8, v8
	v_cndmask_b32_e32 v5, v9, v5, vcc
	global_store_dword v[6:7], v5, off
	s_mov_b64 s[0:1], 0
	s_mov_b64 s[6:7], -1
	s_branch .LBB120_2672
.LBB120_2667:
	s_mov_b64 s[0:1], -1
	s_mov_b64 s[6:7], 0
	s_branch .LBB120_2743
.LBB120_2668:
	s_mov_b64 s[0:1], 0
	s_branch .LBB120_2682
.LBB120_2669:
	s_mov_b64 s[0:1], 0
	s_branch .LBB120_2678
.LBB120_2670:
	s_trap 2
	s_or_b64 s[4:5], s[4:5], exec
                                        ; implicit-def: $vgpr10
	s_cbranch_execz .LBB120_2608
	s_branch .LBB120_2609
.LBB120_2671:
	s_mov_b64 s[0:1], 0
.LBB120_2672:
	s_and_b64 vcc, exec, s[10:11]
	s_cbranch_vccz .LBB120_2677
; %bb.2673:
	v_mov_b32_e32 v5, 44
	v_cmp_eq_u16_sdwa s[10:11], s18, v5 src0_sel:BYTE_0 src1_sel:DWORD
	s_mov_b64 s[0:1], -1
	s_and_b64 vcc, exec, s[10:11]
	s_cbranch_vccz .LBB120_2677
; %bb.2674:
	v_bfe_u32 v5, v8, 23, 8
	s_movk_i32 s0, 0xff
	v_cmp_ne_u32_e32 vcc, s0, v5
	v_mov_b32_e32 v9, 0xff
	s_and_saveexec_b64 s[6:7], vcc
; %bb.2675:
	s_mov_b32 s0, 0x3fffff
	v_and_b32_e32 v11, 0x400000, v8
	v_and_or_b32 v5, v8, s0, v5
	v_cmp_ne_u32_e32 vcc, 0, v11
	v_cmp_ne_u32_e64 s[0:1], 0, v5
	s_and_b64 s[0:1], vcc, s[0:1]
	v_lshrrev_b32_e32 v9, 23, v8
	v_cndmask_b32_e64 v5, 0, 1, s[0:1]
	v_add_u32_e32 v9, v9, v5
; %bb.2676:
	s_or_b64 exec, exec, s[6:7]
	s_mov_b64 s[0:1], 0
	s_mov_b64 s[6:7], -1
	global_store_byte v[6:7], v9, off
.LBB120_2677:
	s_mov_b64 s[10:11], 0
.LBB120_2678:
	s_and_b64 vcc, exec, s[10:11]
	s_cbranch_vccz .LBB120_2681
; %bb.2679:
	v_mov_b32_e32 v5, 29
	v_cmp_eq_u16_sdwa s[10:11], s18, v5 src0_sel:BYTE_0 src1_sel:DWORD
	s_mov_b64 s[0:1], -1
	s_and_b64 vcc, exec, s[10:11]
	s_cbranch_vccz .LBB120_2681
; %bb.2680:
	v_trunc_f32_e32 v5, v8
	v_mul_f32_e32 v9, 0x2f800000, v5
	v_floor_f32_e32 v9, v9
	v_fmac_f32_e32 v5, 0xcf800000, v9
	v_cvt_u32_f32_e32 v21, v9
	v_cvt_u32_f32_e32 v20, v5
	s_mov_b64 s[0:1], 0
	s_mov_b64 s[6:7], -1
	s_mov_b64 s[10:11], 0
	global_store_dwordx2 v[6:7], v[20:21], off
	s_branch .LBB120_2682
.LBB120_2681:
	s_mov_b64 s[10:11], 0
.LBB120_2682:
	s_and_b64 vcc, exec, s[10:11]
	s_cbranch_vccz .LBB120_2698
; %bb.2683:
	v_mov_b32_e32 v5, 27
	v_cmp_lt_i16_sdwa s[10:11], s18, v5 src0_sel:BYTE_0 src1_sel:DWORD
	s_mov_b64 s[6:7], -1
	s_and_b64 vcc, exec, s[10:11]
	s_cbranch_vccnz .LBB120_2689
; %bb.2684:
	v_cmp_gt_i16_sdwa s[10:11], s18, v5 src0_sel:BYTE_0 src1_sel:DWORD
	v_cvt_u32_f32_e32 v5, v8
	s_and_b64 vcc, exec, s[10:11]
	s_cbranch_vccz .LBB120_2686
; %bb.2685:
	s_mov_b64 s[6:7], 0
	global_store_dword v[6:7], v5, off
.LBB120_2686:
	s_andn2_b64 vcc, exec, s[6:7]
	s_cbranch_vccnz .LBB120_2688
; %bb.2687:
	global_store_short v[6:7], v5, off
.LBB120_2688:
	s_mov_b64 s[6:7], 0
.LBB120_2689:
	s_andn2_b64 vcc, exec, s[6:7]
	s_cbranch_vccnz .LBB120_2697
; %bb.2690:
	v_and_b32_e32 v5, 0x7fffffff, v1
	s_mov_b32 s6, 0x43800000
	v_cmp_gt_u32_e32 vcc, s6, v5
	v_mov_b32_e32 v9, 0x80
	s_and_saveexec_b64 s[6:7], vcc
	s_cbranch_execz .LBB120_2696
; %bb.2691:
	s_mov_b32 s10, 0x3bffffff
	v_cmp_lt_u32_e32 vcc, s10, v5
	s_mov_b64 s[10:11], 0
                                        ; implicit-def: $vgpr5
	s_and_saveexec_b64 s[16:17], vcc
	s_xor_b64 s[16:17], exec, s[16:17]
	s_cbranch_execz .LBB120_2792
; %bb.2692:
	v_bfe_u32 v5, v8, 20, 1
	s_mov_b32 s19, 0x487ffff
	v_add3_u32 v5, v8, v5, s19
	s_mov_b64 s[10:11], exec
	v_lshrrev_b32_e32 v5, 20, v5
	s_or_saveexec_b64 s[16:17], s[16:17]
                                        ; implicit-def: $sgpr19
	s_xor_b64 exec, exec, s[16:17]
	s_cbranch_execnz .LBB120_2793
.LBB120_2693:
	s_or_b64 exec, exec, s[16:17]
	v_mov_b32_e32 v9, s19
	s_and_saveexec_b64 s[16:17], s[10:11]
.LBB120_2694:
	v_lshrrev_b32_e32 v9, 24, v8
	s_movk_i32 s10, 0x80
	v_and_or_b32 v9, v9, s10, v5
.LBB120_2695:
	s_or_b64 exec, exec, s[16:17]
.LBB120_2696:
	s_or_b64 exec, exec, s[6:7]
	global_store_byte v[6:7], v9, off
.LBB120_2697:
	s_mov_b64 s[6:7], -1
.LBB120_2698:
	s_mov_b64 s[10:11], 0
.LBB120_2699:
	s_and_b64 vcc, exec, s[10:11]
	s_cbranch_vccz .LBB120_2739
; %bb.2700:
	v_mov_b32_e32 v5, 22
	v_cmp_gt_i16_sdwa s[10:11], s18, v5 src0_sel:BYTE_0 src1_sel:DWORD
	s_mov_b64 s[2:3], -1
	s_and_b64 vcc, exec, s[10:11]
	s_cbranch_vccz .LBB120_2732
; %bb.2701:
	v_mov_b32_e32 v5, 24
	v_cmp_lt_i16_sdwa s[6:7], s18, v5 src0_sel:BYTE_0 src1_sel:DWORD
	s_and_b64 vcc, exec, s[6:7]
	s_cbranch_vccnz .LBB120_2721
; %bb.2702:
	v_cmp_gt_i16_sdwa s[6:7], s18, v5 src0_sel:BYTE_0 src1_sel:DWORD
	s_and_b64 vcc, exec, s[6:7]
	s_cbranch_vccz .LBB120_2710
; %bb.2703:
	v_and_b32_e32 v5, 0x7fffffff, v1
	s_mov_b32 s2, 0x47800000
	v_cmp_gt_u32_e32 vcc, s2, v5
	v_mov_b32_e32 v9, 0x80
	s_and_saveexec_b64 s[2:3], vcc
	s_cbranch_execz .LBB120_2709
; %bb.2704:
	s_mov_b32 s6, 0x37ffffff
	v_cmp_lt_u32_e32 vcc, s6, v5
	s_mov_b64 s[6:7], 0
                                        ; implicit-def: $vgpr5
	s_and_saveexec_b64 s[10:11], vcc
	s_xor_b64 s[10:11], exec, s[10:11]
	s_cbranch_execz .LBB120_2796
; %bb.2705:
	v_bfe_u32 v5, v8, 21, 1
	s_mov_b32 s16, 0x88fffff
	v_add3_u32 v5, v8, v5, s16
	s_mov_b64 s[6:7], exec
	v_lshrrev_b32_e32 v5, 21, v5
	s_or_saveexec_b64 s[10:11], s[10:11]
                                        ; implicit-def: $sgpr16
	s_xor_b64 exec, exec, s[10:11]
	s_cbranch_execnz .LBB120_2797
.LBB120_2706:
	s_or_b64 exec, exec, s[10:11]
	v_mov_b32_e32 v9, s16
	s_and_saveexec_b64 s[10:11], s[6:7]
.LBB120_2707:
	v_lshrrev_b32_e32 v9, 24, v8
	s_movk_i32 s6, 0x80
	v_and_or_b32 v9, v9, s6, v5
.LBB120_2708:
	s_or_b64 exec, exec, s[10:11]
.LBB120_2709:
	s_or_b64 exec, exec, s[2:3]
	s_mov_b64 s[2:3], 0
	global_store_byte v[6:7], v9, off
.LBB120_2710:
	s_and_b64 vcc, exec, s[2:3]
	s_cbranch_vccz .LBB120_2720
; %bb.2711:
	v_and_b32_e32 v9, 0x7fffffff, v1
	s_mov_b32 s2, 0x43f00000
	v_cmp_gt_u32_e32 vcc, s2, v9
                                        ; implicit-def: $vgpr5
	s_and_saveexec_b64 s[2:3], vcc
	s_xor_b64 s[2:3], exec, s[2:3]
	s_cbranch_execz .LBB120_2717
; %bb.2712:
	s_mov_b32 s6, 0x3c7fffff
	v_cmp_lt_u32_e32 vcc, s6, v9
                                        ; implicit-def: $vgpr5
	s_and_saveexec_b64 s[6:7], vcc
	s_xor_b64 s[6:7], exec, s[6:7]
; %bb.2713:
	v_bfe_u32 v5, v8, 20, 1
	s_mov_b32 s10, 0x407ffff
	v_add3_u32 v5, v8, v5, s10
	v_lshrrev_b32_e32 v9, 20, v5
	v_and_b32_e32 v5, 0xff00000, v5
	s_mov_b32 s10, 0x7f00000
	v_mov_b32_e32 v11, 0x7e
	v_cmp_ne_u32_e32 vcc, s10, v5
	v_cndmask_b32_e32 v5, v11, v9, vcc
; %bb.2714:
	s_andn2_saveexec_b64 s[6:7], s[6:7]
; %bb.2715:
	s_mov_b32 s10, 0x46800000
	v_add_f32_e64 v5, |v1|, s10
; %bb.2716:
	s_or_b64 exec, exec, s[6:7]
                                        ; implicit-def: $vgpr9
.LBB120_2717:
	s_andn2_saveexec_b64 s[2:3], s[2:3]
; %bb.2718:
	s_mov_b32 s6, 0x7f800000
	v_mov_b32_e32 v5, 0x7e
	v_mov_b32_e32 v11, 0x7f
	v_cmp_lt_u32_e32 vcc, s6, v9
	v_cndmask_b32_e32 v5, v5, v11, vcc
; %bb.2719:
	s_or_b64 exec, exec, s[2:3]
	v_lshrrev_b32_e32 v9, 24, v8
	s_movk_i32 s2, 0x80
	v_and_or_b32 v5, v9, s2, v5
	global_store_byte v[6:7], v5, off
.LBB120_2720:
	s_mov_b64 s[2:3], 0
.LBB120_2721:
	s_andn2_b64 vcc, exec, s[2:3]
	s_cbranch_vccnz .LBB120_2731
; %bb.2722:
	v_and_b32_e32 v9, 0x7fffffff, v1
	s_mov_b32 s2, 0x47800000
	v_cmp_gt_u32_e32 vcc, s2, v9
                                        ; implicit-def: $vgpr5
	s_and_saveexec_b64 s[2:3], vcc
	s_xor_b64 s[2:3], exec, s[2:3]
	s_cbranch_execz .LBB120_2728
; %bb.2723:
	s_mov_b32 s6, 0x387fffff
	v_cmp_lt_u32_e32 vcc, s6, v9
                                        ; implicit-def: $vgpr5
	s_and_saveexec_b64 s[6:7], vcc
	s_xor_b64 s[6:7], exec, s[6:7]
; %bb.2724:
	v_bfe_u32 v1, v8, 21, 1
	s_mov_b32 s10, 0x80fffff
	v_add3_u32 v1, v8, v1, s10
	v_lshrrev_b32_e32 v5, 21, v1
                                        ; implicit-def: $vgpr1
; %bb.2725:
	s_andn2_saveexec_b64 s[6:7], s[6:7]
; %bb.2726:
	s_mov_b32 s10, 0x43000000
	v_add_f32_e64 v5, |v1|, s10
; %bb.2727:
	s_or_b64 exec, exec, s[6:7]
                                        ; implicit-def: $vgpr9
.LBB120_2728:
	s_andn2_saveexec_b64 s[2:3], s[2:3]
; %bb.2729:
	s_mov_b32 s6, 0x7f800000
	v_mov_b32_e32 v1, 0x7c
	v_mov_b32_e32 v5, 0x7f
	v_cmp_lt_u32_e32 vcc, s6, v9
	v_cndmask_b32_e32 v5, v1, v5, vcc
; %bb.2730:
	s_or_b64 exec, exec, s[2:3]
	v_lshrrev_b32_e32 v1, 24, v8
	s_movk_i32 s2, 0x80
	v_and_or_b32 v1, v1, s2, v5
	global_store_byte v[6:7], v1, off
.LBB120_2731:
	s_mov_b64 s[2:3], 0
	s_mov_b64 s[6:7], -1
.LBB120_2732:
	s_andn2_b64 vcc, exec, s[2:3]
	s_mov_b64 s[2:3], 0
	s_cbranch_vccnz .LBB120_2739
; %bb.2733:
	v_mov_b32_e32 v1, 14
	v_cmp_gt_i16_sdwa s[2:3], s18, v1 src0_sel:BYTE_0 src1_sel:DWORD
	s_mov_b64 s[10:11], -1
	s_and_b64 vcc, exec, s[2:3]
	s_cbranch_vccz .LBB120_2737
; %bb.2734:
	v_mov_b32_e32 v1, 15
	v_cmp_eq_u16_sdwa s[2:3], s18, v1 src0_sel:BYTE_0 src1_sel:DWORD
	s_mov_b64 s[0:1], -1
	s_and_b64 vcc, exec, s[2:3]
	s_cbranch_vccz .LBB120_2736
; %bb.2735:
	v_bfe_u32 v1, v8, 16, 1
	s_movk_i32 s0, 0x7fff
	v_add3_u32 v1, v8, v1, s0
	v_lshrrev_b32_e32 v1, 16, v1
	v_mov_b32_e32 v5, 0x7fc0
	v_cmp_o_f32_e32 vcc, v8, v8
	v_cndmask_b32_e32 v1, v5, v1, vcc
	global_store_short v[6:7], v1, off
	s_mov_b64 s[0:1], 0
	s_mov_b64 s[6:7], -1
.LBB120_2736:
	s_mov_b64 s[10:11], 0
.LBB120_2737:
	s_mov_b64 s[2:3], 0
	s_and_b64 vcc, exec, s[10:11]
	s_cbranch_vccz .LBB120_2739
; %bb.2738:
	v_mov_b32_e32 v1, 11
	v_cmp_ne_u16_sdwa s[0:1], s18, v1 src0_sel:BYTE_0 src1_sel:DWORD
	s_mov_b64 s[2:3], -1
.LBB120_2739:
	s_and_b64 vcc, exec, s[0:1]
	s_cbranch_vccnz .LBB120_2795
; %bb.2740:
	s_andn2_b64 vcc, exec, s[2:3]
	s_cbranch_vccnz .LBB120_2742
.LBB120_2741:
	v_cmp_neq_f32_e32 vcc, 0, v8
	v_cndmask_b32_e64 v1, 0, 1, vcc
	s_mov_b64 s[6:7], -1
	global_store_byte v[6:7], v1, off
.LBB120_2742:
	s_mov_b64 s[0:1], 0
.LBB120_2743:
	s_and_b64 vcc, exec, s[0:1]
	s_cbranch_vccz .LBB120_2782
; %bb.2744:
	v_mov_b32_e32 v1, 5
	v_cmp_lt_i16_sdwa s[2:3], s18, v1 src0_sel:BYTE_0 src1_sel:DWORD
	s_mov_b64 s[0:1], -1
	s_and_b64 vcc, exec, s[2:3]
	s_cbranch_vccnz .LBB120_2765
; %bb.2745:
	v_mov_b32_e32 v1, 8
	v_cmp_lt_i16_sdwa s[2:3], s18, v1 src0_sel:BYTE_0 src1_sel:DWORD
	s_and_b64 vcc, exec, s[2:3]
	s_cbranch_vccnz .LBB120_2755
; %bb.2746:
	v_mov_b32_e32 v1, 9
	v_cmp_lt_i16_sdwa s[2:3], s18, v1 src0_sel:BYTE_0 src1_sel:DWORD
	s_and_b64 vcc, exec, s[2:3]
	s_cbranch_vccnz .LBB120_2752
; %bb.2747:
	v_cmp_gt_i16_sdwa s[2:3], s18, v1 src0_sel:BYTE_0 src1_sel:DWORD
	s_and_b64 vcc, exec, s[2:3]
	s_cbranch_vccz .LBB120_2749
; %bb.2748:
	v_mov_b32_e32 v22, 0
	v_cvt_f64_f32_e32 v[20:21], v8
	v_mov_b32_e32 v23, v22
	global_store_dwordx4 v[6:7], v[20:23], off
	s_mov_b64 s[0:1], 0
.LBB120_2749:
	s_andn2_b64 vcc, exec, s[0:1]
	s_cbranch_vccnz .LBB120_2751
; %bb.2750:
	v_mov_b32_e32 v9, 0
	global_store_dwordx2 v[6:7], v[8:9], off
.LBB120_2751:
	s_mov_b64 s[0:1], 0
.LBB120_2752:
	s_andn2_b64 vcc, exec, s[0:1]
	s_cbranch_vccnz .LBB120_2754
; %bb.2753:
	v_cvt_f16_f32_e32 v1, v8
	global_store_dword v[6:7], v1, off
.LBB120_2754:
	s_mov_b64 s[0:1], 0
.LBB120_2755:
	s_andn2_b64 vcc, exec, s[0:1]
	s_cbranch_vccnz .LBB120_2764
; %bb.2756:
	v_mov_b32_e32 v1, 6
	v_cmp_lt_i16_sdwa s[2:3], s18, v1 src0_sel:BYTE_0 src1_sel:DWORD
	s_mov_b64 s[0:1], -1
	s_and_b64 vcc, exec, s[2:3]
	s_cbranch_vccnz .LBB120_2762
; %bb.2757:
	v_cmp_gt_i16_sdwa s[2:3], s18, v1 src0_sel:BYTE_0 src1_sel:DWORD
	s_and_b64 vcc, exec, s[2:3]
	s_cbranch_vccz .LBB120_2759
; %bb.2758:
	v_cvt_f64_f32_e32 v[20:21], v8
	global_store_dwordx2 v[6:7], v[20:21], off
	s_mov_b64 s[0:1], 0
.LBB120_2759:
	s_andn2_b64 vcc, exec, s[0:1]
	s_cbranch_vccnz .LBB120_2761
; %bb.2760:
	global_store_dword v[6:7], v8, off
.LBB120_2761:
	s_mov_b64 s[0:1], 0
.LBB120_2762:
	s_andn2_b64 vcc, exec, s[0:1]
	s_cbranch_vccnz .LBB120_2764
; %bb.2763:
	v_cvt_f16_f32_e32 v1, v8
	global_store_short v[6:7], v1, off
.LBB120_2764:
	s_mov_b64 s[0:1], 0
.LBB120_2765:
	s_andn2_b64 vcc, exec, s[0:1]
	s_cbranch_vccnz .LBB120_2781
; %bb.2766:
	v_mov_b32_e32 v1, 2
	v_cmp_lt_i16_sdwa s[2:3], s18, v1 src0_sel:BYTE_0 src1_sel:DWORD
	s_mov_b64 s[0:1], -1
	s_and_b64 vcc, exec, s[2:3]
	s_cbranch_vccnz .LBB120_2776
; %bb.2767:
	v_mov_b32_e32 v1, 3
	v_cmp_lt_i16_sdwa s[2:3], s18, v1 src0_sel:BYTE_0 src1_sel:DWORD
	s_and_b64 vcc, exec, s[2:3]
	s_cbranch_vccnz .LBB120_2773
; %bb.2768:
	v_cmp_gt_i16_sdwa s[2:3], s18, v1 src0_sel:BYTE_0 src1_sel:DWORD
	s_and_b64 vcc, exec, s[2:3]
	s_cbranch_vccz .LBB120_2770
; %bb.2769:
	v_trunc_f32_e32 v1, v8
	s_mov_b32 s0, 0x2f800000
	v_mul_f32_e64 v5, |v1|, s0
	v_floor_f32_e32 v5, v5
	s_mov_b32 s0, 0xcf800000
	v_cvt_u32_f32_e32 v9, v5
	v_fma_f32 v5, v5, s0, |v1|
	v_cvt_u32_f32_e32 v5, v5
	v_ashrrev_i32_e32 v1, 31, v1
	v_xor_b32_e32 v9, v9, v1
	s_mov_b64 s[0:1], 0
	v_xor_b32_e32 v5, v5, v1
	v_sub_co_u32_e32 v20, vcc, v5, v1
	v_subb_co_u32_e32 v21, vcc, v9, v1, vcc
	global_store_dwordx2 v[6:7], v[20:21], off
.LBB120_2770:
	s_andn2_b64 vcc, exec, s[0:1]
	s_cbranch_vccnz .LBB120_2772
; %bb.2771:
	v_cvt_i32_f32_e32 v1, v8
	global_store_dword v[6:7], v1, off
.LBB120_2772:
	s_mov_b64 s[0:1], 0
.LBB120_2773:
	s_andn2_b64 vcc, exec, s[0:1]
	s_cbranch_vccnz .LBB120_2775
; %bb.2774:
	v_cvt_i32_f32_e32 v1, v8
	global_store_short v[6:7], v1, off
.LBB120_2775:
	s_mov_b64 s[0:1], 0
.LBB120_2776:
	s_andn2_b64 vcc, exec, s[0:1]
	s_cbranch_vccnz .LBB120_2781
; %bb.2777:
	v_mov_b32_e32 v1, 0
	v_cmp_gt_i16_sdwa s[2:3], s18, v1 src0_sel:BYTE_0 src1_sel:DWORD
	s_mov_b64 s[0:1], -1
	s_and_b64 vcc, exec, s[2:3]
	s_cbranch_vccz .LBB120_2779
; %bb.2778:
	v_cvt_i32_f32_e32 v1, v8
	s_mov_b64 s[0:1], 0
	global_store_byte v[6:7], v1, off
.LBB120_2779:
	s_andn2_b64 vcc, exec, s[0:1]
	s_cbranch_vccnz .LBB120_2781
; %bb.2780:
	v_trunc_f32_e32 v1, v8
	s_mov_b32 s0, 0x2f800000
	v_mul_f32_e64 v5, |v1|, s0
	v_floor_f32_e32 v5, v5
	s_mov_b32 s0, 0xcf800000
	v_fma_f32 v5, v5, s0, |v1|
	v_cvt_u32_f32_e32 v5, v5
	v_ashrrev_i32_e32 v1, 31, v1
	v_xor_b32_e32 v5, v5, v1
	v_sub_u32_e32 v1, v5, v1
	global_store_byte v[6:7], v1, off
.LBB120_2781:
	s_mov_b64 s[6:7], -1
.LBB120_2782:
	s_andn2_b64 vcc, exec, s[6:7]
	s_cbranch_vccnz .LBB120_3113
; %bb.2783:
	v_mov_b32_e32 v1, s9
	v_add_co_u32_e32 v4, vcc, s8, v4
	s_brev_b32 s0, -2
	v_addc_co_u32_e32 v5, vcc, 0, v1, vcc
	v_mov_b32_e32 v1, 11
	v_bfi_b32 v6, s0, v3, v18
	v_cmp_lt_i16_sdwa s[0:1], s18, v1 src0_sel:BYTE_0 src1_sel:DWORD
	s_and_b64 vcc, exec, s[0:1]
	s_cbranch_vccnz .LBB120_2790
; %bb.2784:
	v_mov_b32_e32 v1, 25
	v_cmp_gt_i16_sdwa s[0:1], s18, v1 src0_sel:BYTE_0 src1_sel:DWORD
	s_mov_b64 s[10:11], -1
	s_mov_b64 s[2:3], 0
	s_and_b64 vcc, exec, s[0:1]
	s_mov_b64 s[6:7], 0
	s_mov_b64 s[0:1], 0
	s_cbranch_vccz .LBB120_2826
; %bb.2785:
	v_mov_b32_e32 v1, 28
	v_cmp_gt_i16_sdwa s[0:1], s18, v1 src0_sel:BYTE_0 src1_sel:DWORD
	s_and_b64 vcc, exec, s[0:1]
	s_cbranch_vccz .LBB120_2791
; %bb.2786:
	v_mov_b32_e32 v1, 43
	v_cmp_gt_i16_sdwa s[0:1], s18, v1 src0_sel:BYTE_0 src1_sel:DWORD
	s_and_b64 vcc, exec, s[0:1]
	;; [unrolled: 5-line block ×3, first 2 shown]
	s_cbranch_vccz .LBB120_2798
; %bb.2788:
	v_mov_b32_e32 v1, 46
	v_cmp_eq_u16_sdwa s[6:7], s18, v1 src0_sel:BYTE_0 src1_sel:DWORD
	s_mov_b64 s[0:1], -1
	s_mov_b64 s[10:11], 0
	s_and_b64 vcc, exec, s[6:7]
	s_mov_b64 s[6:7], 0
	s_cbranch_vccz .LBB120_2799
; %bb.2789:
	v_bfe_u32 v1, v6, 16, 1
	s_movk_i32 s0, 0x7fff
	v_add3_u32 v1, v6, v1, s0
	v_lshrrev_b32_e32 v1, 16, v1
	v_mov_b32_e32 v7, 0x7fc0
	v_cmp_o_f32_e32 vcc, v6, v6
	v_cndmask_b32_e32 v1, v7, v1, vcc
	global_store_dword v[4:5], v1, off
	s_mov_b64 s[0:1], 0
	s_mov_b64 s[6:7], -1
	s_branch .LBB120_2799
.LBB120_2790:
	s_mov_b64 s[0:1], -1
	s_mov_b64 s[6:7], 0
	s_branch .LBB120_2870
.LBB120_2791:
	s_mov_b64 s[0:1], 0
	s_branch .LBB120_2809
.LBB120_2792:
	s_or_saveexec_b64 s[16:17], s[16:17]
                                        ; implicit-def: $sgpr19
	s_xor_b64 exec, exec, s[16:17]
	s_cbranch_execz .LBB120_2693
.LBB120_2793:
	s_mov_b32 s19, 0x46000000
	v_add_f32_e64 v5, |v1|, s19
	v_and_b32_e32 v5, 0xff, v5
	v_cmp_ne_u32_e32 vcc, 0, v5
	s_andn2_b64 s[10:11], s[10:11], exec
	s_and_b64 s[20:21], vcc, exec
	s_mov_b32 s19, 0
	s_or_b64 s[10:11], s[10:11], s[20:21]
	s_or_b64 exec, exec, s[16:17]
	v_mov_b32_e32 v9, s19
	s_and_saveexec_b64 s[16:17], s[10:11]
	s_cbranch_execnz .LBB120_2694
	s_branch .LBB120_2695
.LBB120_2794:
	s_mov_b64 s[0:1], 0
	s_branch .LBB120_2805
.LBB120_2795:
	s_trap 2
	s_or_b64 s[4:5], s[4:5], exec
	s_cbranch_execz .LBB120_2741
	s_branch .LBB120_2742
.LBB120_2796:
	s_or_saveexec_b64 s[10:11], s[10:11]
                                        ; implicit-def: $sgpr16
	s_xor_b64 exec, exec, s[10:11]
	s_cbranch_execz .LBB120_2706
.LBB120_2797:
	s_mov_b32 s16, 0x42800000
	v_add_f32_e64 v5, |v1|, s16
	v_and_b32_e32 v5, 0xff, v5
	v_cmp_ne_u32_e32 vcc, 0, v5
	s_andn2_b64 s[6:7], s[6:7], exec
	s_and_b64 s[20:21], vcc, exec
	s_mov_b32 s16, 0
	s_or_b64 s[6:7], s[6:7], s[20:21]
	s_or_b64 exec, exec, s[10:11]
	v_mov_b32_e32 v9, s16
	s_and_saveexec_b64 s[10:11], s[6:7]
	s_cbranch_execnz .LBB120_2707
	s_branch .LBB120_2708
.LBB120_2798:
	s_mov_b64 s[0:1], 0
.LBB120_2799:
	s_and_b64 vcc, exec, s[10:11]
	s_cbranch_vccz .LBB120_2804
; %bb.2800:
	v_mov_b32_e32 v1, 44
	v_cmp_eq_u16_sdwa s[10:11], s18, v1 src0_sel:BYTE_0 src1_sel:DWORD
	s_mov_b64 s[0:1], -1
	s_and_b64 vcc, exec, s[10:11]
	s_cbranch_vccz .LBB120_2804
; %bb.2801:
	v_bfe_u32 v1, v6, 23, 8
	s_movk_i32 s0, 0xff
	v_cmp_ne_u32_e32 vcc, s0, v1
	v_mov_b32_e32 v7, 0xff
	s_and_saveexec_b64 s[6:7], vcc
; %bb.2802:
	s_mov_b32 s0, 0x3fffff
	v_and_b32_e32 v8, 0x400000, v6
	v_and_or_b32 v1, v6, s0, v1
	v_cmp_ne_u32_e32 vcc, 0, v8
	v_cmp_ne_u32_e64 s[0:1], 0, v1
	s_and_b64 s[0:1], vcc, s[0:1]
	v_lshrrev_b32_e32 v7, 23, v6
	v_cndmask_b32_e64 v1, 0, 1, s[0:1]
	v_add_u32_e32 v7, v7, v1
; %bb.2803:
	s_or_b64 exec, exec, s[6:7]
	s_mov_b64 s[0:1], 0
	s_mov_b64 s[6:7], -1
	global_store_byte v[4:5], v7, off
.LBB120_2804:
	s_mov_b64 s[10:11], 0
.LBB120_2805:
	s_and_b64 vcc, exec, s[10:11]
	s_cbranch_vccz .LBB120_2808
; %bb.2806:
	v_mov_b32_e32 v1, 29
	v_cmp_eq_u16_sdwa s[10:11], s18, v1 src0_sel:BYTE_0 src1_sel:DWORD
	s_mov_b64 s[0:1], -1
	s_and_b64 vcc, exec, s[10:11]
	s_cbranch_vccz .LBB120_2808
; %bb.2807:
	v_trunc_f32_e32 v1, v6
	v_mul_f32_e32 v7, 0x2f800000, v1
	v_floor_f32_e32 v7, v7
	v_fmac_f32_e32 v1, 0xcf800000, v7
	v_cvt_u32_f32_e32 v9, v7
	v_cvt_u32_f32_e32 v8, v1
	s_mov_b64 s[0:1], 0
	s_mov_b64 s[6:7], -1
	s_mov_b64 s[10:11], 0
	global_store_dwordx2 v[4:5], v[8:9], off
	s_branch .LBB120_2809
.LBB120_2808:
	s_mov_b64 s[10:11], 0
.LBB120_2809:
	s_and_b64 vcc, exec, s[10:11]
	s_cbranch_vccz .LBB120_2825
; %bb.2810:
	v_mov_b32_e32 v1, 27
	v_cmp_lt_i16_sdwa s[10:11], s18, v1 src0_sel:BYTE_0 src1_sel:DWORD
	s_mov_b64 s[6:7], -1
	s_and_b64 vcc, exec, s[10:11]
	s_cbranch_vccnz .LBB120_2816
; %bb.2811:
	v_cmp_gt_i16_sdwa s[10:11], s18, v1 src0_sel:BYTE_0 src1_sel:DWORD
	s_and_b64 vcc, exec, s[10:11]
	s_cbranch_vccz .LBB120_2813
; %bb.2812:
	v_cvt_u32_f32_e32 v1, v6
	s_mov_b64 s[6:7], 0
	global_store_dword v[4:5], v1, off
.LBB120_2813:
	s_andn2_b64 vcc, exec, s[6:7]
	s_cbranch_vccnz .LBB120_2815
; %bb.2814:
	v_cvt_u32_f32_e32 v1, v6
	global_store_short v[4:5], v1, off
.LBB120_2815:
	s_mov_b64 s[6:7], 0
.LBB120_2816:
	s_andn2_b64 vcc, exec, s[6:7]
	s_cbranch_vccnz .LBB120_2824
; %bb.2817:
	v_and_b32_e32 v1, 0x7fffffff, v3
	s_mov_b32 s6, 0x43800000
	v_cmp_gt_u32_e32 vcc, s6, v1
	v_mov_b32_e32 v7, 0x80
	s_and_saveexec_b64 s[6:7], vcc
	s_cbranch_execz .LBB120_2823
; %bb.2818:
	s_mov_b32 s10, 0x3bffffff
	v_cmp_lt_u32_e32 vcc, s10, v1
	s_mov_b64 s[10:11], 0
                                        ; implicit-def: $vgpr1
	s_and_saveexec_b64 s[16:17], vcc
	s_xor_b64 s[16:17], exec, s[16:17]
	s_cbranch_execz .LBB120_2919
; %bb.2819:
	v_bfe_u32 v1, v6, 20, 1
	s_mov_b32 s19, 0x487ffff
	v_add3_u32 v1, v6, v1, s19
	s_mov_b64 s[10:11], exec
	v_lshrrev_b32_e32 v1, 20, v1
	s_or_saveexec_b64 s[16:17], s[16:17]
                                        ; implicit-def: $sgpr19
	s_xor_b64 exec, exec, s[16:17]
	s_cbranch_execnz .LBB120_2920
.LBB120_2820:
	s_or_b64 exec, exec, s[16:17]
	v_mov_b32_e32 v7, s19
	s_and_saveexec_b64 s[16:17], s[10:11]
.LBB120_2821:
	v_lshrrev_b32_e32 v7, 24, v6
	s_movk_i32 s10, 0x80
	v_and_or_b32 v7, v7, s10, v1
.LBB120_2822:
	s_or_b64 exec, exec, s[16:17]
.LBB120_2823:
	s_or_b64 exec, exec, s[6:7]
	global_store_byte v[4:5], v7, off
.LBB120_2824:
	s_mov_b64 s[6:7], -1
.LBB120_2825:
	s_mov_b64 s[10:11], 0
.LBB120_2826:
	s_and_b64 vcc, exec, s[10:11]
	s_cbranch_vccz .LBB120_2866
; %bb.2827:
	v_mov_b32_e32 v1, 22
	v_cmp_gt_i16_sdwa s[10:11], s18, v1 src0_sel:BYTE_0 src1_sel:DWORD
	s_mov_b64 s[2:3], -1
	s_and_b64 vcc, exec, s[10:11]
	s_cbranch_vccz .LBB120_2859
; %bb.2828:
	v_mov_b32_e32 v1, 24
	v_cmp_lt_i16_sdwa s[6:7], s18, v1 src0_sel:BYTE_0 src1_sel:DWORD
	s_and_b64 vcc, exec, s[6:7]
	s_cbranch_vccnz .LBB120_2848
; %bb.2829:
	v_cmp_gt_i16_sdwa s[6:7], s18, v1 src0_sel:BYTE_0 src1_sel:DWORD
	s_and_b64 vcc, exec, s[6:7]
	s_cbranch_vccz .LBB120_2837
; %bb.2830:
	v_and_b32_e32 v1, 0x7fffffff, v3
	s_mov_b32 s2, 0x47800000
	v_cmp_gt_u32_e32 vcc, s2, v1
	v_mov_b32_e32 v7, 0x80
	s_and_saveexec_b64 s[2:3], vcc
	s_cbranch_execz .LBB120_2836
; %bb.2831:
	s_mov_b32 s6, 0x37ffffff
	v_cmp_lt_u32_e32 vcc, s6, v1
	s_mov_b64 s[6:7], 0
                                        ; implicit-def: $vgpr1
	s_and_saveexec_b64 s[10:11], vcc
	s_xor_b64 s[10:11], exec, s[10:11]
	s_cbranch_execz .LBB120_2923
; %bb.2832:
	v_bfe_u32 v1, v6, 21, 1
	s_mov_b32 s16, 0x88fffff
	v_add3_u32 v1, v6, v1, s16
	s_mov_b64 s[6:7], exec
	v_lshrrev_b32_e32 v1, 21, v1
	s_or_saveexec_b64 s[10:11], s[10:11]
                                        ; implicit-def: $sgpr16
	s_xor_b64 exec, exec, s[10:11]
	s_cbranch_execnz .LBB120_2924
.LBB120_2833:
	s_or_b64 exec, exec, s[10:11]
	v_mov_b32_e32 v7, s16
	s_and_saveexec_b64 s[10:11], s[6:7]
.LBB120_2834:
	v_lshrrev_b32_e32 v7, 24, v6
	s_movk_i32 s6, 0x80
	v_and_or_b32 v7, v7, s6, v1
.LBB120_2835:
	s_or_b64 exec, exec, s[10:11]
.LBB120_2836:
	s_or_b64 exec, exec, s[2:3]
	s_mov_b64 s[2:3], 0
	global_store_byte v[4:5], v7, off
.LBB120_2837:
	s_and_b64 vcc, exec, s[2:3]
	s_cbranch_vccz .LBB120_2847
; %bb.2838:
	v_and_b32_e32 v7, 0x7fffffff, v3
	s_mov_b32 s2, 0x43f00000
	v_cmp_gt_u32_e32 vcc, s2, v7
                                        ; implicit-def: $vgpr1
	s_and_saveexec_b64 s[2:3], vcc
	s_xor_b64 s[2:3], exec, s[2:3]
	s_cbranch_execz .LBB120_2844
; %bb.2839:
	s_mov_b32 s6, 0x3c7fffff
	v_cmp_lt_u32_e32 vcc, s6, v7
                                        ; implicit-def: $vgpr1
	s_and_saveexec_b64 s[6:7], vcc
	s_xor_b64 s[6:7], exec, s[6:7]
; %bb.2840:
	v_bfe_u32 v1, v6, 20, 1
	s_mov_b32 s10, 0x407ffff
	v_add3_u32 v1, v6, v1, s10
	v_lshrrev_b32_e32 v7, 20, v1
	v_and_b32_e32 v1, 0xff00000, v1
	s_mov_b32 s10, 0x7f00000
	v_mov_b32_e32 v8, 0x7e
	v_cmp_ne_u32_e32 vcc, s10, v1
	v_cndmask_b32_e32 v1, v8, v7, vcc
; %bb.2841:
	s_andn2_saveexec_b64 s[6:7], s[6:7]
; %bb.2842:
	s_mov_b32 s10, 0x46800000
	v_add_f32_e64 v1, |v3|, s10
; %bb.2843:
	s_or_b64 exec, exec, s[6:7]
                                        ; implicit-def: $vgpr7
.LBB120_2844:
	s_andn2_saveexec_b64 s[2:3], s[2:3]
; %bb.2845:
	s_mov_b32 s6, 0x7f800000
	v_mov_b32_e32 v1, 0x7e
	v_mov_b32_e32 v8, 0x7f
	v_cmp_lt_u32_e32 vcc, s6, v7
	v_cndmask_b32_e32 v1, v1, v8, vcc
; %bb.2846:
	s_or_b64 exec, exec, s[2:3]
	v_lshrrev_b32_e32 v7, 24, v6
	s_movk_i32 s2, 0x80
	v_and_or_b32 v1, v7, s2, v1
	global_store_byte v[4:5], v1, off
.LBB120_2847:
	s_mov_b64 s[2:3], 0
.LBB120_2848:
	s_andn2_b64 vcc, exec, s[2:3]
	s_cbranch_vccnz .LBB120_2858
; %bb.2849:
	v_and_b32_e32 v7, 0x7fffffff, v3
	s_mov_b32 s2, 0x47800000
	v_cmp_gt_u32_e32 vcc, s2, v7
                                        ; implicit-def: $vgpr1
	s_and_saveexec_b64 s[2:3], vcc
	s_xor_b64 s[2:3], exec, s[2:3]
	s_cbranch_execz .LBB120_2855
; %bb.2850:
	s_mov_b32 s6, 0x387fffff
	v_cmp_lt_u32_e32 vcc, s6, v7
                                        ; implicit-def: $vgpr1
	s_and_saveexec_b64 s[6:7], vcc
	s_xor_b64 s[6:7], exec, s[6:7]
; %bb.2851:
	v_bfe_u32 v1, v6, 21, 1
	s_mov_b32 s10, 0x80fffff
	v_add3_u32 v1, v6, v1, s10
	v_lshrrev_b32_e32 v1, 21, v1
                                        ; implicit-def: $vgpr3
; %bb.2852:
	s_andn2_saveexec_b64 s[6:7], s[6:7]
; %bb.2853:
	s_mov_b32 s10, 0x43000000
	v_add_f32_e64 v1, |v3|, s10
; %bb.2854:
	s_or_b64 exec, exec, s[6:7]
                                        ; implicit-def: $vgpr7
.LBB120_2855:
	s_andn2_saveexec_b64 s[2:3], s[2:3]
; %bb.2856:
	s_mov_b32 s6, 0x7f800000
	v_mov_b32_e32 v1, 0x7c
	v_mov_b32_e32 v3, 0x7f
	v_cmp_lt_u32_e32 vcc, s6, v7
	v_cndmask_b32_e32 v1, v1, v3, vcc
; %bb.2857:
	s_or_b64 exec, exec, s[2:3]
	v_lshrrev_b32_e32 v3, 24, v6
	s_movk_i32 s2, 0x80
	v_and_or_b32 v1, v3, s2, v1
	global_store_byte v[4:5], v1, off
.LBB120_2858:
	s_mov_b64 s[2:3], 0
	s_mov_b64 s[6:7], -1
.LBB120_2859:
	s_andn2_b64 vcc, exec, s[2:3]
	s_mov_b64 s[2:3], 0
	s_cbranch_vccnz .LBB120_2866
; %bb.2860:
	v_mov_b32_e32 v1, 14
	v_cmp_gt_i16_sdwa s[2:3], s18, v1 src0_sel:BYTE_0 src1_sel:DWORD
	s_mov_b64 s[10:11], -1
	s_and_b64 vcc, exec, s[2:3]
	s_cbranch_vccz .LBB120_2864
; %bb.2861:
	v_mov_b32_e32 v1, 15
	v_cmp_eq_u16_sdwa s[2:3], s18, v1 src0_sel:BYTE_0 src1_sel:DWORD
	s_mov_b64 s[0:1], -1
	s_and_b64 vcc, exec, s[2:3]
	s_cbranch_vccz .LBB120_2863
; %bb.2862:
	v_bfe_u32 v1, v6, 16, 1
	s_movk_i32 s0, 0x7fff
	v_add3_u32 v1, v6, v1, s0
	v_lshrrev_b32_e32 v1, 16, v1
	v_mov_b32_e32 v3, 0x7fc0
	v_cmp_o_f32_e32 vcc, v6, v6
	v_cndmask_b32_e32 v1, v3, v1, vcc
	global_store_short v[4:5], v1, off
	s_mov_b64 s[0:1], 0
	s_mov_b64 s[6:7], -1
.LBB120_2863:
	s_mov_b64 s[10:11], 0
.LBB120_2864:
	s_mov_b64 s[2:3], 0
	s_and_b64 vcc, exec, s[10:11]
	s_cbranch_vccz .LBB120_2866
; %bb.2865:
	v_mov_b32_e32 v1, 11
	v_cmp_ne_u16_sdwa s[0:1], s18, v1 src0_sel:BYTE_0 src1_sel:DWORD
	s_mov_b64 s[2:3], -1
.LBB120_2866:
	s_and_b64 vcc, exec, s[0:1]
	s_cbranch_vccnz .LBB120_2922
; %bb.2867:
	s_andn2_b64 vcc, exec, s[2:3]
	s_cbranch_vccnz .LBB120_2869
.LBB120_2868:
	v_cmp_neq_f32_e32 vcc, 0, v6
	v_cndmask_b32_e64 v1, 0, 1, vcc
	s_mov_b64 s[6:7], -1
	global_store_byte v[4:5], v1, off
.LBB120_2869:
	s_mov_b64 s[0:1], 0
.LBB120_2870:
	s_and_b64 vcc, exec, s[0:1]
	s_cbranch_vccz .LBB120_2909
; %bb.2871:
	v_mov_b32_e32 v1, 5
	v_cmp_lt_i16_sdwa s[2:3], s18, v1 src0_sel:BYTE_0 src1_sel:DWORD
	s_mov_b64 s[0:1], -1
	s_and_b64 vcc, exec, s[2:3]
	s_cbranch_vccnz .LBB120_2892
; %bb.2872:
	v_mov_b32_e32 v1, 8
	v_cmp_lt_i16_sdwa s[2:3], s18, v1 src0_sel:BYTE_0 src1_sel:DWORD
	s_and_b64 vcc, exec, s[2:3]
	s_cbranch_vccnz .LBB120_2882
; %bb.2873:
	v_mov_b32_e32 v1, 9
	v_cmp_lt_i16_sdwa s[2:3], s18, v1 src0_sel:BYTE_0 src1_sel:DWORD
	s_and_b64 vcc, exec, s[2:3]
	s_cbranch_vccnz .LBB120_2879
; %bb.2874:
	v_cmp_gt_i16_sdwa s[2:3], s18, v1 src0_sel:BYTE_0 src1_sel:DWORD
	s_and_b64 vcc, exec, s[2:3]
	s_cbranch_vccz .LBB120_2876
; %bb.2875:
	v_mov_b32_e32 v20, 0
	v_cvt_f64_f32_e32 v[18:19], v6
	v_mov_b32_e32 v21, v20
	global_store_dwordx4 v[4:5], v[18:21], off
	s_mov_b64 s[0:1], 0
.LBB120_2876:
	s_andn2_b64 vcc, exec, s[0:1]
	s_cbranch_vccnz .LBB120_2878
; %bb.2877:
	v_mov_b32_e32 v7, 0
	global_store_dwordx2 v[4:5], v[6:7], off
.LBB120_2878:
	s_mov_b64 s[0:1], 0
.LBB120_2879:
	s_andn2_b64 vcc, exec, s[0:1]
	s_cbranch_vccnz .LBB120_2881
; %bb.2880:
	v_cvt_f16_f32_e32 v1, v6
	global_store_dword v[4:5], v1, off
.LBB120_2881:
	s_mov_b64 s[0:1], 0
.LBB120_2882:
	s_andn2_b64 vcc, exec, s[0:1]
	s_cbranch_vccnz .LBB120_2891
; %bb.2883:
	v_mov_b32_e32 v1, 6
	v_cmp_lt_i16_sdwa s[2:3], s18, v1 src0_sel:BYTE_0 src1_sel:DWORD
	s_mov_b64 s[0:1], -1
	s_and_b64 vcc, exec, s[2:3]
	s_cbranch_vccnz .LBB120_2889
; %bb.2884:
	v_cmp_gt_i16_sdwa s[2:3], s18, v1 src0_sel:BYTE_0 src1_sel:DWORD
	s_and_b64 vcc, exec, s[2:3]
	s_cbranch_vccz .LBB120_2886
; %bb.2885:
	v_cvt_f64_f32_e32 v[8:9], v6
	global_store_dwordx2 v[4:5], v[8:9], off
	s_mov_b64 s[0:1], 0
.LBB120_2886:
	s_andn2_b64 vcc, exec, s[0:1]
	s_cbranch_vccnz .LBB120_2888
; %bb.2887:
	global_store_dword v[4:5], v6, off
.LBB120_2888:
	s_mov_b64 s[0:1], 0
.LBB120_2889:
	s_andn2_b64 vcc, exec, s[0:1]
	s_cbranch_vccnz .LBB120_2891
; %bb.2890:
	v_cvt_f16_f32_e32 v1, v6
	global_store_short v[4:5], v1, off
.LBB120_2891:
	s_mov_b64 s[0:1], 0
.LBB120_2892:
	s_andn2_b64 vcc, exec, s[0:1]
	s_cbranch_vccnz .LBB120_2908
; %bb.2893:
	v_mov_b32_e32 v1, 2
	v_cmp_lt_i16_sdwa s[2:3], s18, v1 src0_sel:BYTE_0 src1_sel:DWORD
	s_mov_b64 s[0:1], -1
	s_and_b64 vcc, exec, s[2:3]
	s_cbranch_vccnz .LBB120_2903
; %bb.2894:
	v_mov_b32_e32 v1, 3
	v_cmp_lt_i16_sdwa s[2:3], s18, v1 src0_sel:BYTE_0 src1_sel:DWORD
	s_and_b64 vcc, exec, s[2:3]
	s_cbranch_vccnz .LBB120_2900
; %bb.2895:
	v_cmp_gt_i16_sdwa s[2:3], s18, v1 src0_sel:BYTE_0 src1_sel:DWORD
	s_and_b64 vcc, exec, s[2:3]
	s_cbranch_vccz .LBB120_2897
; %bb.2896:
	v_trunc_f32_e32 v1, v6
	s_mov_b32 s0, 0x2f800000
	v_mul_f32_e64 v3, |v1|, s0
	v_floor_f32_e32 v3, v3
	s_mov_b32 s0, 0xcf800000
	v_cvt_u32_f32_e32 v7, v3
	v_fma_f32 v3, v3, s0, |v1|
	v_cvt_u32_f32_e32 v3, v3
	v_ashrrev_i32_e32 v1, 31, v1
	v_xor_b32_e32 v7, v7, v1
	s_mov_b64 s[0:1], 0
	v_xor_b32_e32 v3, v3, v1
	v_sub_co_u32_e32 v8, vcc, v3, v1
	v_subb_co_u32_e32 v9, vcc, v7, v1, vcc
	global_store_dwordx2 v[4:5], v[8:9], off
.LBB120_2897:
	s_andn2_b64 vcc, exec, s[0:1]
	s_cbranch_vccnz .LBB120_2899
; %bb.2898:
	v_cvt_i32_f32_e32 v1, v6
	global_store_dword v[4:5], v1, off
.LBB120_2899:
	s_mov_b64 s[0:1], 0
.LBB120_2900:
	s_andn2_b64 vcc, exec, s[0:1]
	s_cbranch_vccnz .LBB120_2902
; %bb.2901:
	v_cvt_i32_f32_e32 v1, v6
	global_store_short v[4:5], v1, off
.LBB120_2902:
	s_mov_b64 s[0:1], 0
.LBB120_2903:
	s_andn2_b64 vcc, exec, s[0:1]
	s_cbranch_vccnz .LBB120_2908
; %bb.2904:
	v_mov_b32_e32 v1, 0
	v_cmp_gt_i16_sdwa s[2:3], s18, v1 src0_sel:BYTE_0 src1_sel:DWORD
	s_mov_b64 s[0:1], -1
	s_and_b64 vcc, exec, s[2:3]
	s_cbranch_vccz .LBB120_2906
; %bb.2905:
	v_cvt_i32_f32_e32 v1, v6
	s_mov_b64 s[0:1], 0
	global_store_byte v[4:5], v1, off
.LBB120_2906:
	s_andn2_b64 vcc, exec, s[0:1]
	s_cbranch_vccnz .LBB120_2908
; %bb.2907:
	v_trunc_f32_e32 v1, v6
	s_mov_b32 s0, 0x2f800000
	v_mul_f32_e64 v3, |v1|, s0
	v_floor_f32_e32 v3, v3
	s_mov_b32 s0, 0xcf800000
	v_fma_f32 v3, v3, s0, |v1|
	v_cvt_u32_f32_e32 v3, v3
	v_ashrrev_i32_e32 v1, 31, v1
	v_xor_b32_e32 v3, v3, v1
	v_sub_u32_e32 v1, v3, v1
	global_store_byte v[4:5], v1, off
.LBB120_2908:
	s_mov_b64 s[6:7], -1
.LBB120_2909:
	s_andn2_b64 vcc, exec, s[6:7]
	s_cbranch_vccnz .LBB120_3113
; %bb.2910:
	v_mov_b32_e32 v1, s9
	v_add_co_u32_e32 v2, vcc, s8, v2
	s_brev_b32 s0, -2
	v_addc_co_u32_e32 v3, vcc, 0, v1, vcc
	v_mov_b32_e32 v1, 11
	v_bfi_b32 v4, s0, v16, v14
	v_cmp_lt_i16_sdwa s[0:1], s18, v1 src0_sel:BYTE_0 src1_sel:DWORD
	s_and_b64 vcc, exec, s[0:1]
	s_cbranch_vccnz .LBB120_2917
; %bb.2911:
	v_mov_b32_e32 v1, 25
	v_cmp_gt_i16_sdwa s[0:1], s18, v1 src0_sel:BYTE_0 src1_sel:DWORD
	s_mov_b64 s[10:11], -1
	s_mov_b64 s[2:3], 0
	s_and_b64 vcc, exec, s[0:1]
	s_mov_b64 s[6:7], 0
	s_mov_b64 s[0:1], 0
	s_cbranch_vccz .LBB120_2953
; %bb.2912:
	v_mov_b32_e32 v1, 28
	v_cmp_gt_i16_sdwa s[0:1], s18, v1 src0_sel:BYTE_0 src1_sel:DWORD
	s_and_b64 vcc, exec, s[0:1]
	s_cbranch_vccz .LBB120_2918
; %bb.2913:
	v_mov_b32_e32 v1, 43
	v_cmp_gt_i16_sdwa s[0:1], s18, v1 src0_sel:BYTE_0 src1_sel:DWORD
	s_and_b64 vcc, exec, s[0:1]
	;; [unrolled: 5-line block ×3, first 2 shown]
	s_cbranch_vccz .LBB120_2925
; %bb.2915:
	v_mov_b32_e32 v1, 46
	v_cmp_eq_u16_sdwa s[6:7], s18, v1 src0_sel:BYTE_0 src1_sel:DWORD
	s_mov_b64 s[0:1], -1
	s_mov_b64 s[10:11], 0
	s_and_b64 vcc, exec, s[6:7]
	s_mov_b64 s[6:7], 0
	s_cbranch_vccz .LBB120_2926
; %bb.2916:
	v_bfe_u32 v1, v4, 16, 1
	s_movk_i32 s0, 0x7fff
	v_add3_u32 v1, v4, v1, s0
	v_lshrrev_b32_e32 v1, 16, v1
	v_mov_b32_e32 v5, 0x7fc0
	v_cmp_o_f32_e32 vcc, v4, v4
	v_cndmask_b32_e32 v1, v5, v1, vcc
	global_store_dword v[2:3], v1, off
	s_mov_b64 s[0:1], 0
	s_mov_b64 s[6:7], -1
	s_branch .LBB120_2926
.LBB120_2917:
	s_mov_b64 s[0:1], -1
	s_mov_b64 s[6:7], 0
	s_branch .LBB120_2997
.LBB120_2918:
	s_mov_b64 s[0:1], 0
	s_branch .LBB120_2936
.LBB120_2919:
	s_or_saveexec_b64 s[16:17], s[16:17]
                                        ; implicit-def: $sgpr19
	s_xor_b64 exec, exec, s[16:17]
	s_cbranch_execz .LBB120_2820
.LBB120_2920:
	s_mov_b32 s19, 0x46000000
	v_add_f32_e64 v1, |v3|, s19
	v_and_b32_e32 v1, 0xff, v1
	v_cmp_ne_u32_e32 vcc, 0, v1
	s_andn2_b64 s[10:11], s[10:11], exec
	s_and_b64 s[20:21], vcc, exec
	s_mov_b32 s19, 0
	s_or_b64 s[10:11], s[10:11], s[20:21]
	s_or_b64 exec, exec, s[16:17]
	v_mov_b32_e32 v7, s19
	s_and_saveexec_b64 s[16:17], s[10:11]
	s_cbranch_execnz .LBB120_2821
	s_branch .LBB120_2822
.LBB120_2921:
	s_mov_b64 s[0:1], 0
	s_branch .LBB120_2932
.LBB120_2922:
	s_trap 2
	s_or_b64 s[4:5], s[4:5], exec
	s_cbranch_execz .LBB120_2868
	s_branch .LBB120_2869
.LBB120_2923:
	s_or_saveexec_b64 s[10:11], s[10:11]
                                        ; implicit-def: $sgpr16
	s_xor_b64 exec, exec, s[10:11]
	s_cbranch_execz .LBB120_2833
.LBB120_2924:
	s_mov_b32 s16, 0x42800000
	v_add_f32_e64 v1, |v3|, s16
	v_and_b32_e32 v1, 0xff, v1
	v_cmp_ne_u32_e32 vcc, 0, v1
	s_andn2_b64 s[6:7], s[6:7], exec
	s_and_b64 s[20:21], vcc, exec
	s_mov_b32 s16, 0
	s_or_b64 s[6:7], s[6:7], s[20:21]
	s_or_b64 exec, exec, s[10:11]
	v_mov_b32_e32 v7, s16
	s_and_saveexec_b64 s[10:11], s[6:7]
	s_cbranch_execnz .LBB120_2834
	s_branch .LBB120_2835
.LBB120_2925:
	s_mov_b64 s[0:1], 0
.LBB120_2926:
	s_and_b64 vcc, exec, s[10:11]
	s_cbranch_vccz .LBB120_2931
; %bb.2927:
	v_mov_b32_e32 v1, 44
	v_cmp_eq_u16_sdwa s[10:11], s18, v1 src0_sel:BYTE_0 src1_sel:DWORD
	s_mov_b64 s[0:1], -1
	s_and_b64 vcc, exec, s[10:11]
	s_cbranch_vccz .LBB120_2931
; %bb.2928:
	v_bfe_u32 v1, v4, 23, 8
	s_movk_i32 s0, 0xff
	v_cmp_ne_u32_e32 vcc, s0, v1
	v_mov_b32_e32 v5, 0xff
	s_and_saveexec_b64 s[6:7], vcc
; %bb.2929:
	s_mov_b32 s0, 0x3fffff
	v_and_b32_e32 v6, 0x400000, v4
	v_and_or_b32 v1, v4, s0, v1
	v_cmp_ne_u32_e32 vcc, 0, v6
	v_cmp_ne_u32_e64 s[0:1], 0, v1
	s_and_b64 s[0:1], vcc, s[0:1]
	v_lshrrev_b32_e32 v5, 23, v4
	v_cndmask_b32_e64 v1, 0, 1, s[0:1]
	v_add_u32_e32 v5, v5, v1
; %bb.2930:
	s_or_b64 exec, exec, s[6:7]
	s_mov_b64 s[0:1], 0
	s_mov_b64 s[6:7], -1
	global_store_byte v[2:3], v5, off
.LBB120_2931:
	s_mov_b64 s[10:11], 0
.LBB120_2932:
	s_and_b64 vcc, exec, s[10:11]
	s_cbranch_vccz .LBB120_2935
; %bb.2933:
	v_mov_b32_e32 v1, 29
	v_cmp_eq_u16_sdwa s[10:11], s18, v1 src0_sel:BYTE_0 src1_sel:DWORD
	s_mov_b64 s[0:1], -1
	s_and_b64 vcc, exec, s[10:11]
	s_cbranch_vccz .LBB120_2935
; %bb.2934:
	v_trunc_f32_e32 v1, v4
	v_mul_f32_e32 v5, 0x2f800000, v1
	v_floor_f32_e32 v5, v5
	v_fmac_f32_e32 v1, 0xcf800000, v5
	v_cvt_u32_f32_e32 v7, v5
	v_cvt_u32_f32_e32 v6, v1
	s_mov_b64 s[0:1], 0
	s_mov_b64 s[6:7], -1
	s_mov_b64 s[10:11], 0
	global_store_dwordx2 v[2:3], v[6:7], off
	s_branch .LBB120_2936
.LBB120_2935:
	s_mov_b64 s[10:11], 0
.LBB120_2936:
	s_and_b64 vcc, exec, s[10:11]
	s_cbranch_vccz .LBB120_2952
; %bb.2937:
	v_mov_b32_e32 v1, 27
	v_cmp_lt_i16_sdwa s[10:11], s18, v1 src0_sel:BYTE_0 src1_sel:DWORD
	s_mov_b64 s[6:7], -1
	s_and_b64 vcc, exec, s[10:11]
	s_cbranch_vccnz .LBB120_2943
; %bb.2938:
	v_cmp_gt_i16_sdwa s[10:11], s18, v1 src0_sel:BYTE_0 src1_sel:DWORD
	s_and_b64 vcc, exec, s[10:11]
	s_cbranch_vccz .LBB120_2940
; %bb.2939:
	v_cvt_u32_f32_e32 v1, v4
	s_mov_b64 s[6:7], 0
	global_store_dword v[2:3], v1, off
.LBB120_2940:
	s_andn2_b64 vcc, exec, s[6:7]
	s_cbranch_vccnz .LBB120_2942
; %bb.2941:
	v_cvt_u32_f32_e32 v1, v4
	global_store_short v[2:3], v1, off
.LBB120_2942:
	s_mov_b64 s[6:7], 0
.LBB120_2943:
	s_andn2_b64 vcc, exec, s[6:7]
	s_cbranch_vccnz .LBB120_2951
; %bb.2944:
	v_and_b32_e32 v1, 0x7fffffff, v16
	s_mov_b32 s6, 0x43800000
	v_cmp_gt_u32_e32 vcc, s6, v1
	v_mov_b32_e32 v5, 0x80
	s_and_saveexec_b64 s[6:7], vcc
	s_cbranch_execz .LBB120_2950
; %bb.2945:
	s_mov_b32 s10, 0x3bffffff
	v_cmp_lt_u32_e32 vcc, s10, v1
	s_mov_b64 s[10:11], 0
                                        ; implicit-def: $vgpr1
	s_and_saveexec_b64 s[16:17], vcc
	s_xor_b64 s[16:17], exec, s[16:17]
	s_cbranch_execz .LBB120_3159
; %bb.2946:
	v_bfe_u32 v1, v4, 20, 1
	s_mov_b32 s19, 0x487ffff
	v_add3_u32 v1, v4, v1, s19
	s_mov_b64 s[10:11], exec
	v_lshrrev_b32_e32 v1, 20, v1
	s_or_saveexec_b64 s[16:17], s[16:17]
                                        ; implicit-def: $sgpr19
	s_xor_b64 exec, exec, s[16:17]
	s_cbranch_execnz .LBB120_3160
.LBB120_2947:
	s_or_b64 exec, exec, s[16:17]
	v_mov_b32_e32 v5, s19
	s_and_saveexec_b64 s[16:17], s[10:11]
.LBB120_2948:
	v_lshrrev_b32_e32 v5, 24, v4
	s_movk_i32 s10, 0x80
	v_and_or_b32 v5, v5, s10, v1
.LBB120_2949:
	s_or_b64 exec, exec, s[16:17]
.LBB120_2950:
	s_or_b64 exec, exec, s[6:7]
	global_store_byte v[2:3], v5, off
.LBB120_2951:
	s_mov_b64 s[6:7], -1
.LBB120_2952:
	s_mov_b64 s[10:11], 0
.LBB120_2953:
	s_and_b64 vcc, exec, s[10:11]
	s_cbranch_vccz .LBB120_2993
; %bb.2954:
	v_mov_b32_e32 v1, 22
	v_cmp_gt_i16_sdwa s[10:11], s18, v1 src0_sel:BYTE_0 src1_sel:DWORD
	s_mov_b64 s[2:3], -1
	s_and_b64 vcc, exec, s[10:11]
	s_cbranch_vccz .LBB120_2986
; %bb.2955:
	v_mov_b32_e32 v1, 24
	v_cmp_lt_i16_sdwa s[6:7], s18, v1 src0_sel:BYTE_0 src1_sel:DWORD
	s_and_b64 vcc, exec, s[6:7]
	s_cbranch_vccnz .LBB120_2975
; %bb.2956:
	v_cmp_gt_i16_sdwa s[6:7], s18, v1 src0_sel:BYTE_0 src1_sel:DWORD
	s_and_b64 vcc, exec, s[6:7]
	s_cbranch_vccz .LBB120_2964
; %bb.2957:
	v_and_b32_e32 v1, 0x7fffffff, v16
	s_mov_b32 s2, 0x47800000
	v_cmp_gt_u32_e32 vcc, s2, v1
	v_mov_b32_e32 v5, 0x80
	s_and_saveexec_b64 s[2:3], vcc
	s_cbranch_execz .LBB120_2963
; %bb.2958:
	s_mov_b32 s6, 0x37ffffff
	v_cmp_lt_u32_e32 vcc, s6, v1
	s_mov_b64 s[6:7], 0
                                        ; implicit-def: $vgpr1
	s_and_saveexec_b64 s[10:11], vcc
	s_xor_b64 s[10:11], exec, s[10:11]
	s_cbranch_execz .LBB120_3162
; %bb.2959:
	v_bfe_u32 v1, v4, 21, 1
	s_mov_b32 s16, 0x88fffff
	v_add3_u32 v1, v4, v1, s16
	s_mov_b64 s[6:7], exec
	v_lshrrev_b32_e32 v1, 21, v1
	s_or_saveexec_b64 s[10:11], s[10:11]
                                        ; implicit-def: $sgpr16
	s_xor_b64 exec, exec, s[10:11]
	s_cbranch_execnz .LBB120_3163
.LBB120_2960:
	s_or_b64 exec, exec, s[10:11]
	v_mov_b32_e32 v5, s16
	s_and_saveexec_b64 s[10:11], s[6:7]
.LBB120_2961:
	v_lshrrev_b32_e32 v5, 24, v4
	s_movk_i32 s6, 0x80
	v_and_or_b32 v5, v5, s6, v1
.LBB120_2962:
	s_or_b64 exec, exec, s[10:11]
.LBB120_2963:
	s_or_b64 exec, exec, s[2:3]
	s_mov_b64 s[2:3], 0
	global_store_byte v[2:3], v5, off
.LBB120_2964:
	s_and_b64 vcc, exec, s[2:3]
	s_cbranch_vccz .LBB120_2974
; %bb.2965:
	v_and_b32_e32 v5, 0x7fffffff, v16
	s_mov_b32 s2, 0x43f00000
	v_cmp_gt_u32_e32 vcc, s2, v5
                                        ; implicit-def: $vgpr1
	s_and_saveexec_b64 s[2:3], vcc
	s_xor_b64 s[2:3], exec, s[2:3]
	s_cbranch_execz .LBB120_2971
; %bb.2966:
	s_mov_b32 s6, 0x3c7fffff
	v_cmp_lt_u32_e32 vcc, s6, v5
                                        ; implicit-def: $vgpr1
	s_and_saveexec_b64 s[6:7], vcc
	s_xor_b64 s[6:7], exec, s[6:7]
; %bb.2967:
	v_bfe_u32 v1, v4, 20, 1
	s_mov_b32 s10, 0x407ffff
	v_add3_u32 v1, v4, v1, s10
	v_lshrrev_b32_e32 v5, 20, v1
	v_and_b32_e32 v1, 0xff00000, v1
	s_mov_b32 s10, 0x7f00000
	v_mov_b32_e32 v6, 0x7e
	v_cmp_ne_u32_e32 vcc, s10, v1
	v_cndmask_b32_e32 v1, v6, v5, vcc
; %bb.2968:
	s_andn2_saveexec_b64 s[6:7], s[6:7]
; %bb.2969:
	s_mov_b32 s10, 0x46800000
	v_add_f32_e64 v1, |v16|, s10
; %bb.2970:
	s_or_b64 exec, exec, s[6:7]
                                        ; implicit-def: $vgpr5
.LBB120_2971:
	s_andn2_saveexec_b64 s[2:3], s[2:3]
; %bb.2972:
	s_mov_b32 s6, 0x7f800000
	v_mov_b32_e32 v1, 0x7e
	v_mov_b32_e32 v6, 0x7f
	v_cmp_lt_u32_e32 vcc, s6, v5
	v_cndmask_b32_e32 v1, v1, v6, vcc
; %bb.2973:
	s_or_b64 exec, exec, s[2:3]
	v_lshrrev_b32_e32 v5, 24, v4
	s_movk_i32 s2, 0x80
	v_and_or_b32 v1, v5, s2, v1
	global_store_byte v[2:3], v1, off
.LBB120_2974:
	s_mov_b64 s[2:3], 0
.LBB120_2975:
	s_andn2_b64 vcc, exec, s[2:3]
	s_cbranch_vccnz .LBB120_2985
; %bb.2976:
	v_and_b32_e32 v5, 0x7fffffff, v16
	s_mov_b32 s2, 0x47800000
	v_cmp_gt_u32_e32 vcc, s2, v5
                                        ; implicit-def: $vgpr1
	s_and_saveexec_b64 s[2:3], vcc
	s_xor_b64 s[2:3], exec, s[2:3]
	s_cbranch_execz .LBB120_2982
; %bb.2977:
	s_mov_b32 s6, 0x387fffff
	v_cmp_lt_u32_e32 vcc, s6, v5
                                        ; implicit-def: $vgpr1
	s_and_saveexec_b64 s[6:7], vcc
	s_xor_b64 s[6:7], exec, s[6:7]
; %bb.2978:
	v_bfe_u32 v1, v4, 21, 1
	s_mov_b32 s10, 0x80fffff
	v_add3_u32 v1, v4, v1, s10
	v_lshrrev_b32_e32 v1, 21, v1
                                        ; implicit-def: $vgpr16
; %bb.2979:
	s_andn2_saveexec_b64 s[6:7], s[6:7]
; %bb.2980:
	s_mov_b32 s10, 0x43000000
	v_add_f32_e64 v1, |v16|, s10
; %bb.2981:
	s_or_b64 exec, exec, s[6:7]
                                        ; implicit-def: $vgpr5
.LBB120_2982:
	s_andn2_saveexec_b64 s[2:3], s[2:3]
; %bb.2983:
	s_mov_b32 s6, 0x7f800000
	v_mov_b32_e32 v1, 0x7c
	v_mov_b32_e32 v6, 0x7f
	v_cmp_lt_u32_e32 vcc, s6, v5
	v_cndmask_b32_e32 v1, v1, v6, vcc
; %bb.2984:
	s_or_b64 exec, exec, s[2:3]
	v_lshrrev_b32_e32 v5, 24, v4
	s_movk_i32 s2, 0x80
	v_and_or_b32 v1, v5, s2, v1
	global_store_byte v[2:3], v1, off
.LBB120_2985:
	s_mov_b64 s[2:3], 0
	s_mov_b64 s[6:7], -1
.LBB120_2986:
	s_andn2_b64 vcc, exec, s[2:3]
	s_mov_b64 s[2:3], 0
	s_cbranch_vccnz .LBB120_2993
; %bb.2987:
	v_mov_b32_e32 v1, 14
	v_cmp_gt_i16_sdwa s[2:3], s18, v1 src0_sel:BYTE_0 src1_sel:DWORD
	s_mov_b64 s[10:11], -1
	s_and_b64 vcc, exec, s[2:3]
	s_cbranch_vccz .LBB120_2991
; %bb.2988:
	v_mov_b32_e32 v1, 15
	v_cmp_eq_u16_sdwa s[2:3], s18, v1 src0_sel:BYTE_0 src1_sel:DWORD
	s_mov_b64 s[0:1], -1
	s_and_b64 vcc, exec, s[2:3]
	s_cbranch_vccz .LBB120_2990
; %bb.2989:
	v_bfe_u32 v1, v4, 16, 1
	s_movk_i32 s0, 0x7fff
	v_add3_u32 v1, v4, v1, s0
	v_lshrrev_b32_e32 v1, 16, v1
	v_mov_b32_e32 v5, 0x7fc0
	v_cmp_o_f32_e32 vcc, v4, v4
	v_cndmask_b32_e32 v1, v5, v1, vcc
	global_store_short v[2:3], v1, off
	s_mov_b64 s[0:1], 0
	s_mov_b64 s[6:7], -1
.LBB120_2990:
	s_mov_b64 s[10:11], 0
.LBB120_2991:
	s_mov_b64 s[2:3], 0
	s_and_b64 vcc, exec, s[10:11]
	s_cbranch_vccz .LBB120_2993
; %bb.2992:
	v_mov_b32_e32 v1, 11
	v_cmp_ne_u16_sdwa s[0:1], s18, v1 src0_sel:BYTE_0 src1_sel:DWORD
	s_mov_b64 s[2:3], -1
.LBB120_2993:
	s_and_b64 vcc, exec, s[0:1]
	s_cbranch_vccnz .LBB120_3161
; %bb.2994:
	s_andn2_b64 vcc, exec, s[2:3]
	s_cbranch_vccnz .LBB120_2996
.LBB120_2995:
	v_cmp_neq_f32_e32 vcc, 0, v4
	v_cndmask_b32_e64 v1, 0, 1, vcc
	s_mov_b64 s[6:7], -1
	global_store_byte v[2:3], v1, off
.LBB120_2996:
	s_mov_b64 s[0:1], 0
.LBB120_2997:
	s_and_b64 vcc, exec, s[0:1]
	s_cbranch_vccz .LBB120_3036
; %bb.2998:
	v_mov_b32_e32 v1, 5
	v_cmp_lt_i16_sdwa s[2:3], s18, v1 src0_sel:BYTE_0 src1_sel:DWORD
	s_mov_b64 s[0:1], -1
	s_and_b64 vcc, exec, s[2:3]
	s_cbranch_vccnz .LBB120_3019
; %bb.2999:
	v_mov_b32_e32 v1, 8
	v_cmp_lt_i16_sdwa s[2:3], s18, v1 src0_sel:BYTE_0 src1_sel:DWORD
	s_and_b64 vcc, exec, s[2:3]
	s_cbranch_vccnz .LBB120_3009
; %bb.3000:
	v_mov_b32_e32 v1, 9
	v_cmp_lt_i16_sdwa s[2:3], s18, v1 src0_sel:BYTE_0 src1_sel:DWORD
	s_and_b64 vcc, exec, s[2:3]
	s_cbranch_vccnz .LBB120_3006
; %bb.3001:
	v_cmp_gt_i16_sdwa s[2:3], s18, v1 src0_sel:BYTE_0 src1_sel:DWORD
	s_and_b64 vcc, exec, s[2:3]
	s_cbranch_vccz .LBB120_3003
; %bb.3002:
	v_mov_b32_e32 v8, 0
	v_cvt_f64_f32_e32 v[6:7], v4
	v_mov_b32_e32 v9, v8
	global_store_dwordx4 v[2:3], v[6:9], off
	s_mov_b64 s[0:1], 0
.LBB120_3003:
	s_andn2_b64 vcc, exec, s[0:1]
	s_cbranch_vccnz .LBB120_3005
; %bb.3004:
	v_mov_b32_e32 v5, 0
	global_store_dwordx2 v[2:3], v[4:5], off
.LBB120_3005:
	s_mov_b64 s[0:1], 0
.LBB120_3006:
	s_andn2_b64 vcc, exec, s[0:1]
	s_cbranch_vccnz .LBB120_3008
; %bb.3007:
	v_cvt_f16_f32_e32 v1, v4
	global_store_dword v[2:3], v1, off
.LBB120_3008:
	s_mov_b64 s[0:1], 0
.LBB120_3009:
	s_andn2_b64 vcc, exec, s[0:1]
	s_cbranch_vccnz .LBB120_3018
; %bb.3010:
	v_mov_b32_e32 v1, 6
	v_cmp_lt_i16_sdwa s[2:3], s18, v1 src0_sel:BYTE_0 src1_sel:DWORD
	s_mov_b64 s[0:1], -1
	s_and_b64 vcc, exec, s[2:3]
	s_cbranch_vccnz .LBB120_3016
; %bb.3011:
	v_cmp_gt_i16_sdwa s[2:3], s18, v1 src0_sel:BYTE_0 src1_sel:DWORD
	s_and_b64 vcc, exec, s[2:3]
	s_cbranch_vccz .LBB120_3013
; %bb.3012:
	v_cvt_f64_f32_e32 v[6:7], v4
	global_store_dwordx2 v[2:3], v[6:7], off
	s_mov_b64 s[0:1], 0
.LBB120_3013:
	s_andn2_b64 vcc, exec, s[0:1]
	s_cbranch_vccnz .LBB120_3015
; %bb.3014:
	global_store_dword v[2:3], v4, off
.LBB120_3015:
	s_mov_b64 s[0:1], 0
.LBB120_3016:
	s_andn2_b64 vcc, exec, s[0:1]
	s_cbranch_vccnz .LBB120_3018
; %bb.3017:
	v_cvt_f16_f32_e32 v1, v4
	global_store_short v[2:3], v1, off
.LBB120_3018:
	s_mov_b64 s[0:1], 0
.LBB120_3019:
	s_andn2_b64 vcc, exec, s[0:1]
	s_cbranch_vccnz .LBB120_3035
; %bb.3020:
	v_mov_b32_e32 v1, 2
	v_cmp_lt_i16_sdwa s[2:3], s18, v1 src0_sel:BYTE_0 src1_sel:DWORD
	s_mov_b64 s[0:1], -1
	s_and_b64 vcc, exec, s[2:3]
	s_cbranch_vccnz .LBB120_3030
; %bb.3021:
	v_mov_b32_e32 v1, 3
	v_cmp_lt_i16_sdwa s[2:3], s18, v1 src0_sel:BYTE_0 src1_sel:DWORD
	s_and_b64 vcc, exec, s[2:3]
	s_cbranch_vccnz .LBB120_3027
; %bb.3022:
	v_cmp_gt_i16_sdwa s[2:3], s18, v1 src0_sel:BYTE_0 src1_sel:DWORD
	s_and_b64 vcc, exec, s[2:3]
	s_cbranch_vccz .LBB120_3024
; %bb.3023:
	v_trunc_f32_e32 v1, v4
	s_mov_b32 s0, 0x2f800000
	v_mul_f32_e64 v5, |v1|, s0
	v_floor_f32_e32 v5, v5
	s_mov_b32 s0, 0xcf800000
	v_cvt_u32_f32_e32 v6, v5
	v_fma_f32 v5, v5, s0, |v1|
	v_cvt_u32_f32_e32 v5, v5
	v_ashrrev_i32_e32 v1, 31, v1
	v_xor_b32_e32 v7, v6, v1
	s_mov_b64 s[0:1], 0
	v_xor_b32_e32 v5, v5, v1
	v_sub_co_u32_e32 v6, vcc, v5, v1
	v_subb_co_u32_e32 v7, vcc, v7, v1, vcc
	global_store_dwordx2 v[2:3], v[6:7], off
.LBB120_3024:
	s_andn2_b64 vcc, exec, s[0:1]
	s_cbranch_vccnz .LBB120_3026
; %bb.3025:
	v_cvt_i32_f32_e32 v1, v4
	global_store_dword v[2:3], v1, off
.LBB120_3026:
	s_mov_b64 s[0:1], 0
.LBB120_3027:
	s_andn2_b64 vcc, exec, s[0:1]
	s_cbranch_vccnz .LBB120_3029
; %bb.3028:
	v_cvt_i32_f32_e32 v1, v4
	global_store_short v[2:3], v1, off
.LBB120_3029:
	s_mov_b64 s[0:1], 0
.LBB120_3030:
	s_andn2_b64 vcc, exec, s[0:1]
	s_cbranch_vccnz .LBB120_3035
; %bb.3031:
	v_mov_b32_e32 v1, 0
	v_cmp_gt_i16_sdwa s[2:3], s18, v1 src0_sel:BYTE_0 src1_sel:DWORD
	s_mov_b64 s[0:1], -1
	s_and_b64 vcc, exec, s[2:3]
	s_cbranch_vccz .LBB120_3033
; %bb.3032:
	v_cvt_i32_f32_e32 v1, v4
	s_mov_b64 s[0:1], 0
	global_store_byte v[2:3], v1, off
.LBB120_3033:
	s_andn2_b64 vcc, exec, s[0:1]
	s_cbranch_vccnz .LBB120_3035
; %bb.3034:
	v_trunc_f32_e32 v1, v4
	s_mov_b32 s0, 0x2f800000
	v_mul_f32_e64 v4, |v1|, s0
	v_floor_f32_e32 v4, v4
	s_mov_b32 s0, 0xcf800000
	v_fma_f32 v4, v4, s0, |v1|
	v_cvt_u32_f32_e32 v4, v4
	v_ashrrev_i32_e32 v1, 31, v1
	v_xor_b32_e32 v4, v4, v1
	v_sub_u32_e32 v1, v4, v1
	global_store_byte v[2:3], v1, off
.LBB120_3035:
	s_mov_b64 s[6:7], -1
.LBB120_3036:
	s_andn2_b64 vcc, exec, s[6:7]
	s_cbranch_vccnz .LBB120_3113
; %bb.3037:
	v_mov_b32_e32 v1, 0xff
	v_and_b32_e32 v4, s18, v1
	v_mov_b32_e32 v1, s9
	v_add_co_u32_e32 v0, vcc, s8, v0
	v_addc_co_u32_e32 v1, vcc, 0, v1, vcc
	s_brev_b32 s0, -2
	v_cmp_gt_i16_e32 vcc, 11, v4
	v_bfi_b32 v2, s0, v12, v10
	s_cbranch_vccnz .LBB120_3158
; %bb.3038:
	v_cmp_lt_i16_e32 vcc, 25, v4
	s_mov_b64 s[6:7], -1
	s_mov_b64 s[2:3], 0
	s_mov_b64 s[0:1], 0
	s_cbranch_vccz .LBB120_3071
; %bb.3039:
	v_cmp_lt_i16_e32 vcc, 28, v4
	s_cbranch_vccz .LBB120_3055
; %bb.3040:
	v_cmp_lt_i16_e32 vcc, 43, v4
	;; [unrolled: 3-line block ×3, first 2 shown]
	s_cbranch_vccz .LBB120_3045
; %bb.3042:
	v_cmp_eq_u16_e32 vcc, 46, v4
	s_mov_b64 s[0:1], -1
	s_cbranch_vccz .LBB120_3044
; %bb.3043:
	v_bfe_u32 v3, v2, 16, 1
	s_movk_i32 s0, 0x7fff
	v_add3_u32 v3, v2, v3, s0
	v_lshrrev_b32_e32 v3, 16, v3
	v_mov_b32_e32 v5, 0x7fc0
	v_cmp_o_f32_e32 vcc, v2, v2
	v_cndmask_b32_e32 v3, v5, v3, vcc
	global_store_dword v[0:1], v3, off
	s_mov_b64 s[0:1], 0
.LBB120_3044:
	s_mov_b64 s[6:7], 0
.LBB120_3045:
	s_and_b64 vcc, exec, s[6:7]
	s_cbranch_vccz .LBB120_3050
; %bb.3046:
	v_cmp_eq_u16_e32 vcc, 44, v4
	s_mov_b64 s[0:1], -1
	s_cbranch_vccz .LBB120_3050
; %bb.3047:
	v_bfe_u32 v3, v2, 23, 8
	s_movk_i32 s0, 0xff
	v_cmp_ne_u32_e32 vcc, s0, v3
	v_mov_b32_e32 v5, 0xff
	s_and_saveexec_b64 s[6:7], vcc
; %bb.3048:
	s_mov_b32 s0, 0x3fffff
	v_and_b32_e32 v6, 0x400000, v2
	v_and_or_b32 v3, v2, s0, v3
	v_cmp_ne_u32_e32 vcc, 0, v6
	v_cmp_ne_u32_e64 s[0:1], 0, v3
	s_and_b64 s[0:1], vcc, s[0:1]
	v_lshrrev_b32_e32 v5, 23, v2
	v_cndmask_b32_e64 v3, 0, 1, s[0:1]
	v_add_u32_e32 v5, v5, v3
; %bb.3049:
	s_or_b64 exec, exec, s[6:7]
	s_mov_b64 s[0:1], 0
	global_store_byte v[0:1], v5, off
.LBB120_3050:
	s_mov_b64 s[6:7], 0
.LBB120_3051:
	s_and_b64 vcc, exec, s[6:7]
	s_cbranch_vccz .LBB120_3054
; %bb.3052:
	v_cmp_eq_u16_e32 vcc, 29, v4
	s_mov_b64 s[0:1], -1
	s_cbranch_vccz .LBB120_3054
; %bb.3053:
	v_trunc_f32_e32 v3, v2
	v_mul_f32_e32 v5, 0x2f800000, v3
	v_floor_f32_e32 v5, v5
	v_fmac_f32_e32 v3, 0xcf800000, v5
	v_cvt_u32_f32_e32 v7, v5
	v_cvt_u32_f32_e32 v6, v3
	s_mov_b64 s[0:1], 0
	global_store_dwordx2 v[0:1], v[6:7], off
.LBB120_3054:
	s_mov_b64 s[6:7], 0
.LBB120_3055:
	s_and_b64 vcc, exec, s[6:7]
	s_cbranch_vccz .LBB120_3070
; %bb.3056:
	v_cmp_gt_i16_e32 vcc, 27, v4
	s_mov_b64 s[6:7], -1
	s_cbranch_vccnz .LBB120_3062
; %bb.3057:
	v_cvt_u32_f32_e32 v3, v2
	v_cmp_lt_i16_e32 vcc, 27, v4
	s_cbranch_vccz .LBB120_3059
; %bb.3058:
	global_store_dword v[0:1], v3, off
	s_mov_b64 s[6:7], 0
.LBB120_3059:
	s_andn2_b64 vcc, exec, s[6:7]
	s_cbranch_vccnz .LBB120_3061
; %bb.3060:
	global_store_short v[0:1], v3, off
.LBB120_3061:
	s_mov_b64 s[6:7], 0
.LBB120_3062:
	s_andn2_b64 vcc, exec, s[6:7]
	s_cbranch_vccnz .LBB120_3070
; %bb.3063:
	v_and_b32_e32 v3, 0x7fffffff, v12
	s_mov_b32 s6, 0x43800000
	v_cmp_gt_u32_e32 vcc, s6, v3
	v_mov_b32_e32 v5, 0x80
	s_and_saveexec_b64 s[6:7], vcc
	s_cbranch_execz .LBB120_3069
; %bb.3064:
	s_mov_b32 s8, 0x3bffffff
	v_cmp_lt_u32_e32 vcc, s8, v3
	s_mov_b64 s[8:9], 0
                                        ; implicit-def: $vgpr3
	s_and_saveexec_b64 s[10:11], vcc
	s_xor_b64 s[10:11], exec, s[10:11]
	s_cbranch_execz .LBB120_3164
; %bb.3065:
	v_bfe_u32 v3, v2, 20, 1
	s_mov_b32 s16, 0x487ffff
	v_add3_u32 v3, v2, v3, s16
	s_mov_b64 s[8:9], exec
	v_lshrrev_b32_e32 v3, 20, v3
	s_or_saveexec_b64 s[10:11], s[10:11]
                                        ; implicit-def: $sgpr16
	s_xor_b64 exec, exec, s[10:11]
	s_cbranch_execnz .LBB120_3165
.LBB120_3066:
	s_or_b64 exec, exec, s[10:11]
	v_mov_b32_e32 v5, s16
	s_and_saveexec_b64 s[10:11], s[8:9]
.LBB120_3067:
	v_lshrrev_b32_e32 v5, 24, v2
	s_movk_i32 s8, 0x80
	v_and_or_b32 v5, v5, s8, v3
.LBB120_3068:
	s_or_b64 exec, exec, s[10:11]
.LBB120_3069:
	s_or_b64 exec, exec, s[6:7]
	global_store_byte v[0:1], v5, off
.LBB120_3070:
	s_mov_b64 s[6:7], 0
.LBB120_3071:
	s_and_b64 vcc, exec, s[6:7]
	s_cbranch_vccz .LBB120_3111
; %bb.3072:
	v_cmp_lt_i16_e32 vcc, 22, v4
	s_mov_b64 s[2:3], -1
	s_cbranch_vccz .LBB120_3104
; %bb.3073:
	v_cmp_gt_i16_e32 vcc, 24, v4
	s_cbranch_vccnz .LBB120_3093
; %bb.3074:
	v_cmp_lt_i16_e32 vcc, 24, v4
	s_cbranch_vccz .LBB120_3082
; %bb.3075:
	v_and_b32_e32 v3, 0x7fffffff, v12
	s_mov_b32 s2, 0x47800000
	v_cmp_gt_u32_e32 vcc, s2, v3
	v_mov_b32_e32 v5, 0x80
	s_and_saveexec_b64 s[2:3], vcc
	s_cbranch_execz .LBB120_3081
; %bb.3076:
	s_mov_b32 s6, 0x37ffffff
	v_cmp_lt_u32_e32 vcc, s6, v3
	s_mov_b64 s[6:7], 0
                                        ; implicit-def: $vgpr3
	s_and_saveexec_b64 s[8:9], vcc
	s_xor_b64 s[8:9], exec, s[8:9]
	s_cbranch_execz .LBB120_3167
; %bb.3077:
	v_bfe_u32 v3, v2, 21, 1
	s_mov_b32 s10, 0x88fffff
	v_add3_u32 v3, v2, v3, s10
	s_mov_b64 s[6:7], exec
	v_lshrrev_b32_e32 v3, 21, v3
	s_or_saveexec_b64 s[8:9], s[8:9]
                                        ; implicit-def: $sgpr10
	s_xor_b64 exec, exec, s[8:9]
	s_cbranch_execnz .LBB120_3168
.LBB120_3078:
	s_or_b64 exec, exec, s[8:9]
	v_mov_b32_e32 v5, s10
	s_and_saveexec_b64 s[8:9], s[6:7]
.LBB120_3079:
	v_lshrrev_b32_e32 v5, 24, v2
	s_movk_i32 s6, 0x80
	v_and_or_b32 v5, v5, s6, v3
.LBB120_3080:
	s_or_b64 exec, exec, s[8:9]
.LBB120_3081:
	s_or_b64 exec, exec, s[2:3]
	s_mov_b64 s[2:3], 0
	global_store_byte v[0:1], v5, off
.LBB120_3082:
	s_and_b64 vcc, exec, s[2:3]
	s_cbranch_vccz .LBB120_3092
; %bb.3083:
	v_and_b32_e32 v5, 0x7fffffff, v12
	s_mov_b32 s2, 0x43f00000
	v_cmp_gt_u32_e32 vcc, s2, v5
                                        ; implicit-def: $vgpr3
	s_and_saveexec_b64 s[2:3], vcc
	s_xor_b64 s[2:3], exec, s[2:3]
	s_cbranch_execz .LBB120_3089
; %bb.3084:
	s_mov_b32 s6, 0x3c7fffff
	v_cmp_lt_u32_e32 vcc, s6, v5
                                        ; implicit-def: $vgpr3
	s_and_saveexec_b64 s[6:7], vcc
	s_xor_b64 s[6:7], exec, s[6:7]
; %bb.3085:
	v_bfe_u32 v3, v2, 20, 1
	s_mov_b32 s8, 0x407ffff
	v_add3_u32 v3, v2, v3, s8
	v_lshrrev_b32_e32 v5, 20, v3
	v_and_b32_e32 v3, 0xff00000, v3
	s_mov_b32 s8, 0x7f00000
	v_mov_b32_e32 v6, 0x7e
	v_cmp_ne_u32_e32 vcc, s8, v3
	v_cndmask_b32_e32 v3, v6, v5, vcc
; %bb.3086:
	s_andn2_saveexec_b64 s[6:7], s[6:7]
; %bb.3087:
	s_mov_b32 s8, 0x46800000
	v_add_f32_e64 v3, |v12|, s8
; %bb.3088:
	s_or_b64 exec, exec, s[6:7]
                                        ; implicit-def: $vgpr5
.LBB120_3089:
	s_andn2_saveexec_b64 s[2:3], s[2:3]
; %bb.3090:
	s_mov_b32 s6, 0x7f800000
	v_mov_b32_e32 v3, 0x7e
	v_mov_b32_e32 v6, 0x7f
	v_cmp_lt_u32_e32 vcc, s6, v5
	v_cndmask_b32_e32 v3, v3, v6, vcc
; %bb.3091:
	s_or_b64 exec, exec, s[2:3]
	v_lshrrev_b32_e32 v5, 24, v2
	s_movk_i32 s2, 0x80
	v_and_or_b32 v3, v5, s2, v3
	global_store_byte v[0:1], v3, off
.LBB120_3092:
	s_mov_b64 s[2:3], 0
.LBB120_3093:
	s_andn2_b64 vcc, exec, s[2:3]
	s_cbranch_vccnz .LBB120_3103
; %bb.3094:
	v_and_b32_e32 v5, 0x7fffffff, v12
	s_mov_b32 s2, 0x47800000
	v_cmp_gt_u32_e32 vcc, s2, v5
                                        ; implicit-def: $vgpr3
	s_and_saveexec_b64 s[2:3], vcc
	s_xor_b64 s[2:3], exec, s[2:3]
	s_cbranch_execz .LBB120_3100
; %bb.3095:
	s_mov_b32 s6, 0x387fffff
	v_cmp_lt_u32_e32 vcc, s6, v5
                                        ; implicit-def: $vgpr3
	s_and_saveexec_b64 s[6:7], vcc
	s_xor_b64 s[6:7], exec, s[6:7]
; %bb.3096:
	v_bfe_u32 v3, v2, 21, 1
	s_mov_b32 s8, 0x80fffff
	v_add3_u32 v3, v2, v3, s8
	v_lshrrev_b32_e32 v3, 21, v3
                                        ; implicit-def: $vgpr12
; %bb.3097:
	s_andn2_saveexec_b64 s[6:7], s[6:7]
; %bb.3098:
	s_mov_b32 s8, 0x43000000
	v_add_f32_e64 v3, |v12|, s8
; %bb.3099:
	s_or_b64 exec, exec, s[6:7]
                                        ; implicit-def: $vgpr5
.LBB120_3100:
	s_andn2_saveexec_b64 s[2:3], s[2:3]
; %bb.3101:
	s_mov_b32 s6, 0x7f800000
	v_mov_b32_e32 v3, 0x7c
	v_mov_b32_e32 v6, 0x7f
	v_cmp_lt_u32_e32 vcc, s6, v5
	v_cndmask_b32_e32 v3, v3, v6, vcc
; %bb.3102:
	s_or_b64 exec, exec, s[2:3]
	v_lshrrev_b32_e32 v5, 24, v2
	s_movk_i32 s2, 0x80
	v_and_or_b32 v3, v5, s2, v3
	global_store_byte v[0:1], v3, off
.LBB120_3103:
	s_mov_b64 s[2:3], 0
.LBB120_3104:
	s_andn2_b64 vcc, exec, s[2:3]
	s_mov_b64 s[2:3], 0
	s_cbranch_vccnz .LBB120_3111
; %bb.3105:
	v_cmp_lt_i16_e32 vcc, 14, v4
	s_mov_b64 s[6:7], -1
	s_cbranch_vccz .LBB120_3109
; %bb.3106:
	v_cmp_eq_u16_e32 vcc, 15, v4
	s_mov_b64 s[0:1], -1
	s_cbranch_vccz .LBB120_3108
; %bb.3107:
	v_bfe_u32 v3, v2, 16, 1
	s_movk_i32 s0, 0x7fff
	v_add3_u32 v3, v2, v3, s0
	v_lshrrev_b32_e32 v3, 16, v3
	v_mov_b32_e32 v5, 0x7fc0
	v_cmp_o_f32_e32 vcc, v2, v2
	v_cndmask_b32_e32 v3, v5, v3, vcc
	global_store_short v[0:1], v3, off
	s_mov_b64 s[0:1], 0
.LBB120_3108:
	s_mov_b64 s[6:7], 0
.LBB120_3109:
	s_and_b64 vcc, exec, s[6:7]
	s_cbranch_vccz .LBB120_3111
; %bb.3110:
	v_cmp_ne_u16_e64 s[0:1], 11, v4
	s_mov_b64 s[2:3], -1
.LBB120_3111:
	s_and_b64 vcc, exec, s[0:1]
	s_cbranch_vccnz .LBB120_3166
.LBB120_3112:
	s_mov_b64 s[0:1], 0
	s_branch .LBB120_3114
.LBB120_3113:
	s_mov_b64 s[0:1], 0
	s_mov_b64 s[2:3], 0
                                        ; implicit-def: $vgpr0_vgpr1
                                        ; implicit-def: $vgpr4
                                        ; implicit-def: $vgpr2
.LBB120_3114:
	s_and_b64 s[6:7], s[2:3], exec
	s_andn2_b64 s[2:3], s[12:13], exec
	s_and_b64 s[4:5], s[4:5], exec
	s_and_b64 s[0:1], s[0:1], exec
	s_or_b64 s[12:13], s[2:3], s[4:5]
.LBB120_3115:
	s_or_b64 exec, exec, s[14:15]
	s_and_saveexec_b64 s[2:3], s[12:13]
	s_cbranch_execz .LBB120_3118
; %bb.3116:
	; divergent unreachable
	s_or_b64 exec, exec, s[2:3]
	s_and_saveexec_b64 s[2:3], s[6:7]
	s_xor_b64 s[2:3], exec, s[2:3]
	s_cbranch_execnz .LBB120_3119
.LBB120_3117:
	s_or_b64 exec, exec, s[2:3]
	s_and_saveexec_b64 s[2:3], s[0:1]
	s_cbranch_execnz .LBB120_3120
	s_branch .LBB120_3157
.LBB120_3118:
	s_or_b64 exec, exec, s[2:3]
	s_and_saveexec_b64 s[2:3], s[6:7]
	s_xor_b64 s[2:3], exec, s[2:3]
	s_cbranch_execz .LBB120_3117
.LBB120_3119:
	v_cmp_neq_f32_e32 vcc, 0, v2
	s_waitcnt vmcnt(0)
	v_cndmask_b32_e64 v3, 0, 1, vcc
	global_store_byte v[0:1], v3, off
	s_or_b64 exec, exec, s[2:3]
	s_and_saveexec_b64 s[2:3], s[0:1]
	s_cbranch_execz .LBB120_3157
.LBB120_3120:
	v_cmp_gt_i16_e32 vcc, 5, v4
	s_mov_b64 s[0:1], -1
	s_cbranch_vccnz .LBB120_3141
; %bb.3121:
	v_cmp_gt_i16_e32 vcc, 8, v4
	s_cbranch_vccnz .LBB120_3131
; %bb.3122:
	v_cmp_gt_i16_e32 vcc, 9, v4
	s_cbranch_vccnz .LBB120_3128
; %bb.3123:
	v_cmp_lt_i16_e32 vcc, 9, v4
	s_cbranch_vccz .LBB120_3125
; %bb.3124:
	s_waitcnt vmcnt(0)
	v_mov_b32_e32 v8, 0
	v_cvt_f64_f32_e32 v[6:7], v2
	v_mov_b32_e32 v9, v8
	global_store_dwordx4 v[0:1], v[6:9], off
	s_mov_b64 s[0:1], 0
.LBB120_3125:
	s_andn2_b64 vcc, exec, s[0:1]
	s_cbranch_vccnz .LBB120_3127
; %bb.3126:
	s_waitcnt vmcnt(0)
	v_mov_b32_e32 v3, 0
	global_store_dwordx2 v[0:1], v[2:3], off
.LBB120_3127:
	s_mov_b64 s[0:1], 0
.LBB120_3128:
	s_andn2_b64 vcc, exec, s[0:1]
	s_cbranch_vccnz .LBB120_3130
; %bb.3129:
	s_waitcnt vmcnt(0)
	v_cvt_f16_f32_e32 v3, v2
	global_store_dword v[0:1], v3, off
.LBB120_3130:
	s_mov_b64 s[0:1], 0
.LBB120_3131:
	s_andn2_b64 vcc, exec, s[0:1]
	s_cbranch_vccnz .LBB120_3140
; %bb.3132:
	v_cmp_gt_i16_e32 vcc, 6, v4
	s_mov_b64 s[0:1], -1
	s_cbranch_vccnz .LBB120_3138
; %bb.3133:
	v_cmp_lt_i16_e32 vcc, 6, v4
	s_cbranch_vccz .LBB120_3135
; %bb.3134:
	s_waitcnt vmcnt(0)
	v_cvt_f64_f32_e32 v[6:7], v2
	global_store_dwordx2 v[0:1], v[6:7], off
	s_mov_b64 s[0:1], 0
.LBB120_3135:
	s_andn2_b64 vcc, exec, s[0:1]
	s_cbranch_vccnz .LBB120_3137
; %bb.3136:
	s_waitcnt vmcnt(0)
	global_store_dword v[0:1], v2, off
.LBB120_3137:
	s_mov_b64 s[0:1], 0
.LBB120_3138:
	s_andn2_b64 vcc, exec, s[0:1]
	s_cbranch_vccnz .LBB120_3140
; %bb.3139:
	s_waitcnt vmcnt(0)
	v_cvt_f16_f32_e32 v3, v2
	global_store_short v[0:1], v3, off
.LBB120_3140:
	s_mov_b64 s[0:1], 0
.LBB120_3141:
	s_andn2_b64 vcc, exec, s[0:1]
	s_cbranch_vccnz .LBB120_3157
; %bb.3142:
	v_cmp_gt_i16_e32 vcc, 2, v4
	s_mov_b64 s[0:1], -1
	s_cbranch_vccnz .LBB120_3152
; %bb.3143:
	v_cmp_gt_i16_e32 vcc, 3, v4
	s_cbranch_vccnz .LBB120_3149
; %bb.3144:
	v_cmp_lt_i16_e32 vcc, 3, v4
	s_cbranch_vccz .LBB120_3146
; %bb.3145:
	s_waitcnt vmcnt(0)
	v_trunc_f32_e32 v3, v2
	s_mov_b32 s0, 0x2f800000
	v_mul_f32_e64 v5, |v3|, s0
	v_floor_f32_e32 v5, v5
	s_mov_b32 s0, 0xcf800000
	v_cvt_u32_f32_e32 v6, v5
	v_fma_f32 v5, v5, s0, |v3|
	v_cvt_u32_f32_e32 v5, v5
	v_ashrrev_i32_e32 v3, 31, v3
	v_xor_b32_e32 v7, v6, v3
	s_mov_b64 s[0:1], 0
	v_xor_b32_e32 v5, v5, v3
	v_sub_co_u32_e32 v6, vcc, v5, v3
	v_subb_co_u32_e32 v7, vcc, v7, v3, vcc
	global_store_dwordx2 v[0:1], v[6:7], off
.LBB120_3146:
	s_andn2_b64 vcc, exec, s[0:1]
	s_cbranch_vccnz .LBB120_3148
; %bb.3147:
	s_waitcnt vmcnt(0)
	v_cvt_i32_f32_e32 v3, v2
	global_store_dword v[0:1], v3, off
.LBB120_3148:
	s_mov_b64 s[0:1], 0
.LBB120_3149:
	s_andn2_b64 vcc, exec, s[0:1]
	s_cbranch_vccnz .LBB120_3151
; %bb.3150:
	s_waitcnt vmcnt(0)
	v_cvt_i32_f32_e32 v3, v2
	global_store_short v[0:1], v3, off
.LBB120_3151:
	s_mov_b64 s[0:1], 0
.LBB120_3152:
	s_andn2_b64 vcc, exec, s[0:1]
	s_cbranch_vccnz .LBB120_3157
; %bb.3153:
	v_cmp_lt_i16_e32 vcc, 0, v4
	s_mov_b64 s[0:1], -1
	s_cbranch_vccz .LBB120_3155
; %bb.3154:
	s_waitcnt vmcnt(0)
	v_cvt_i32_f32_e32 v3, v2
	s_mov_b64 s[0:1], 0
	global_store_byte v[0:1], v3, off
.LBB120_3155:
	s_andn2_b64 vcc, exec, s[0:1]
	s_cbranch_vccnz .LBB120_3157
; %bb.3156:
	v_trunc_f32_e32 v2, v2
	s_mov_b32 s0, 0x2f800000
	s_waitcnt vmcnt(0)
	v_mul_f32_e64 v3, |v2|, s0
	v_floor_f32_e32 v3, v3
	s_mov_b32 s0, 0xcf800000
	v_fma_f32 v3, v3, s0, |v2|
	v_cvt_u32_f32_e32 v3, v3
	v_ashrrev_i32_e32 v2, 31, v2
	v_xor_b32_e32 v3, v3, v2
	v_sub_u32_e32 v2, v3, v2
	global_store_byte v[0:1], v2, off
	s_endpgm
.LBB120_3157:
	s_endpgm
.LBB120_3158:
	s_mov_b64 s[2:3], 0
	s_mov_b64 s[0:1], -1
	s_branch .LBB120_3114
.LBB120_3159:
	s_or_saveexec_b64 s[16:17], s[16:17]
                                        ; implicit-def: $sgpr19
	s_xor_b64 exec, exec, s[16:17]
	s_cbranch_execz .LBB120_2947
.LBB120_3160:
	s_mov_b32 s19, 0x46000000
	v_add_f32_e64 v1, |v16|, s19
	v_and_b32_e32 v1, 0xff, v1
	v_cmp_ne_u32_e32 vcc, 0, v1
	s_andn2_b64 s[10:11], s[10:11], exec
	s_and_b64 s[20:21], vcc, exec
	s_mov_b32 s19, 0
	s_or_b64 s[10:11], s[10:11], s[20:21]
	s_or_b64 exec, exec, s[16:17]
	v_mov_b32_e32 v5, s19
	s_and_saveexec_b64 s[16:17], s[10:11]
	s_cbranch_execnz .LBB120_2948
	s_branch .LBB120_2949
.LBB120_3161:
	s_trap 2
	s_or_b64 s[4:5], s[4:5], exec
	s_cbranch_execz .LBB120_2995
	s_branch .LBB120_2996
.LBB120_3162:
	s_or_saveexec_b64 s[10:11], s[10:11]
                                        ; implicit-def: $sgpr16
	s_xor_b64 exec, exec, s[10:11]
	s_cbranch_execz .LBB120_2960
.LBB120_3163:
	s_mov_b32 s16, 0x42800000
	v_add_f32_e64 v1, |v16|, s16
	v_and_b32_e32 v1, 0xff, v1
	v_cmp_ne_u32_e32 vcc, 0, v1
	s_andn2_b64 s[6:7], s[6:7], exec
	s_and_b64 s[20:21], vcc, exec
	s_mov_b32 s16, 0
	s_or_b64 s[6:7], s[6:7], s[20:21]
	s_or_b64 exec, exec, s[10:11]
	v_mov_b32_e32 v5, s16
	s_and_saveexec_b64 s[10:11], s[6:7]
	s_cbranch_execnz .LBB120_2961
	s_branch .LBB120_2962
.LBB120_3164:
	s_or_saveexec_b64 s[10:11], s[10:11]
                                        ; implicit-def: $sgpr16
	s_xor_b64 exec, exec, s[10:11]
	s_cbranch_execz .LBB120_3066
.LBB120_3165:
	s_mov_b32 s16, 0x46000000
	v_add_f32_e64 v3, |v12|, s16
	v_and_b32_e32 v3, 0xff, v3
	v_cmp_ne_u32_e32 vcc, 0, v3
	s_andn2_b64 s[8:9], s[8:9], exec
	s_and_b64 s[18:19], vcc, exec
	s_mov_b32 s16, 0
	s_or_b64 s[8:9], s[8:9], s[18:19]
	s_or_b64 exec, exec, s[10:11]
	v_mov_b32_e32 v5, s16
	s_and_saveexec_b64 s[10:11], s[8:9]
	s_cbranch_execnz .LBB120_3067
	s_branch .LBB120_3068
.LBB120_3166:
	s_mov_b64 s[2:3], 0
	s_or_b64 s[4:5], s[4:5], exec
	s_trap 2
	s_branch .LBB120_3112
.LBB120_3167:
	s_or_saveexec_b64 s[8:9], s[8:9]
                                        ; implicit-def: $sgpr10
	s_xor_b64 exec, exec, s[8:9]
	s_cbranch_execz .LBB120_3078
.LBB120_3168:
	s_mov_b32 s10, 0x42800000
	v_add_f32_e64 v3, |v12|, s10
	v_and_b32_e32 v3, 0xff, v3
	v_cmp_ne_u32_e32 vcc, 0, v3
	s_andn2_b64 s[6:7], s[6:7], exec
	s_and_b64 s[16:17], vcc, exec
	s_mov_b32 s10, 0
	s_or_b64 s[6:7], s[6:7], s[16:17]
	s_or_b64 exec, exec, s[8:9]
	v_mov_b32_e32 v5, s10
	s_and_saveexec_b64 s[8:9], s[6:7]
	s_cbranch_execnz .LBB120_3079
	s_branch .LBB120_3080
	.section	.rodata,"a",@progbits
	.p2align	6, 0x0
	.amdhsa_kernel _ZN2at6native32elementwise_kernel_manual_unrollILi128ELi4EZNS0_15gpu_kernel_implINS0_13BinaryFunctorIfffZZZNS0_20copysign_kernel_cudaERNS_18TensorIteratorBaseEENKUlvE_clEvENKUlvE0_clEvEUlffE_EEEEvS5_RKT_EUlibE0_EEviT1_
		.amdhsa_group_segment_fixed_size 0
		.amdhsa_private_segment_fixed_size 0
		.amdhsa_kernarg_size 432
		.amdhsa_user_sgpr_count 6
		.amdhsa_user_sgpr_private_segment_buffer 1
		.amdhsa_user_sgpr_dispatch_ptr 0
		.amdhsa_user_sgpr_queue_ptr 0
		.amdhsa_user_sgpr_kernarg_segment_ptr 1
		.amdhsa_user_sgpr_dispatch_id 0
		.amdhsa_user_sgpr_flat_scratch_init 0
		.amdhsa_user_sgpr_kernarg_preload_length 0
		.amdhsa_user_sgpr_kernarg_preload_offset 0
		.amdhsa_user_sgpr_private_segment_size 0
		.amdhsa_uses_dynamic_stack 0
		.amdhsa_system_sgpr_private_segment_wavefront_offset 0
		.amdhsa_system_sgpr_workgroup_id_x 1
		.amdhsa_system_sgpr_workgroup_id_y 0
		.amdhsa_system_sgpr_workgroup_id_z 0
		.amdhsa_system_sgpr_workgroup_info 0
		.amdhsa_system_vgpr_workitem_id 0
		.amdhsa_next_free_vgpr 26
		.amdhsa_next_free_sgpr 78
		.amdhsa_accum_offset 28
		.amdhsa_reserve_vcc 1
		.amdhsa_reserve_flat_scratch 0
		.amdhsa_float_round_mode_32 0
		.amdhsa_float_round_mode_16_64 0
		.amdhsa_float_denorm_mode_32 3
		.amdhsa_float_denorm_mode_16_64 3
		.amdhsa_dx10_clamp 1
		.amdhsa_ieee_mode 1
		.amdhsa_fp16_overflow 0
		.amdhsa_tg_split 0
		.amdhsa_exception_fp_ieee_invalid_op 0
		.amdhsa_exception_fp_denorm_src 0
		.amdhsa_exception_fp_ieee_div_zero 0
		.amdhsa_exception_fp_ieee_overflow 0
		.amdhsa_exception_fp_ieee_underflow 0
		.amdhsa_exception_fp_ieee_inexact 0
		.amdhsa_exception_int_div_zero 0
	.end_amdhsa_kernel
	.section	.text._ZN2at6native32elementwise_kernel_manual_unrollILi128ELi4EZNS0_15gpu_kernel_implINS0_13BinaryFunctorIfffZZZNS0_20copysign_kernel_cudaERNS_18TensorIteratorBaseEENKUlvE_clEvENKUlvE0_clEvEUlffE_EEEEvS5_RKT_EUlibE0_EEviT1_,"axG",@progbits,_ZN2at6native32elementwise_kernel_manual_unrollILi128ELi4EZNS0_15gpu_kernel_implINS0_13BinaryFunctorIfffZZZNS0_20copysign_kernel_cudaERNS_18TensorIteratorBaseEENKUlvE_clEvENKUlvE0_clEvEUlffE_EEEEvS5_RKT_EUlibE0_EEviT1_,comdat
.Lfunc_end120:
	.size	_ZN2at6native32elementwise_kernel_manual_unrollILi128ELi4EZNS0_15gpu_kernel_implINS0_13BinaryFunctorIfffZZZNS0_20copysign_kernel_cudaERNS_18TensorIteratorBaseEENKUlvE_clEvENKUlvE0_clEvEUlffE_EEEEvS5_RKT_EUlibE0_EEviT1_, .Lfunc_end120-_ZN2at6native32elementwise_kernel_manual_unrollILi128ELi4EZNS0_15gpu_kernel_implINS0_13BinaryFunctorIfffZZZNS0_20copysign_kernel_cudaERNS_18TensorIteratorBaseEENKUlvE_clEvENKUlvE0_clEvEUlffE_EEEEvS5_RKT_EUlibE0_EEviT1_
                                        ; -- End function
	.section	.AMDGPU.csdata,"",@progbits
; Kernel info:
; codeLenInByte = 57480
; NumSgprs: 82
; NumVgprs: 26
; NumAgprs: 0
; TotalNumVgprs: 26
; ScratchSize: 0
; MemoryBound: 1
; FloatMode: 240
; IeeeMode: 1
; LDSByteSize: 0 bytes/workgroup (compile time only)
; SGPRBlocks: 10
; VGPRBlocks: 3
; NumSGPRsForWavesPerEU: 82
; NumVGPRsForWavesPerEU: 26
; AccumOffset: 28
; Occupancy: 8
; WaveLimiterHint : 1
; COMPUTE_PGM_RSRC2:SCRATCH_EN: 0
; COMPUTE_PGM_RSRC2:USER_SGPR: 6
; COMPUTE_PGM_RSRC2:TRAP_HANDLER: 0
; COMPUTE_PGM_RSRC2:TGID_X_EN: 1
; COMPUTE_PGM_RSRC2:TGID_Y_EN: 0
; COMPUTE_PGM_RSRC2:TGID_Z_EN: 0
; COMPUTE_PGM_RSRC2:TIDIG_COMP_CNT: 0
; COMPUTE_PGM_RSRC3_GFX90A:ACCUM_OFFSET: 6
; COMPUTE_PGM_RSRC3_GFX90A:TG_SPLIT: 0
	.text
	.p2alignl 6, 3212836864
	.fill 256, 4, 3212836864
	.type	__hip_cuid_18d1ce7f873514d7,@object ; @__hip_cuid_18d1ce7f873514d7
	.section	.bss,"aw",@nobits
	.globl	__hip_cuid_18d1ce7f873514d7
__hip_cuid_18d1ce7f873514d7:
	.byte	0                               ; 0x0
	.size	__hip_cuid_18d1ce7f873514d7, 1

	.ident	"AMD clang version 19.0.0git (https://github.com/RadeonOpenCompute/llvm-project roc-6.4.0 25133 c7fe45cf4b819c5991fe208aaa96edf142730f1d)"
	.section	".note.GNU-stack","",@progbits
	.addrsig
	.addrsig_sym __hip_cuid_18d1ce7f873514d7
	.amdgpu_metadata
---
amdhsa.kernels:
  - .agpr_count:     0
    .args:
      - .offset:         0
        .size:           4
        .value_kind:     by_value
      - .offset:         4
        .size:           4
        .value_kind:     by_value
      - .offset:         8
        .size:           16
        .value_kind:     by_value
    .group_segment_fixed_size: 0
    .kernarg_segment_align: 8
    .kernarg_segment_size: 24
    .language:       OpenCL C
    .language_version:
      - 2
      - 0
    .max_flat_workgroup_size: 256
    .name:           _ZN2at6native29vectorized_elementwise_kernelILi16ENS0_13AUnaryFunctorIN3c104HalfES4_S4_ZNS0_20copysign_kernel_cudaERNS_18TensorIteratorBaseEEUlS4_S4_E_EESt5arrayIPcLm2EEEEviT0_T1_
    .private_segment_fixed_size: 0
    .sgpr_count:     16
    .sgpr_spill_count: 0
    .symbol:         _ZN2at6native29vectorized_elementwise_kernelILi16ENS0_13AUnaryFunctorIN3c104HalfES4_S4_ZNS0_20copysign_kernel_cudaERNS_18TensorIteratorBaseEEUlS4_S4_E_EESt5arrayIPcLm2EEEEviT0_T1_.kd
    .uniform_work_group_size: 1
    .uses_dynamic_stack: false
    .vgpr_count:     14
    .vgpr_spill_count: 0
    .wavefront_size: 64
  - .agpr_count:     0
    .args:
      - .offset:         0
        .size:           4
        .value_kind:     by_value
      - .offset:         4
        .size:           4
        .value_kind:     by_value
      - .offset:         8
        .size:           16
        .value_kind:     by_value
    .group_segment_fixed_size: 0
    .kernarg_segment_align: 8
    .kernarg_segment_size: 24
    .language:       OpenCL C
    .language_version:
      - 2
      - 0
    .max_flat_workgroup_size: 256
    .name:           _ZN2at6native29vectorized_elementwise_kernelILi8ENS0_13AUnaryFunctorIN3c104HalfES4_S4_ZNS0_20copysign_kernel_cudaERNS_18TensorIteratorBaseEEUlS4_S4_E_EESt5arrayIPcLm2EEEEviT0_T1_
    .private_segment_fixed_size: 0
    .sgpr_count:     16
    .sgpr_spill_count: 0
    .symbol:         _ZN2at6native29vectorized_elementwise_kernelILi8ENS0_13AUnaryFunctorIN3c104HalfES4_S4_ZNS0_20copysign_kernel_cudaERNS_18TensorIteratorBaseEEUlS4_S4_E_EESt5arrayIPcLm2EEEEviT0_T1_.kd
    .uniform_work_group_size: 1
    .uses_dynamic_stack: false
    .vgpr_count:     14
    .vgpr_spill_count: 0
    .wavefront_size: 64
  - .agpr_count:     0
    .args:
      - .offset:         0
        .size:           4
        .value_kind:     by_value
      - .offset:         4
        .size:           4
        .value_kind:     by_value
      - .offset:         8
        .size:           16
        .value_kind:     by_value
    .group_segment_fixed_size: 0
    .kernarg_segment_align: 8
    .kernarg_segment_size: 24
    .language:       OpenCL C
    .language_version:
      - 2
      - 0
    .max_flat_workgroup_size: 256
    .name:           _ZN2at6native29vectorized_elementwise_kernelILi4ENS0_13AUnaryFunctorIN3c104HalfES4_S4_ZNS0_20copysign_kernel_cudaERNS_18TensorIteratorBaseEEUlS4_S4_E_EESt5arrayIPcLm2EEEEviT0_T1_
    .private_segment_fixed_size: 0
    .sgpr_count:     16
    .sgpr_spill_count: 0
    .symbol:         _ZN2at6native29vectorized_elementwise_kernelILi4ENS0_13AUnaryFunctorIN3c104HalfES4_S4_ZNS0_20copysign_kernel_cudaERNS_18TensorIteratorBaseEEUlS4_S4_E_EESt5arrayIPcLm2EEEEviT0_T1_.kd
    .uniform_work_group_size: 1
    .uses_dynamic_stack: false
    .vgpr_count:     14
    .vgpr_spill_count: 0
    .wavefront_size: 64
  - .agpr_count:     0
    .args:
      - .offset:         0
        .size:           4
        .value_kind:     by_value
      - .offset:         4
        .size:           4
        .value_kind:     by_value
      - .offset:         8
        .size:           16
        .value_kind:     by_value
    .group_segment_fixed_size: 0
    .kernarg_segment_align: 8
    .kernarg_segment_size: 24
    .language:       OpenCL C
    .language_version:
      - 2
      - 0
    .max_flat_workgroup_size: 256
    .name:           _ZN2at6native29vectorized_elementwise_kernelILi2ENS0_13AUnaryFunctorIN3c104HalfES4_S4_ZNS0_20copysign_kernel_cudaERNS_18TensorIteratorBaseEEUlS4_S4_E_EESt5arrayIPcLm2EEEEviT0_T1_
    .private_segment_fixed_size: 0
    .sgpr_count:     16
    .sgpr_spill_count: 0
    .symbol:         _ZN2at6native29vectorized_elementwise_kernelILi2ENS0_13AUnaryFunctorIN3c104HalfES4_S4_ZNS0_20copysign_kernel_cudaERNS_18TensorIteratorBaseEEUlS4_S4_E_EESt5arrayIPcLm2EEEEviT0_T1_.kd
    .uniform_work_group_size: 1
    .uses_dynamic_stack: false
    .vgpr_count:     14
    .vgpr_spill_count: 0
    .wavefront_size: 64
  - .agpr_count:     0
    .args:
      - .offset:         0
        .size:           4
        .value_kind:     by_value
      - .offset:         4
        .size:           4
        .value_kind:     by_value
      - .offset:         8
        .size:           16
        .value_kind:     by_value
      - .offset:         24
        .size:           1
        .value_kind:     by_value
      - .offset:         25
        .size:           1
        .value_kind:     by_value
      - .offset:         26
        .size:           1
        .value_kind:     by_value
      - .offset:         27
        .size:           1
        .value_kind:     by_value
    .group_segment_fixed_size: 0
    .kernarg_segment_align: 8
    .kernarg_segment_size: 28
    .language:       OpenCL C
    .language_version:
      - 2
      - 0
    .max_flat_workgroup_size: 256
    .name:           _ZN2at6native27unrolled_elementwise_kernelINS0_13AUnaryFunctorIN3c104HalfES4_S4_ZNS0_20copysign_kernel_cudaERNS_18TensorIteratorBaseEEUlS4_S4_E_EESt5arrayIPcLm2EELi4E23TrivialOffsetCalculatorILi1EjESD_NS0_6memory15LoadWithoutCastENSE_16StoreWithoutCastEEEviT_T0_T2_T3_T4_T5_
    .private_segment_fixed_size: 0
    .sgpr_count:     16
    .sgpr_spill_count: 0
    .symbol:         _ZN2at6native27unrolled_elementwise_kernelINS0_13AUnaryFunctorIN3c104HalfES4_S4_ZNS0_20copysign_kernel_cudaERNS_18TensorIteratorBaseEEUlS4_S4_E_EESt5arrayIPcLm2EELi4E23TrivialOffsetCalculatorILi1EjESD_NS0_6memory15LoadWithoutCastENSE_16StoreWithoutCastEEEviT_T0_T2_T3_T4_T5_.kd
    .uniform_work_group_size: 1
    .uses_dynamic_stack: false
    .vgpr_count:     10
    .vgpr_spill_count: 0
    .wavefront_size: 64
  - .agpr_count:     0
    .args:
      - .offset:         0
        .size:           4
        .value_kind:     by_value
      - .offset:         8
        .size:           352
        .value_kind:     by_value
    .group_segment_fixed_size: 0
    .kernarg_segment_align: 8
    .kernarg_segment_size: 360
    .language:       OpenCL C
    .language_version:
      - 2
      - 0
    .max_flat_workgroup_size: 128
    .name:           _ZN2at6native32elementwise_kernel_manual_unrollILi128ELi8EZNS0_22gpu_kernel_impl_nocastINS0_13AUnaryFunctorIN3c104HalfES5_S5_ZNS0_20copysign_kernel_cudaERNS_18TensorIteratorBaseEEUlS5_S5_E_EEEEvS7_RKT_EUlibE_EEviT1_
    .private_segment_fixed_size: 0
    .sgpr_count:     66
    .sgpr_spill_count: 0
    .symbol:         _ZN2at6native32elementwise_kernel_manual_unrollILi128ELi8EZNS0_22gpu_kernel_impl_nocastINS0_13AUnaryFunctorIN3c104HalfES5_S5_ZNS0_20copysign_kernel_cudaERNS_18TensorIteratorBaseEEUlS5_S5_E_EEEEvS7_RKT_EUlibE_EEviT1_.kd
    .uniform_work_group_size: 1
    .uses_dynamic_stack: false
    .vgpr_count:     34
    .vgpr_spill_count: 0
    .wavefront_size: 64
  - .agpr_count:     0
    .args:
      - .offset:         0
        .size:           4
        .value_kind:     by_value
      - .offset:         8
        .size:           32
        .value_kind:     by_value
    .group_segment_fixed_size: 0
    .kernarg_segment_align: 8
    .kernarg_segment_size: 40
    .language:       OpenCL C
    .language_version:
      - 2
      - 0
    .max_flat_workgroup_size: 128
    .name:           _ZN2at6native32elementwise_kernel_manual_unrollILi128ELi4EZNS0_15gpu_kernel_implINS0_13AUnaryFunctorIN3c104HalfES5_S5_ZNS0_20copysign_kernel_cudaERNS_18TensorIteratorBaseEEUlS5_S5_E_EEEEvS7_RKT_EUlibE_EEviT1_
    .private_segment_fixed_size: 0
    .sgpr_count:     48
    .sgpr_spill_count: 0
    .symbol:         _ZN2at6native32elementwise_kernel_manual_unrollILi128ELi4EZNS0_15gpu_kernel_implINS0_13AUnaryFunctorIN3c104HalfES5_S5_ZNS0_20copysign_kernel_cudaERNS_18TensorIteratorBaseEEUlS5_S5_E_EEEEvS7_RKT_EUlibE_EEviT1_.kd
    .uniform_work_group_size: 1
    .uses_dynamic_stack: false
    .vgpr_count:     14
    .vgpr_spill_count: 0
    .wavefront_size: 64
  - .agpr_count:     0
    .args:
      - .offset:         0
        .size:           4
        .value_kind:     by_value
      - .offset:         8
        .size:           352
        .value_kind:     by_value
    .group_segment_fixed_size: 0
    .kernarg_segment_align: 8
    .kernarg_segment_size: 360
    .language:       OpenCL C
    .language_version:
      - 2
      - 0
    .max_flat_workgroup_size: 128
    .name:           _ZN2at6native32elementwise_kernel_manual_unrollILi128ELi4EZNS0_15gpu_kernel_implINS0_13AUnaryFunctorIN3c104HalfES5_S5_ZNS0_20copysign_kernel_cudaERNS_18TensorIteratorBaseEEUlS5_S5_E_EEEEvS7_RKT_EUlibE0_EEviT1_
    .private_segment_fixed_size: 0
    .sgpr_count:     81
    .sgpr_spill_count: 0
    .symbol:         _ZN2at6native32elementwise_kernel_manual_unrollILi128ELi4EZNS0_15gpu_kernel_implINS0_13AUnaryFunctorIN3c104HalfES5_S5_ZNS0_20copysign_kernel_cudaERNS_18TensorIteratorBaseEEUlS5_S5_E_EEEEvS7_RKT_EUlibE0_EEviT1_.kd
    .uniform_work_group_size: 1
    .uses_dynamic_stack: false
    .vgpr_count:     18
    .vgpr_spill_count: 0
    .wavefront_size: 64
  - .agpr_count:     0
    .args:
      - .offset:         0
        .size:           4
        .value_kind:     by_value
      - .offset:         4
        .size:           4
        .value_kind:     by_value
      - .offset:         8
        .size:           16
        .value_kind:     by_value
    .group_segment_fixed_size: 0
    .kernarg_segment_align: 8
    .kernarg_segment_size: 24
    .language:       OpenCL C
    .language_version:
      - 2
      - 0
    .max_flat_workgroup_size: 256
    .name:           _ZN2at6native29vectorized_elementwise_kernelILi16ENS0_13BUnaryFunctorIN3c104HalfES4_S4_ZNS0_20copysign_kernel_cudaERNS_18TensorIteratorBaseEEUlS4_S4_E_EESt5arrayIPcLm2EEEEviT0_T1_
    .private_segment_fixed_size: 0
    .sgpr_count:     16
    .sgpr_spill_count: 0
    .symbol:         _ZN2at6native29vectorized_elementwise_kernelILi16ENS0_13BUnaryFunctorIN3c104HalfES4_S4_ZNS0_20copysign_kernel_cudaERNS_18TensorIteratorBaseEEUlS4_S4_E_EESt5arrayIPcLm2EEEEviT0_T1_.kd
    .uniform_work_group_size: 1
    .uses_dynamic_stack: false
    .vgpr_count:     14
    .vgpr_spill_count: 0
    .wavefront_size: 64
  - .agpr_count:     0
    .args:
      - .offset:         0
        .size:           4
        .value_kind:     by_value
      - .offset:         4
        .size:           4
        .value_kind:     by_value
      - .offset:         8
        .size:           16
        .value_kind:     by_value
    .group_segment_fixed_size: 0
    .kernarg_segment_align: 8
    .kernarg_segment_size: 24
    .language:       OpenCL C
    .language_version:
      - 2
      - 0
    .max_flat_workgroup_size: 256
    .name:           _ZN2at6native29vectorized_elementwise_kernelILi8ENS0_13BUnaryFunctorIN3c104HalfES4_S4_ZNS0_20copysign_kernel_cudaERNS_18TensorIteratorBaseEEUlS4_S4_E_EESt5arrayIPcLm2EEEEviT0_T1_
    .private_segment_fixed_size: 0
    .sgpr_count:     16
    .sgpr_spill_count: 0
    .symbol:         _ZN2at6native29vectorized_elementwise_kernelILi8ENS0_13BUnaryFunctorIN3c104HalfES4_S4_ZNS0_20copysign_kernel_cudaERNS_18TensorIteratorBaseEEUlS4_S4_E_EESt5arrayIPcLm2EEEEviT0_T1_.kd
    .uniform_work_group_size: 1
    .uses_dynamic_stack: false
    .vgpr_count:     14
    .vgpr_spill_count: 0
    .wavefront_size: 64
  - .agpr_count:     0
    .args:
      - .offset:         0
        .size:           4
        .value_kind:     by_value
      - .offset:         4
        .size:           4
        .value_kind:     by_value
      - .offset:         8
        .size:           16
        .value_kind:     by_value
    .group_segment_fixed_size: 0
    .kernarg_segment_align: 8
    .kernarg_segment_size: 24
    .language:       OpenCL C
    .language_version:
      - 2
      - 0
    .max_flat_workgroup_size: 256
    .name:           _ZN2at6native29vectorized_elementwise_kernelILi4ENS0_13BUnaryFunctorIN3c104HalfES4_S4_ZNS0_20copysign_kernel_cudaERNS_18TensorIteratorBaseEEUlS4_S4_E_EESt5arrayIPcLm2EEEEviT0_T1_
    .private_segment_fixed_size: 0
    .sgpr_count:     16
    .sgpr_spill_count: 0
    .symbol:         _ZN2at6native29vectorized_elementwise_kernelILi4ENS0_13BUnaryFunctorIN3c104HalfES4_S4_ZNS0_20copysign_kernel_cudaERNS_18TensorIteratorBaseEEUlS4_S4_E_EESt5arrayIPcLm2EEEEviT0_T1_.kd
    .uniform_work_group_size: 1
    .uses_dynamic_stack: false
    .vgpr_count:     14
    .vgpr_spill_count: 0
    .wavefront_size: 64
  - .agpr_count:     0
    .args:
      - .offset:         0
        .size:           4
        .value_kind:     by_value
      - .offset:         4
        .size:           4
        .value_kind:     by_value
      - .offset:         8
        .size:           16
        .value_kind:     by_value
    .group_segment_fixed_size: 0
    .kernarg_segment_align: 8
    .kernarg_segment_size: 24
    .language:       OpenCL C
    .language_version:
      - 2
      - 0
    .max_flat_workgroup_size: 256
    .name:           _ZN2at6native29vectorized_elementwise_kernelILi2ENS0_13BUnaryFunctorIN3c104HalfES4_S4_ZNS0_20copysign_kernel_cudaERNS_18TensorIteratorBaseEEUlS4_S4_E_EESt5arrayIPcLm2EEEEviT0_T1_
    .private_segment_fixed_size: 0
    .sgpr_count:     16
    .sgpr_spill_count: 0
    .symbol:         _ZN2at6native29vectorized_elementwise_kernelILi2ENS0_13BUnaryFunctorIN3c104HalfES4_S4_ZNS0_20copysign_kernel_cudaERNS_18TensorIteratorBaseEEUlS4_S4_E_EESt5arrayIPcLm2EEEEviT0_T1_.kd
    .uniform_work_group_size: 1
    .uses_dynamic_stack: false
    .vgpr_count:     14
    .vgpr_spill_count: 0
    .wavefront_size: 64
  - .agpr_count:     0
    .args:
      - .offset:         0
        .size:           4
        .value_kind:     by_value
      - .offset:         4
        .size:           4
        .value_kind:     by_value
      - .offset:         8
        .size:           16
        .value_kind:     by_value
      - .offset:         24
        .size:           1
        .value_kind:     by_value
      - .offset:         25
        .size:           1
        .value_kind:     by_value
      - .offset:         26
        .size:           1
        .value_kind:     by_value
      - .offset:         27
        .size:           1
        .value_kind:     by_value
    .group_segment_fixed_size: 0
    .kernarg_segment_align: 8
    .kernarg_segment_size: 28
    .language:       OpenCL C
    .language_version:
      - 2
      - 0
    .max_flat_workgroup_size: 256
    .name:           _ZN2at6native27unrolled_elementwise_kernelINS0_13BUnaryFunctorIN3c104HalfES4_S4_ZNS0_20copysign_kernel_cudaERNS_18TensorIteratorBaseEEUlS4_S4_E_EESt5arrayIPcLm2EELi4E23TrivialOffsetCalculatorILi1EjESD_NS0_6memory15LoadWithoutCastENSE_16StoreWithoutCastEEEviT_T0_T2_T3_T4_T5_
    .private_segment_fixed_size: 0
    .sgpr_count:     16
    .sgpr_spill_count: 0
    .symbol:         _ZN2at6native27unrolled_elementwise_kernelINS0_13BUnaryFunctorIN3c104HalfES4_S4_ZNS0_20copysign_kernel_cudaERNS_18TensorIteratorBaseEEUlS4_S4_E_EESt5arrayIPcLm2EELi4E23TrivialOffsetCalculatorILi1EjESD_NS0_6memory15LoadWithoutCastENSE_16StoreWithoutCastEEEviT_T0_T2_T3_T4_T5_.kd
    .uniform_work_group_size: 1
    .uses_dynamic_stack: false
    .vgpr_count:     10
    .vgpr_spill_count: 0
    .wavefront_size: 64
  - .agpr_count:     0
    .args:
      - .offset:         0
        .size:           4
        .value_kind:     by_value
      - .offset:         8
        .size:           352
        .value_kind:     by_value
    .group_segment_fixed_size: 0
    .kernarg_segment_align: 8
    .kernarg_segment_size: 360
    .language:       OpenCL C
    .language_version:
      - 2
      - 0
    .max_flat_workgroup_size: 128
    .name:           _ZN2at6native32elementwise_kernel_manual_unrollILi128ELi8EZNS0_22gpu_kernel_impl_nocastINS0_13BUnaryFunctorIN3c104HalfES5_S5_ZNS0_20copysign_kernel_cudaERNS_18TensorIteratorBaseEEUlS5_S5_E_EEEEvS7_RKT_EUlibE_EEviT1_
    .private_segment_fixed_size: 0
    .sgpr_count:     66
    .sgpr_spill_count: 0
    .symbol:         _ZN2at6native32elementwise_kernel_manual_unrollILi128ELi8EZNS0_22gpu_kernel_impl_nocastINS0_13BUnaryFunctorIN3c104HalfES5_S5_ZNS0_20copysign_kernel_cudaERNS_18TensorIteratorBaseEEUlS5_S5_E_EEEEvS7_RKT_EUlibE_EEviT1_.kd
    .uniform_work_group_size: 1
    .uses_dynamic_stack: false
    .vgpr_count:     34
    .vgpr_spill_count: 0
    .wavefront_size: 64
  - .agpr_count:     0
    .args:
      - .offset:         0
        .size:           4
        .value_kind:     by_value
      - .offset:         8
        .size:           32
        .value_kind:     by_value
    .group_segment_fixed_size: 0
    .kernarg_segment_align: 8
    .kernarg_segment_size: 40
    .language:       OpenCL C
    .language_version:
      - 2
      - 0
    .max_flat_workgroup_size: 128
    .name:           _ZN2at6native32elementwise_kernel_manual_unrollILi128ELi4EZNS0_15gpu_kernel_implINS0_13BUnaryFunctorIN3c104HalfES5_S5_ZNS0_20copysign_kernel_cudaERNS_18TensorIteratorBaseEEUlS5_S5_E_EEEEvS7_RKT_EUlibE_EEviT1_
    .private_segment_fixed_size: 0
    .sgpr_count:     48
    .sgpr_spill_count: 0
    .symbol:         _ZN2at6native32elementwise_kernel_manual_unrollILi128ELi4EZNS0_15gpu_kernel_implINS0_13BUnaryFunctorIN3c104HalfES5_S5_ZNS0_20copysign_kernel_cudaERNS_18TensorIteratorBaseEEUlS5_S5_E_EEEEvS7_RKT_EUlibE_EEviT1_.kd
    .uniform_work_group_size: 1
    .uses_dynamic_stack: false
    .vgpr_count:     13
    .vgpr_spill_count: 0
    .wavefront_size: 64
  - .agpr_count:     0
    .args:
      - .offset:         0
        .size:           4
        .value_kind:     by_value
      - .offset:         8
        .size:           352
        .value_kind:     by_value
    .group_segment_fixed_size: 0
    .kernarg_segment_align: 8
    .kernarg_segment_size: 360
    .language:       OpenCL C
    .language_version:
      - 2
      - 0
    .max_flat_workgroup_size: 128
    .name:           _ZN2at6native32elementwise_kernel_manual_unrollILi128ELi4EZNS0_15gpu_kernel_implINS0_13BUnaryFunctorIN3c104HalfES5_S5_ZNS0_20copysign_kernel_cudaERNS_18TensorIteratorBaseEEUlS5_S5_E_EEEEvS7_RKT_EUlibE0_EEviT1_
    .private_segment_fixed_size: 0
    .sgpr_count:     81
    .sgpr_spill_count: 0
    .symbol:         _ZN2at6native32elementwise_kernel_manual_unrollILi128ELi4EZNS0_15gpu_kernel_implINS0_13BUnaryFunctorIN3c104HalfES5_S5_ZNS0_20copysign_kernel_cudaERNS_18TensorIteratorBaseEEUlS5_S5_E_EEEEvS7_RKT_EUlibE0_EEviT1_.kd
    .uniform_work_group_size: 1
    .uses_dynamic_stack: false
    .vgpr_count:     18
    .vgpr_spill_count: 0
    .wavefront_size: 64
  - .agpr_count:     0
    .args:
      - .offset:         0
        .size:           4
        .value_kind:     by_value
      - .offset:         4
        .size:           1
        .value_kind:     by_value
      - .offset:         8
        .size:           24
        .value_kind:     by_value
    .group_segment_fixed_size: 0
    .kernarg_segment_align: 8
    .kernarg_segment_size: 32
    .language:       OpenCL C
    .language_version:
      - 2
      - 0
    .max_flat_workgroup_size: 256
    .name:           _ZN2at6native29vectorized_elementwise_kernelILi16ENS0_13BinaryFunctorIN3c104HalfES4_S4_ZNS0_20copysign_kernel_cudaERNS_18TensorIteratorBaseEEUlS4_S4_E_EESt5arrayIPcLm3EEEEviT0_T1_
    .private_segment_fixed_size: 0
    .sgpr_count:     18
    .sgpr_spill_count: 0
    .symbol:         _ZN2at6native29vectorized_elementwise_kernelILi16ENS0_13BinaryFunctorIN3c104HalfES4_S4_ZNS0_20copysign_kernel_cudaERNS_18TensorIteratorBaseEEUlS4_S4_E_EESt5arrayIPcLm3EEEEviT0_T1_.kd
    .uniform_work_group_size: 1
    .uses_dynamic_stack: false
    .vgpr_count:     22
    .vgpr_spill_count: 0
    .wavefront_size: 64
  - .agpr_count:     0
    .args:
      - .offset:         0
        .size:           4
        .value_kind:     by_value
      - .offset:         4
        .size:           1
        .value_kind:     by_value
      - .offset:         8
        .size:           24
        .value_kind:     by_value
    .group_segment_fixed_size: 0
    .kernarg_segment_align: 8
    .kernarg_segment_size: 32
    .language:       OpenCL C
    .language_version:
      - 2
      - 0
    .max_flat_workgroup_size: 256
    .name:           _ZN2at6native29vectorized_elementwise_kernelILi8ENS0_13BinaryFunctorIN3c104HalfES4_S4_ZNS0_20copysign_kernel_cudaERNS_18TensorIteratorBaseEEUlS4_S4_E_EESt5arrayIPcLm3EEEEviT0_T1_
    .private_segment_fixed_size: 0
    .sgpr_count:     18
    .sgpr_spill_count: 0
    .symbol:         _ZN2at6native29vectorized_elementwise_kernelILi8ENS0_13BinaryFunctorIN3c104HalfES4_S4_ZNS0_20copysign_kernel_cudaERNS_18TensorIteratorBaseEEUlS4_S4_E_EESt5arrayIPcLm3EEEEviT0_T1_.kd
    .uniform_work_group_size: 1
    .uses_dynamic_stack: false
    .vgpr_count:     22
    .vgpr_spill_count: 0
    .wavefront_size: 64
  - .agpr_count:     0
    .args:
      - .offset:         0
        .size:           4
        .value_kind:     by_value
      - .offset:         4
        .size:           1
        .value_kind:     by_value
      - .offset:         8
        .size:           24
        .value_kind:     by_value
    .group_segment_fixed_size: 0
    .kernarg_segment_align: 8
    .kernarg_segment_size: 32
    .language:       OpenCL C
    .language_version:
      - 2
      - 0
    .max_flat_workgroup_size: 256
    .name:           _ZN2at6native29vectorized_elementwise_kernelILi4ENS0_13BinaryFunctorIN3c104HalfES4_S4_ZNS0_20copysign_kernel_cudaERNS_18TensorIteratorBaseEEUlS4_S4_E_EESt5arrayIPcLm3EEEEviT0_T1_
    .private_segment_fixed_size: 0
    .sgpr_count:     20
    .sgpr_spill_count: 0
    .symbol:         _ZN2at6native29vectorized_elementwise_kernelILi4ENS0_13BinaryFunctorIN3c104HalfES4_S4_ZNS0_20copysign_kernel_cudaERNS_18TensorIteratorBaseEEUlS4_S4_E_EESt5arrayIPcLm3EEEEviT0_T1_.kd
    .uniform_work_group_size: 1
    .uses_dynamic_stack: false
    .vgpr_count:     22
    .vgpr_spill_count: 0
    .wavefront_size: 64
  - .agpr_count:     0
    .args:
      - .offset:         0
        .size:           4
        .value_kind:     by_value
      - .offset:         4
        .size:           1
        .value_kind:     by_value
      - .offset:         8
        .size:           24
        .value_kind:     by_value
    .group_segment_fixed_size: 0
    .kernarg_segment_align: 8
    .kernarg_segment_size: 32
    .language:       OpenCL C
    .language_version:
      - 2
      - 0
    .max_flat_workgroup_size: 256
    .name:           _ZN2at6native29vectorized_elementwise_kernelILi2ENS0_13BinaryFunctorIN3c104HalfES4_S4_ZNS0_20copysign_kernel_cudaERNS_18TensorIteratorBaseEEUlS4_S4_E_EESt5arrayIPcLm3EEEEviT0_T1_
    .private_segment_fixed_size: 0
    .sgpr_count:     20
    .sgpr_spill_count: 0
    .symbol:         _ZN2at6native29vectorized_elementwise_kernelILi2ENS0_13BinaryFunctorIN3c104HalfES4_S4_ZNS0_20copysign_kernel_cudaERNS_18TensorIteratorBaseEEUlS4_S4_E_EESt5arrayIPcLm3EEEEviT0_T1_.kd
    .uniform_work_group_size: 1
    .uses_dynamic_stack: false
    .vgpr_count:     22
    .vgpr_spill_count: 0
    .wavefront_size: 64
  - .agpr_count:     0
    .args:
      - .offset:         0
        .size:           4
        .value_kind:     by_value
      - .offset:         4
        .size:           1
        .value_kind:     by_value
      - .offset:         8
        .size:           24
        .value_kind:     by_value
      - .offset:         32
        .size:           1
        .value_kind:     by_value
      - .offset:         33
        .size:           1
        .value_kind:     by_value
      - .offset:         34
        .size:           1
        .value_kind:     by_value
      - .offset:         35
        .size:           1
        .value_kind:     by_value
    .group_segment_fixed_size: 0
    .kernarg_segment_align: 8
    .kernarg_segment_size: 36
    .language:       OpenCL C
    .language_version:
      - 2
      - 0
    .max_flat_workgroup_size: 256
    .name:           _ZN2at6native27unrolled_elementwise_kernelINS0_13BinaryFunctorIN3c104HalfES4_S4_ZNS0_20copysign_kernel_cudaERNS_18TensorIteratorBaseEEUlS4_S4_E_EESt5arrayIPcLm3EELi4E23TrivialOffsetCalculatorILi2EjESC_ILi1EjENS0_6memory15LoadWithoutCastENSF_16StoreWithoutCastEEEviT_T0_T2_T3_T4_T5_
    .private_segment_fixed_size: 0
    .sgpr_count:     16
    .sgpr_spill_count: 0
    .symbol:         _ZN2at6native27unrolled_elementwise_kernelINS0_13BinaryFunctorIN3c104HalfES4_S4_ZNS0_20copysign_kernel_cudaERNS_18TensorIteratorBaseEEUlS4_S4_E_EESt5arrayIPcLm3EELi4E23TrivialOffsetCalculatorILi2EjESC_ILi1EjENS0_6memory15LoadWithoutCastENSF_16StoreWithoutCastEEEviT_T0_T2_T3_T4_T5_.kd
    .uniform_work_group_size: 1
    .uses_dynamic_stack: false
    .vgpr_count:     14
    .vgpr_spill_count: 0
    .wavefront_size: 64
  - .agpr_count:     0
    .args:
      - .offset:         0
        .size:           4
        .value_kind:     by_value
      - .offset:         8
        .size:           424
        .value_kind:     by_value
    .group_segment_fixed_size: 0
    .kernarg_segment_align: 8
    .kernarg_segment_size: 432
    .language:       OpenCL C
    .language_version:
      - 2
      - 0
    .max_flat_workgroup_size: 128
    .name:           _ZN2at6native32elementwise_kernel_manual_unrollILi128ELi8EZNS0_22gpu_kernel_impl_nocastINS0_13BinaryFunctorIN3c104HalfES5_S5_ZNS0_20copysign_kernel_cudaERNS_18TensorIteratorBaseEEUlS5_S5_E_EEEEvS7_RKT_EUlibE_EEviT1_
    .private_segment_fixed_size: 0
    .sgpr_count:     56
    .sgpr_spill_count: 0
    .symbol:         _ZN2at6native32elementwise_kernel_manual_unrollILi128ELi8EZNS0_22gpu_kernel_impl_nocastINS0_13BinaryFunctorIN3c104HalfES5_S5_ZNS0_20copysign_kernel_cudaERNS_18TensorIteratorBaseEEUlS5_S5_E_EEEEvS7_RKT_EUlibE_EEviT1_.kd
    .uniform_work_group_size: 1
    .uses_dynamic_stack: false
    .vgpr_count:     49
    .vgpr_spill_count: 0
    .wavefront_size: 64
  - .agpr_count:     0
    .args:
      - .offset:         0
        .size:           4
        .value_kind:     by_value
      - .offset:         8
        .size:           40
        .value_kind:     by_value
    .group_segment_fixed_size: 0
    .kernarg_segment_align: 8
    .kernarg_segment_size: 48
    .language:       OpenCL C
    .language_version:
      - 2
      - 0
    .max_flat_workgroup_size: 128
    .name:           _ZN2at6native32elementwise_kernel_manual_unrollILi128ELi4EZNS0_15gpu_kernel_implINS0_13BinaryFunctorIN3c104HalfES5_S5_ZNS0_20copysign_kernel_cudaERNS_18TensorIteratorBaseEEUlS5_S5_E_EEEEvS7_RKT_EUlibE_EEviT1_
    .private_segment_fixed_size: 0
    .sgpr_count:     58
    .sgpr_spill_count: 0
    .symbol:         _ZN2at6native32elementwise_kernel_manual_unrollILi128ELi4EZNS0_15gpu_kernel_implINS0_13BinaryFunctorIN3c104HalfES5_S5_ZNS0_20copysign_kernel_cudaERNS_18TensorIteratorBaseEEUlS5_S5_E_EEEEvS7_RKT_EUlibE_EEviT1_.kd
    .uniform_work_group_size: 1
    .uses_dynamic_stack: false
    .vgpr_count:     19
    .vgpr_spill_count: 0
    .wavefront_size: 64
  - .agpr_count:     0
    .args:
      - .offset:         0
        .size:           4
        .value_kind:     by_value
      - .offset:         8
        .size:           424
        .value_kind:     by_value
    .group_segment_fixed_size: 0
    .kernarg_segment_align: 8
    .kernarg_segment_size: 432
    .language:       OpenCL C
    .language_version:
      - 2
      - 0
    .max_flat_workgroup_size: 128
    .name:           _ZN2at6native32elementwise_kernel_manual_unrollILi128ELi4EZNS0_15gpu_kernel_implINS0_13BinaryFunctorIN3c104HalfES5_S5_ZNS0_20copysign_kernel_cudaERNS_18TensorIteratorBaseEEUlS5_S5_E_EEEEvS7_RKT_EUlibE0_EEviT1_
    .private_segment_fixed_size: 0
    .sgpr_count:     82
    .sgpr_spill_count: 0
    .symbol:         _ZN2at6native32elementwise_kernel_manual_unrollILi128ELi4EZNS0_15gpu_kernel_implINS0_13BinaryFunctorIN3c104HalfES5_S5_ZNS0_20copysign_kernel_cudaERNS_18TensorIteratorBaseEEUlS5_S5_E_EEEEvS7_RKT_EUlibE0_EEviT1_.kd
    .uniform_work_group_size: 1
    .uses_dynamic_stack: false
    .vgpr_count:     26
    .vgpr_spill_count: 0
    .wavefront_size: 64
  - .agpr_count:     0
    .args:
      - .offset:         0
        .size:           4
        .value_kind:     by_value
      - .offset:         4
        .size:           4
        .value_kind:     by_value
      - .offset:         8
        .size:           16
        .value_kind:     by_value
    .group_segment_fixed_size: 0
    .kernarg_segment_align: 8
    .kernarg_segment_size: 24
    .language:       OpenCL C
    .language_version:
      - 2
      - 0
    .max_flat_workgroup_size: 256
    .name:           _ZN2at6native29vectorized_elementwise_kernelILi16ENS0_13AUnaryFunctorIN3c108BFloat16ES4_S4_ZNS0_20copysign_kernel_cudaERNS_18TensorIteratorBaseEEUlS4_S4_E_EESt5arrayIPcLm2EEEEviT0_T1_
    .private_segment_fixed_size: 0
    .sgpr_count:     16
    .sgpr_spill_count: 0
    .symbol:         _ZN2at6native29vectorized_elementwise_kernelILi16ENS0_13AUnaryFunctorIN3c108BFloat16ES4_S4_ZNS0_20copysign_kernel_cudaERNS_18TensorIteratorBaseEEUlS4_S4_E_EESt5arrayIPcLm2EEEEviT0_T1_.kd
    .uniform_work_group_size: 1
    .uses_dynamic_stack: false
    .vgpr_count:     14
    .vgpr_spill_count: 0
    .wavefront_size: 64
  - .agpr_count:     0
    .args:
      - .offset:         0
        .size:           4
        .value_kind:     by_value
      - .offset:         4
        .size:           4
        .value_kind:     by_value
      - .offset:         8
        .size:           16
        .value_kind:     by_value
    .group_segment_fixed_size: 0
    .kernarg_segment_align: 8
    .kernarg_segment_size: 24
    .language:       OpenCL C
    .language_version:
      - 2
      - 0
    .max_flat_workgroup_size: 256
    .name:           _ZN2at6native29vectorized_elementwise_kernelILi8ENS0_13AUnaryFunctorIN3c108BFloat16ES4_S4_ZNS0_20copysign_kernel_cudaERNS_18TensorIteratorBaseEEUlS4_S4_E_EESt5arrayIPcLm2EEEEviT0_T1_
    .private_segment_fixed_size: 0
    .sgpr_count:     16
    .sgpr_spill_count: 0
    .symbol:         _ZN2at6native29vectorized_elementwise_kernelILi8ENS0_13AUnaryFunctorIN3c108BFloat16ES4_S4_ZNS0_20copysign_kernel_cudaERNS_18TensorIteratorBaseEEUlS4_S4_E_EESt5arrayIPcLm2EEEEviT0_T1_.kd
    .uniform_work_group_size: 1
    .uses_dynamic_stack: false
    .vgpr_count:     14
    .vgpr_spill_count: 0
    .wavefront_size: 64
  - .agpr_count:     0
    .args:
      - .offset:         0
        .size:           4
        .value_kind:     by_value
      - .offset:         4
        .size:           4
        .value_kind:     by_value
      - .offset:         8
        .size:           16
        .value_kind:     by_value
    .group_segment_fixed_size: 0
    .kernarg_segment_align: 8
    .kernarg_segment_size: 24
    .language:       OpenCL C
    .language_version:
      - 2
      - 0
    .max_flat_workgroup_size: 256
    .name:           _ZN2at6native29vectorized_elementwise_kernelILi4ENS0_13AUnaryFunctorIN3c108BFloat16ES4_S4_ZNS0_20copysign_kernel_cudaERNS_18TensorIteratorBaseEEUlS4_S4_E_EESt5arrayIPcLm2EEEEviT0_T1_
    .private_segment_fixed_size: 0
    .sgpr_count:     16
    .sgpr_spill_count: 0
    .symbol:         _ZN2at6native29vectorized_elementwise_kernelILi4ENS0_13AUnaryFunctorIN3c108BFloat16ES4_S4_ZNS0_20copysign_kernel_cudaERNS_18TensorIteratorBaseEEUlS4_S4_E_EESt5arrayIPcLm2EEEEviT0_T1_.kd
    .uniform_work_group_size: 1
    .uses_dynamic_stack: false
    .vgpr_count:     14
    .vgpr_spill_count: 0
    .wavefront_size: 64
  - .agpr_count:     0
    .args:
      - .offset:         0
        .size:           4
        .value_kind:     by_value
      - .offset:         4
        .size:           4
        .value_kind:     by_value
      - .offset:         8
        .size:           16
        .value_kind:     by_value
    .group_segment_fixed_size: 0
    .kernarg_segment_align: 8
    .kernarg_segment_size: 24
    .language:       OpenCL C
    .language_version:
      - 2
      - 0
    .max_flat_workgroup_size: 256
    .name:           _ZN2at6native29vectorized_elementwise_kernelILi2ENS0_13AUnaryFunctorIN3c108BFloat16ES4_S4_ZNS0_20copysign_kernel_cudaERNS_18TensorIteratorBaseEEUlS4_S4_E_EESt5arrayIPcLm2EEEEviT0_T1_
    .private_segment_fixed_size: 0
    .sgpr_count:     16
    .sgpr_spill_count: 0
    .symbol:         _ZN2at6native29vectorized_elementwise_kernelILi2ENS0_13AUnaryFunctorIN3c108BFloat16ES4_S4_ZNS0_20copysign_kernel_cudaERNS_18TensorIteratorBaseEEUlS4_S4_E_EESt5arrayIPcLm2EEEEviT0_T1_.kd
    .uniform_work_group_size: 1
    .uses_dynamic_stack: false
    .vgpr_count:     14
    .vgpr_spill_count: 0
    .wavefront_size: 64
  - .agpr_count:     0
    .args:
      - .offset:         0
        .size:           4
        .value_kind:     by_value
      - .offset:         4
        .size:           4
        .value_kind:     by_value
      - .offset:         8
        .size:           16
        .value_kind:     by_value
      - .offset:         24
        .size:           1
        .value_kind:     by_value
      - .offset:         25
        .size:           1
        .value_kind:     by_value
      - .offset:         26
        .size:           1
        .value_kind:     by_value
      - .offset:         27
        .size:           1
        .value_kind:     by_value
    .group_segment_fixed_size: 0
    .kernarg_segment_align: 8
    .kernarg_segment_size: 28
    .language:       OpenCL C
    .language_version:
      - 2
      - 0
    .max_flat_workgroup_size: 256
    .name:           _ZN2at6native27unrolled_elementwise_kernelINS0_13AUnaryFunctorIN3c108BFloat16ES4_S4_ZNS0_20copysign_kernel_cudaERNS_18TensorIteratorBaseEEUlS4_S4_E_EESt5arrayIPcLm2EELi4E23TrivialOffsetCalculatorILi1EjESD_NS0_6memory15LoadWithoutCastENSE_16StoreWithoutCastEEEviT_T0_T2_T3_T4_T5_
    .private_segment_fixed_size: 0
    .sgpr_count:     16
    .sgpr_spill_count: 0
    .symbol:         _ZN2at6native27unrolled_elementwise_kernelINS0_13AUnaryFunctorIN3c108BFloat16ES4_S4_ZNS0_20copysign_kernel_cudaERNS_18TensorIteratorBaseEEUlS4_S4_E_EESt5arrayIPcLm2EELi4E23TrivialOffsetCalculatorILi1EjESD_NS0_6memory15LoadWithoutCastENSE_16StoreWithoutCastEEEviT_T0_T2_T3_T4_T5_.kd
    .uniform_work_group_size: 1
    .uses_dynamic_stack: false
    .vgpr_count:     10
    .vgpr_spill_count: 0
    .wavefront_size: 64
  - .agpr_count:     0
    .args:
      - .offset:         0
        .size:           4
        .value_kind:     by_value
      - .offset:         8
        .size:           352
        .value_kind:     by_value
    .group_segment_fixed_size: 0
    .kernarg_segment_align: 8
    .kernarg_segment_size: 360
    .language:       OpenCL C
    .language_version:
      - 2
      - 0
    .max_flat_workgroup_size: 128
    .name:           _ZN2at6native32elementwise_kernel_manual_unrollILi128ELi8EZNS0_22gpu_kernel_impl_nocastINS0_13AUnaryFunctorIN3c108BFloat16ES5_S5_ZNS0_20copysign_kernel_cudaERNS_18TensorIteratorBaseEEUlS5_S5_E_EEEEvS7_RKT_EUlibE_EEviT1_
    .private_segment_fixed_size: 0
    .sgpr_count:     66
    .sgpr_spill_count: 0
    .symbol:         _ZN2at6native32elementwise_kernel_manual_unrollILi128ELi8EZNS0_22gpu_kernel_impl_nocastINS0_13AUnaryFunctorIN3c108BFloat16ES5_S5_ZNS0_20copysign_kernel_cudaERNS_18TensorIteratorBaseEEUlS5_S5_E_EEEEvS7_RKT_EUlibE_EEviT1_.kd
    .uniform_work_group_size: 1
    .uses_dynamic_stack: false
    .vgpr_count:     34
    .vgpr_spill_count: 0
    .wavefront_size: 64
  - .agpr_count:     0
    .args:
      - .offset:         0
        .size:           4
        .value_kind:     by_value
      - .offset:         8
        .size:           32
        .value_kind:     by_value
    .group_segment_fixed_size: 0
    .kernarg_segment_align: 8
    .kernarg_segment_size: 40
    .language:       OpenCL C
    .language_version:
      - 2
      - 0
    .max_flat_workgroup_size: 128
    .name:           _ZN2at6native32elementwise_kernel_manual_unrollILi128ELi4EZNS0_15gpu_kernel_implINS0_13AUnaryFunctorIN3c108BFloat16ES5_S5_ZNS0_20copysign_kernel_cudaERNS_18TensorIteratorBaseEEUlS5_S5_E_EEEEvS7_RKT_EUlibE_EEviT1_
    .private_segment_fixed_size: 0
    .sgpr_count:     48
    .sgpr_spill_count: 0
    .symbol:         _ZN2at6native32elementwise_kernel_manual_unrollILi128ELi4EZNS0_15gpu_kernel_implINS0_13AUnaryFunctorIN3c108BFloat16ES5_S5_ZNS0_20copysign_kernel_cudaERNS_18TensorIteratorBaseEEUlS5_S5_E_EEEEvS7_RKT_EUlibE_EEviT1_.kd
    .uniform_work_group_size: 1
    .uses_dynamic_stack: false
    .vgpr_count:     14
    .vgpr_spill_count: 0
    .wavefront_size: 64
  - .agpr_count:     0
    .args:
      - .offset:         0
        .size:           4
        .value_kind:     by_value
      - .offset:         8
        .size:           352
        .value_kind:     by_value
    .group_segment_fixed_size: 0
    .kernarg_segment_align: 8
    .kernarg_segment_size: 360
    .language:       OpenCL C
    .language_version:
      - 2
      - 0
    .max_flat_workgroup_size: 128
    .name:           _ZN2at6native32elementwise_kernel_manual_unrollILi128ELi4EZNS0_15gpu_kernel_implINS0_13AUnaryFunctorIN3c108BFloat16ES5_S5_ZNS0_20copysign_kernel_cudaERNS_18TensorIteratorBaseEEUlS5_S5_E_EEEEvS7_RKT_EUlibE0_EEviT1_
    .private_segment_fixed_size: 0
    .sgpr_count:     81
    .sgpr_spill_count: 0
    .symbol:         _ZN2at6native32elementwise_kernel_manual_unrollILi128ELi4EZNS0_15gpu_kernel_implINS0_13AUnaryFunctorIN3c108BFloat16ES5_S5_ZNS0_20copysign_kernel_cudaERNS_18TensorIteratorBaseEEUlS5_S5_E_EEEEvS7_RKT_EUlibE0_EEviT1_.kd
    .uniform_work_group_size: 1
    .uses_dynamic_stack: false
    .vgpr_count:     18
    .vgpr_spill_count: 0
    .wavefront_size: 64
  - .agpr_count:     0
    .args:
      - .offset:         0
        .size:           4
        .value_kind:     by_value
      - .offset:         4
        .size:           4
        .value_kind:     by_value
      - .offset:         8
        .size:           16
        .value_kind:     by_value
    .group_segment_fixed_size: 0
    .kernarg_segment_align: 8
    .kernarg_segment_size: 24
    .language:       OpenCL C
    .language_version:
      - 2
      - 0
    .max_flat_workgroup_size: 256
    .name:           _ZN2at6native29vectorized_elementwise_kernelILi16ENS0_13BUnaryFunctorIN3c108BFloat16ES4_S4_ZNS0_20copysign_kernel_cudaERNS_18TensorIteratorBaseEEUlS4_S4_E_EESt5arrayIPcLm2EEEEviT0_T1_
    .private_segment_fixed_size: 0
    .sgpr_count:     16
    .sgpr_spill_count: 0
    .symbol:         _ZN2at6native29vectorized_elementwise_kernelILi16ENS0_13BUnaryFunctorIN3c108BFloat16ES4_S4_ZNS0_20copysign_kernel_cudaERNS_18TensorIteratorBaseEEUlS4_S4_E_EESt5arrayIPcLm2EEEEviT0_T1_.kd
    .uniform_work_group_size: 1
    .uses_dynamic_stack: false
    .vgpr_count:     14
    .vgpr_spill_count: 0
    .wavefront_size: 64
  - .agpr_count:     0
    .args:
      - .offset:         0
        .size:           4
        .value_kind:     by_value
      - .offset:         4
        .size:           4
        .value_kind:     by_value
      - .offset:         8
        .size:           16
        .value_kind:     by_value
    .group_segment_fixed_size: 0
    .kernarg_segment_align: 8
    .kernarg_segment_size: 24
    .language:       OpenCL C
    .language_version:
      - 2
      - 0
    .max_flat_workgroup_size: 256
    .name:           _ZN2at6native29vectorized_elementwise_kernelILi8ENS0_13BUnaryFunctorIN3c108BFloat16ES4_S4_ZNS0_20copysign_kernel_cudaERNS_18TensorIteratorBaseEEUlS4_S4_E_EESt5arrayIPcLm2EEEEviT0_T1_
    .private_segment_fixed_size: 0
    .sgpr_count:     16
    .sgpr_spill_count: 0
    .symbol:         _ZN2at6native29vectorized_elementwise_kernelILi8ENS0_13BUnaryFunctorIN3c108BFloat16ES4_S4_ZNS0_20copysign_kernel_cudaERNS_18TensorIteratorBaseEEUlS4_S4_E_EESt5arrayIPcLm2EEEEviT0_T1_.kd
    .uniform_work_group_size: 1
    .uses_dynamic_stack: false
    .vgpr_count:     14
    .vgpr_spill_count: 0
    .wavefront_size: 64
  - .agpr_count:     0
    .args:
      - .offset:         0
        .size:           4
        .value_kind:     by_value
      - .offset:         4
        .size:           4
        .value_kind:     by_value
      - .offset:         8
        .size:           16
        .value_kind:     by_value
    .group_segment_fixed_size: 0
    .kernarg_segment_align: 8
    .kernarg_segment_size: 24
    .language:       OpenCL C
    .language_version:
      - 2
      - 0
    .max_flat_workgroup_size: 256
    .name:           _ZN2at6native29vectorized_elementwise_kernelILi4ENS0_13BUnaryFunctorIN3c108BFloat16ES4_S4_ZNS0_20copysign_kernel_cudaERNS_18TensorIteratorBaseEEUlS4_S4_E_EESt5arrayIPcLm2EEEEviT0_T1_
    .private_segment_fixed_size: 0
    .sgpr_count:     16
    .sgpr_spill_count: 0
    .symbol:         _ZN2at6native29vectorized_elementwise_kernelILi4ENS0_13BUnaryFunctorIN3c108BFloat16ES4_S4_ZNS0_20copysign_kernel_cudaERNS_18TensorIteratorBaseEEUlS4_S4_E_EESt5arrayIPcLm2EEEEviT0_T1_.kd
    .uniform_work_group_size: 1
    .uses_dynamic_stack: false
    .vgpr_count:     14
    .vgpr_spill_count: 0
    .wavefront_size: 64
  - .agpr_count:     0
    .args:
      - .offset:         0
        .size:           4
        .value_kind:     by_value
      - .offset:         4
        .size:           4
        .value_kind:     by_value
      - .offset:         8
        .size:           16
        .value_kind:     by_value
    .group_segment_fixed_size: 0
    .kernarg_segment_align: 8
    .kernarg_segment_size: 24
    .language:       OpenCL C
    .language_version:
      - 2
      - 0
    .max_flat_workgroup_size: 256
    .name:           _ZN2at6native29vectorized_elementwise_kernelILi2ENS0_13BUnaryFunctorIN3c108BFloat16ES4_S4_ZNS0_20copysign_kernel_cudaERNS_18TensorIteratorBaseEEUlS4_S4_E_EESt5arrayIPcLm2EEEEviT0_T1_
    .private_segment_fixed_size: 0
    .sgpr_count:     16
    .sgpr_spill_count: 0
    .symbol:         _ZN2at6native29vectorized_elementwise_kernelILi2ENS0_13BUnaryFunctorIN3c108BFloat16ES4_S4_ZNS0_20copysign_kernel_cudaERNS_18TensorIteratorBaseEEUlS4_S4_E_EESt5arrayIPcLm2EEEEviT0_T1_.kd
    .uniform_work_group_size: 1
    .uses_dynamic_stack: false
    .vgpr_count:     14
    .vgpr_spill_count: 0
    .wavefront_size: 64
  - .agpr_count:     0
    .args:
      - .offset:         0
        .size:           4
        .value_kind:     by_value
      - .offset:         4
        .size:           4
        .value_kind:     by_value
      - .offset:         8
        .size:           16
        .value_kind:     by_value
      - .offset:         24
        .size:           1
        .value_kind:     by_value
      - .offset:         25
        .size:           1
        .value_kind:     by_value
      - .offset:         26
        .size:           1
        .value_kind:     by_value
      - .offset:         27
        .size:           1
        .value_kind:     by_value
    .group_segment_fixed_size: 0
    .kernarg_segment_align: 8
    .kernarg_segment_size: 28
    .language:       OpenCL C
    .language_version:
      - 2
      - 0
    .max_flat_workgroup_size: 256
    .name:           _ZN2at6native27unrolled_elementwise_kernelINS0_13BUnaryFunctorIN3c108BFloat16ES4_S4_ZNS0_20copysign_kernel_cudaERNS_18TensorIteratorBaseEEUlS4_S4_E_EESt5arrayIPcLm2EELi4E23TrivialOffsetCalculatorILi1EjESD_NS0_6memory15LoadWithoutCastENSE_16StoreWithoutCastEEEviT_T0_T2_T3_T4_T5_
    .private_segment_fixed_size: 0
    .sgpr_count:     16
    .sgpr_spill_count: 0
    .symbol:         _ZN2at6native27unrolled_elementwise_kernelINS0_13BUnaryFunctorIN3c108BFloat16ES4_S4_ZNS0_20copysign_kernel_cudaERNS_18TensorIteratorBaseEEUlS4_S4_E_EESt5arrayIPcLm2EELi4E23TrivialOffsetCalculatorILi1EjESD_NS0_6memory15LoadWithoutCastENSE_16StoreWithoutCastEEEviT_T0_T2_T3_T4_T5_.kd
    .uniform_work_group_size: 1
    .uses_dynamic_stack: false
    .vgpr_count:     10
    .vgpr_spill_count: 0
    .wavefront_size: 64
  - .agpr_count:     0
    .args:
      - .offset:         0
        .size:           4
        .value_kind:     by_value
      - .offset:         8
        .size:           352
        .value_kind:     by_value
    .group_segment_fixed_size: 0
    .kernarg_segment_align: 8
    .kernarg_segment_size: 360
    .language:       OpenCL C
    .language_version:
      - 2
      - 0
    .max_flat_workgroup_size: 128
    .name:           _ZN2at6native32elementwise_kernel_manual_unrollILi128ELi8EZNS0_22gpu_kernel_impl_nocastINS0_13BUnaryFunctorIN3c108BFloat16ES5_S5_ZNS0_20copysign_kernel_cudaERNS_18TensorIteratorBaseEEUlS5_S5_E_EEEEvS7_RKT_EUlibE_EEviT1_
    .private_segment_fixed_size: 0
    .sgpr_count:     66
    .sgpr_spill_count: 0
    .symbol:         _ZN2at6native32elementwise_kernel_manual_unrollILi128ELi8EZNS0_22gpu_kernel_impl_nocastINS0_13BUnaryFunctorIN3c108BFloat16ES5_S5_ZNS0_20copysign_kernel_cudaERNS_18TensorIteratorBaseEEUlS5_S5_E_EEEEvS7_RKT_EUlibE_EEviT1_.kd
    .uniform_work_group_size: 1
    .uses_dynamic_stack: false
    .vgpr_count:     34
    .vgpr_spill_count: 0
    .wavefront_size: 64
  - .agpr_count:     0
    .args:
      - .offset:         0
        .size:           4
        .value_kind:     by_value
      - .offset:         8
        .size:           32
        .value_kind:     by_value
    .group_segment_fixed_size: 0
    .kernarg_segment_align: 8
    .kernarg_segment_size: 40
    .language:       OpenCL C
    .language_version:
      - 2
      - 0
    .max_flat_workgroup_size: 128
    .name:           _ZN2at6native32elementwise_kernel_manual_unrollILi128ELi4EZNS0_15gpu_kernel_implINS0_13BUnaryFunctorIN3c108BFloat16ES5_S5_ZNS0_20copysign_kernel_cudaERNS_18TensorIteratorBaseEEUlS5_S5_E_EEEEvS7_RKT_EUlibE_EEviT1_
    .private_segment_fixed_size: 0
    .sgpr_count:     48
    .sgpr_spill_count: 0
    .symbol:         _ZN2at6native32elementwise_kernel_manual_unrollILi128ELi4EZNS0_15gpu_kernel_implINS0_13BUnaryFunctorIN3c108BFloat16ES5_S5_ZNS0_20copysign_kernel_cudaERNS_18TensorIteratorBaseEEUlS5_S5_E_EEEEvS7_RKT_EUlibE_EEviT1_.kd
    .uniform_work_group_size: 1
    .uses_dynamic_stack: false
    .vgpr_count:     13
    .vgpr_spill_count: 0
    .wavefront_size: 64
  - .agpr_count:     0
    .args:
      - .offset:         0
        .size:           4
        .value_kind:     by_value
      - .offset:         8
        .size:           352
        .value_kind:     by_value
    .group_segment_fixed_size: 0
    .kernarg_segment_align: 8
    .kernarg_segment_size: 360
    .language:       OpenCL C
    .language_version:
      - 2
      - 0
    .max_flat_workgroup_size: 128
    .name:           _ZN2at6native32elementwise_kernel_manual_unrollILi128ELi4EZNS0_15gpu_kernel_implINS0_13BUnaryFunctorIN3c108BFloat16ES5_S5_ZNS0_20copysign_kernel_cudaERNS_18TensorIteratorBaseEEUlS5_S5_E_EEEEvS7_RKT_EUlibE0_EEviT1_
    .private_segment_fixed_size: 0
    .sgpr_count:     81
    .sgpr_spill_count: 0
    .symbol:         _ZN2at6native32elementwise_kernel_manual_unrollILi128ELi4EZNS0_15gpu_kernel_implINS0_13BUnaryFunctorIN3c108BFloat16ES5_S5_ZNS0_20copysign_kernel_cudaERNS_18TensorIteratorBaseEEUlS5_S5_E_EEEEvS7_RKT_EUlibE0_EEviT1_.kd
    .uniform_work_group_size: 1
    .uses_dynamic_stack: false
    .vgpr_count:     18
    .vgpr_spill_count: 0
    .wavefront_size: 64
  - .agpr_count:     0
    .args:
      - .offset:         0
        .size:           4
        .value_kind:     by_value
      - .offset:         4
        .size:           1
        .value_kind:     by_value
      - .offset:         8
        .size:           24
        .value_kind:     by_value
    .group_segment_fixed_size: 0
    .kernarg_segment_align: 8
    .kernarg_segment_size: 32
    .language:       OpenCL C
    .language_version:
      - 2
      - 0
    .max_flat_workgroup_size: 256
    .name:           _ZN2at6native29vectorized_elementwise_kernelILi16ENS0_13BinaryFunctorIN3c108BFloat16ES4_S4_ZNS0_20copysign_kernel_cudaERNS_18TensorIteratorBaseEEUlS4_S4_E_EESt5arrayIPcLm3EEEEviT0_T1_
    .private_segment_fixed_size: 0
    .sgpr_count:     18
    .sgpr_spill_count: 0
    .symbol:         _ZN2at6native29vectorized_elementwise_kernelILi16ENS0_13BinaryFunctorIN3c108BFloat16ES4_S4_ZNS0_20copysign_kernel_cudaERNS_18TensorIteratorBaseEEUlS4_S4_E_EESt5arrayIPcLm3EEEEviT0_T1_.kd
    .uniform_work_group_size: 1
    .uses_dynamic_stack: false
    .vgpr_count:     22
    .vgpr_spill_count: 0
    .wavefront_size: 64
  - .agpr_count:     0
    .args:
      - .offset:         0
        .size:           4
        .value_kind:     by_value
      - .offset:         4
        .size:           1
        .value_kind:     by_value
      - .offset:         8
        .size:           24
        .value_kind:     by_value
    .group_segment_fixed_size: 0
    .kernarg_segment_align: 8
    .kernarg_segment_size: 32
    .language:       OpenCL C
    .language_version:
      - 2
      - 0
    .max_flat_workgroup_size: 256
    .name:           _ZN2at6native29vectorized_elementwise_kernelILi8ENS0_13BinaryFunctorIN3c108BFloat16ES4_S4_ZNS0_20copysign_kernel_cudaERNS_18TensorIteratorBaseEEUlS4_S4_E_EESt5arrayIPcLm3EEEEviT0_T1_
    .private_segment_fixed_size: 0
    .sgpr_count:     18
    .sgpr_spill_count: 0
    .symbol:         _ZN2at6native29vectorized_elementwise_kernelILi8ENS0_13BinaryFunctorIN3c108BFloat16ES4_S4_ZNS0_20copysign_kernel_cudaERNS_18TensorIteratorBaseEEUlS4_S4_E_EESt5arrayIPcLm3EEEEviT0_T1_.kd
    .uniform_work_group_size: 1
    .uses_dynamic_stack: false
    .vgpr_count:     22
    .vgpr_spill_count: 0
    .wavefront_size: 64
  - .agpr_count:     0
    .args:
      - .offset:         0
        .size:           4
        .value_kind:     by_value
      - .offset:         4
        .size:           1
        .value_kind:     by_value
      - .offset:         8
        .size:           24
        .value_kind:     by_value
    .group_segment_fixed_size: 0
    .kernarg_segment_align: 8
    .kernarg_segment_size: 32
    .language:       OpenCL C
    .language_version:
      - 2
      - 0
    .max_flat_workgroup_size: 256
    .name:           _ZN2at6native29vectorized_elementwise_kernelILi4ENS0_13BinaryFunctorIN3c108BFloat16ES4_S4_ZNS0_20copysign_kernel_cudaERNS_18TensorIteratorBaseEEUlS4_S4_E_EESt5arrayIPcLm3EEEEviT0_T1_
    .private_segment_fixed_size: 0
    .sgpr_count:     20
    .sgpr_spill_count: 0
    .symbol:         _ZN2at6native29vectorized_elementwise_kernelILi4ENS0_13BinaryFunctorIN3c108BFloat16ES4_S4_ZNS0_20copysign_kernel_cudaERNS_18TensorIteratorBaseEEUlS4_S4_E_EESt5arrayIPcLm3EEEEviT0_T1_.kd
    .uniform_work_group_size: 1
    .uses_dynamic_stack: false
    .vgpr_count:     22
    .vgpr_spill_count: 0
    .wavefront_size: 64
  - .agpr_count:     0
    .args:
      - .offset:         0
        .size:           4
        .value_kind:     by_value
      - .offset:         4
        .size:           1
        .value_kind:     by_value
      - .offset:         8
        .size:           24
        .value_kind:     by_value
    .group_segment_fixed_size: 0
    .kernarg_segment_align: 8
    .kernarg_segment_size: 32
    .language:       OpenCL C
    .language_version:
      - 2
      - 0
    .max_flat_workgroup_size: 256
    .name:           _ZN2at6native29vectorized_elementwise_kernelILi2ENS0_13BinaryFunctorIN3c108BFloat16ES4_S4_ZNS0_20copysign_kernel_cudaERNS_18TensorIteratorBaseEEUlS4_S4_E_EESt5arrayIPcLm3EEEEviT0_T1_
    .private_segment_fixed_size: 0
    .sgpr_count:     20
    .sgpr_spill_count: 0
    .symbol:         _ZN2at6native29vectorized_elementwise_kernelILi2ENS0_13BinaryFunctorIN3c108BFloat16ES4_S4_ZNS0_20copysign_kernel_cudaERNS_18TensorIteratorBaseEEUlS4_S4_E_EESt5arrayIPcLm3EEEEviT0_T1_.kd
    .uniform_work_group_size: 1
    .uses_dynamic_stack: false
    .vgpr_count:     22
    .vgpr_spill_count: 0
    .wavefront_size: 64
  - .agpr_count:     0
    .args:
      - .offset:         0
        .size:           4
        .value_kind:     by_value
      - .offset:         4
        .size:           1
        .value_kind:     by_value
      - .offset:         8
        .size:           24
        .value_kind:     by_value
      - .offset:         32
        .size:           1
        .value_kind:     by_value
      - .offset:         33
        .size:           1
        .value_kind:     by_value
      - .offset:         34
        .size:           1
        .value_kind:     by_value
      - .offset:         35
        .size:           1
        .value_kind:     by_value
    .group_segment_fixed_size: 0
    .kernarg_segment_align: 8
    .kernarg_segment_size: 36
    .language:       OpenCL C
    .language_version:
      - 2
      - 0
    .max_flat_workgroup_size: 256
    .name:           _ZN2at6native27unrolled_elementwise_kernelINS0_13BinaryFunctorIN3c108BFloat16ES4_S4_ZNS0_20copysign_kernel_cudaERNS_18TensorIteratorBaseEEUlS4_S4_E_EESt5arrayIPcLm3EELi4E23TrivialOffsetCalculatorILi2EjESC_ILi1EjENS0_6memory15LoadWithoutCastENSF_16StoreWithoutCastEEEviT_T0_T2_T3_T4_T5_
    .private_segment_fixed_size: 0
    .sgpr_count:     16
    .sgpr_spill_count: 0
    .symbol:         _ZN2at6native27unrolled_elementwise_kernelINS0_13BinaryFunctorIN3c108BFloat16ES4_S4_ZNS0_20copysign_kernel_cudaERNS_18TensorIteratorBaseEEUlS4_S4_E_EESt5arrayIPcLm3EELi4E23TrivialOffsetCalculatorILi2EjESC_ILi1EjENS0_6memory15LoadWithoutCastENSF_16StoreWithoutCastEEEviT_T0_T2_T3_T4_T5_.kd
    .uniform_work_group_size: 1
    .uses_dynamic_stack: false
    .vgpr_count:     14
    .vgpr_spill_count: 0
    .wavefront_size: 64
  - .agpr_count:     0
    .args:
      - .offset:         0
        .size:           4
        .value_kind:     by_value
      - .offset:         8
        .size:           424
        .value_kind:     by_value
    .group_segment_fixed_size: 0
    .kernarg_segment_align: 8
    .kernarg_segment_size: 432
    .language:       OpenCL C
    .language_version:
      - 2
      - 0
    .max_flat_workgroup_size: 128
    .name:           _ZN2at6native32elementwise_kernel_manual_unrollILi128ELi8EZNS0_22gpu_kernel_impl_nocastINS0_13BinaryFunctorIN3c108BFloat16ES5_S5_ZNS0_20copysign_kernel_cudaERNS_18TensorIteratorBaseEEUlS5_S5_E_EEEEvS7_RKT_EUlibE_EEviT1_
    .private_segment_fixed_size: 0
    .sgpr_count:     56
    .sgpr_spill_count: 0
    .symbol:         _ZN2at6native32elementwise_kernel_manual_unrollILi128ELi8EZNS0_22gpu_kernel_impl_nocastINS0_13BinaryFunctorIN3c108BFloat16ES5_S5_ZNS0_20copysign_kernel_cudaERNS_18TensorIteratorBaseEEUlS5_S5_E_EEEEvS7_RKT_EUlibE_EEviT1_.kd
    .uniform_work_group_size: 1
    .uses_dynamic_stack: false
    .vgpr_count:     49
    .vgpr_spill_count: 0
    .wavefront_size: 64
  - .agpr_count:     0
    .args:
      - .offset:         0
        .size:           4
        .value_kind:     by_value
      - .offset:         8
        .size:           40
        .value_kind:     by_value
    .group_segment_fixed_size: 0
    .kernarg_segment_align: 8
    .kernarg_segment_size: 48
    .language:       OpenCL C
    .language_version:
      - 2
      - 0
    .max_flat_workgroup_size: 128
    .name:           _ZN2at6native32elementwise_kernel_manual_unrollILi128ELi4EZNS0_15gpu_kernel_implINS0_13BinaryFunctorIN3c108BFloat16ES5_S5_ZNS0_20copysign_kernel_cudaERNS_18TensorIteratorBaseEEUlS5_S5_E_EEEEvS7_RKT_EUlibE_EEviT1_
    .private_segment_fixed_size: 0
    .sgpr_count:     58
    .sgpr_spill_count: 0
    .symbol:         _ZN2at6native32elementwise_kernel_manual_unrollILi128ELi4EZNS0_15gpu_kernel_implINS0_13BinaryFunctorIN3c108BFloat16ES5_S5_ZNS0_20copysign_kernel_cudaERNS_18TensorIteratorBaseEEUlS5_S5_E_EEEEvS7_RKT_EUlibE_EEviT1_.kd
    .uniform_work_group_size: 1
    .uses_dynamic_stack: false
    .vgpr_count:     19
    .vgpr_spill_count: 0
    .wavefront_size: 64
  - .agpr_count:     0
    .args:
      - .offset:         0
        .size:           4
        .value_kind:     by_value
      - .offset:         8
        .size:           424
        .value_kind:     by_value
    .group_segment_fixed_size: 0
    .kernarg_segment_align: 8
    .kernarg_segment_size: 432
    .language:       OpenCL C
    .language_version:
      - 2
      - 0
    .max_flat_workgroup_size: 128
    .name:           _ZN2at6native32elementwise_kernel_manual_unrollILi128ELi4EZNS0_15gpu_kernel_implINS0_13BinaryFunctorIN3c108BFloat16ES5_S5_ZNS0_20copysign_kernel_cudaERNS_18TensorIteratorBaseEEUlS5_S5_E_EEEEvS7_RKT_EUlibE0_EEviT1_
    .private_segment_fixed_size: 0
    .sgpr_count:     82
    .sgpr_spill_count: 0
    .symbol:         _ZN2at6native32elementwise_kernel_manual_unrollILi128ELi4EZNS0_15gpu_kernel_implINS0_13BinaryFunctorIN3c108BFloat16ES5_S5_ZNS0_20copysign_kernel_cudaERNS_18TensorIteratorBaseEEUlS5_S5_E_EEEEvS7_RKT_EUlibE0_EEviT1_.kd
    .uniform_work_group_size: 1
    .uses_dynamic_stack: false
    .vgpr_count:     26
    .vgpr_spill_count: 0
    .wavefront_size: 64
  - .agpr_count:     0
    .args:
      - .offset:         0
        .size:           4
        .value_kind:     by_value
      - .offset:         8
        .size:           16
        .value_kind:     by_value
      - .offset:         24
        .size:           16
        .value_kind:     by_value
    .group_segment_fixed_size: 0
    .kernarg_segment_align: 8
    .kernarg_segment_size: 40
    .language:       OpenCL C
    .language_version:
      - 2
      - 0
    .max_flat_workgroup_size: 256
    .name:           _ZN2at6native29vectorized_elementwise_kernelILi16ENS0_13AUnaryFunctorIdddZZZNS0_20copysign_kernel_cudaERNS_18TensorIteratorBaseEENKUlvE_clEvENKUlvE_clEvEUlddE_EESt5arrayIPcLm2EEEEviT0_T1_
    .private_segment_fixed_size: 0
    .sgpr_count:     18
    .sgpr_spill_count: 0
    .symbol:         _ZN2at6native29vectorized_elementwise_kernelILi16ENS0_13AUnaryFunctorIdddZZZNS0_20copysign_kernel_cudaERNS_18TensorIteratorBaseEENKUlvE_clEvENKUlvE_clEvEUlddE_EESt5arrayIPcLm2EEEEviT0_T1_.kd
    .uniform_work_group_size: 1
    .uses_dynamic_stack: false
    .vgpr_count:     14
    .vgpr_spill_count: 0
    .wavefront_size: 64
  - .agpr_count:     0
    .args:
      - .offset:         0
        .size:           4
        .value_kind:     by_value
      - .offset:         8
        .size:           16
        .value_kind:     by_value
      - .offset:         24
        .size:           16
        .value_kind:     by_value
    .group_segment_fixed_size: 0
    .kernarg_segment_align: 8
    .kernarg_segment_size: 40
    .language:       OpenCL C
    .language_version:
      - 2
      - 0
    .max_flat_workgroup_size: 256
    .name:           _ZN2at6native29vectorized_elementwise_kernelILi8ENS0_13AUnaryFunctorIdddZZZNS0_20copysign_kernel_cudaERNS_18TensorIteratorBaseEENKUlvE_clEvENKUlvE_clEvEUlddE_EESt5arrayIPcLm2EEEEviT0_T1_
    .private_segment_fixed_size: 0
    .sgpr_count:     18
    .sgpr_spill_count: 0
    .symbol:         _ZN2at6native29vectorized_elementwise_kernelILi8ENS0_13AUnaryFunctorIdddZZZNS0_20copysign_kernel_cudaERNS_18TensorIteratorBaseEENKUlvE_clEvENKUlvE_clEvEUlddE_EESt5arrayIPcLm2EEEEviT0_T1_.kd
    .uniform_work_group_size: 1
    .uses_dynamic_stack: false
    .vgpr_count:     14
    .vgpr_spill_count: 0
    .wavefront_size: 64
  - .agpr_count:     0
    .args:
      - .offset:         0
        .size:           4
        .value_kind:     by_value
      - .offset:         8
        .size:           16
        .value_kind:     by_value
      - .offset:         24
        .size:           16
        .value_kind:     by_value
    .group_segment_fixed_size: 0
    .kernarg_segment_align: 8
    .kernarg_segment_size: 40
    .language:       OpenCL C
    .language_version:
      - 2
      - 0
    .max_flat_workgroup_size: 256
    .name:           _ZN2at6native29vectorized_elementwise_kernelILi4ENS0_13AUnaryFunctorIdddZZZNS0_20copysign_kernel_cudaERNS_18TensorIteratorBaseEENKUlvE_clEvENKUlvE_clEvEUlddE_EESt5arrayIPcLm2EEEEviT0_T1_
    .private_segment_fixed_size: 0
    .sgpr_count:     18
    .sgpr_spill_count: 0
    .symbol:         _ZN2at6native29vectorized_elementwise_kernelILi4ENS0_13AUnaryFunctorIdddZZZNS0_20copysign_kernel_cudaERNS_18TensorIteratorBaseEENKUlvE_clEvENKUlvE_clEvEUlddE_EESt5arrayIPcLm2EEEEviT0_T1_.kd
    .uniform_work_group_size: 1
    .uses_dynamic_stack: false
    .vgpr_count:     14
    .vgpr_spill_count: 0
    .wavefront_size: 64
  - .agpr_count:     0
    .args:
      - .offset:         0
        .size:           4
        .value_kind:     by_value
      - .offset:         8
        .size:           16
        .value_kind:     by_value
      - .offset:         24
        .size:           16
        .value_kind:     by_value
    .group_segment_fixed_size: 0
    .kernarg_segment_align: 8
    .kernarg_segment_size: 40
    .language:       OpenCL C
    .language_version:
      - 2
      - 0
    .max_flat_workgroup_size: 256
    .name:           _ZN2at6native29vectorized_elementwise_kernelILi2ENS0_13AUnaryFunctorIdddZZZNS0_20copysign_kernel_cudaERNS_18TensorIteratorBaseEENKUlvE_clEvENKUlvE_clEvEUlddE_EESt5arrayIPcLm2EEEEviT0_T1_
    .private_segment_fixed_size: 0
    .sgpr_count:     18
    .sgpr_spill_count: 0
    .symbol:         _ZN2at6native29vectorized_elementwise_kernelILi2ENS0_13AUnaryFunctorIdddZZZNS0_20copysign_kernel_cudaERNS_18TensorIteratorBaseEENKUlvE_clEvENKUlvE_clEvEUlddE_EESt5arrayIPcLm2EEEEviT0_T1_.kd
    .uniform_work_group_size: 1
    .uses_dynamic_stack: false
    .vgpr_count:     14
    .vgpr_spill_count: 0
    .wavefront_size: 64
  - .agpr_count:     0
    .args:
      - .offset:         0
        .size:           4
        .value_kind:     by_value
      - .offset:         8
        .size:           16
        .value_kind:     by_value
      - .offset:         24
        .size:           16
        .value_kind:     by_value
      - .offset:         40
        .size:           1
        .value_kind:     by_value
      - .offset:         41
        .size:           1
        .value_kind:     by_value
      - .offset:         42
        .size:           1
        .value_kind:     by_value
      - .offset:         43
        .size:           1
        .value_kind:     by_value
    .group_segment_fixed_size: 0
    .kernarg_segment_align: 8
    .kernarg_segment_size: 44
    .language:       OpenCL C
    .language_version:
      - 2
      - 0
    .max_flat_workgroup_size: 256
    .name:           _ZN2at6native27unrolled_elementwise_kernelINS0_13AUnaryFunctorIdddZZZNS0_20copysign_kernel_cudaERNS_18TensorIteratorBaseEENKUlvE_clEvENKUlvE_clEvEUlddE_EESt5arrayIPcLm2EELi4E23TrivialOffsetCalculatorILi1EjESD_NS0_6memory15LoadWithoutCastENSE_16StoreWithoutCastEEEviT_T0_T2_T3_T4_T5_
    .private_segment_fixed_size: 0
    .sgpr_count:     16
    .sgpr_spill_count: 0
    .symbol:         _ZN2at6native27unrolled_elementwise_kernelINS0_13AUnaryFunctorIdddZZZNS0_20copysign_kernel_cudaERNS_18TensorIteratorBaseEENKUlvE_clEvENKUlvE_clEvEUlddE_EESt5arrayIPcLm2EELi4E23TrivialOffsetCalculatorILi1EjESD_NS0_6memory15LoadWithoutCastENSE_16StoreWithoutCastEEEviT_T0_T2_T3_T4_T5_.kd
    .uniform_work_group_size: 1
    .uses_dynamic_stack: false
    .vgpr_count:     14
    .vgpr_spill_count: 0
    .wavefront_size: 64
  - .agpr_count:     0
    .args:
      - .offset:         0
        .size:           4
        .value_kind:     by_value
      - .offset:         8
        .size:           360
        .value_kind:     by_value
    .group_segment_fixed_size: 0
    .kernarg_segment_align: 8
    .kernarg_segment_size: 368
    .language:       OpenCL C
    .language_version:
      - 2
      - 0
    .max_flat_workgroup_size: 128
    .name:           _ZN2at6native32elementwise_kernel_manual_unrollILi128ELi4EZNS0_22gpu_kernel_impl_nocastINS0_13AUnaryFunctorIdddZZZNS0_20copysign_kernel_cudaERNS_18TensorIteratorBaseEENKUlvE_clEvENKUlvE_clEvEUlddE_EEEEvS5_RKT_EUlibE_EEviT1_
    .private_segment_fixed_size: 0
    .sgpr_count:     66
    .sgpr_spill_count: 0
    .symbol:         _ZN2at6native32elementwise_kernel_manual_unrollILi128ELi4EZNS0_22gpu_kernel_impl_nocastINS0_13AUnaryFunctorIdddZZZNS0_20copysign_kernel_cudaERNS_18TensorIteratorBaseEENKUlvE_clEvENKUlvE_clEvEUlddE_EEEEvS5_RKT_EUlibE_EEviT1_.kd
    .uniform_work_group_size: 1
    .uses_dynamic_stack: false
    .vgpr_count:     24
    .vgpr_spill_count: 0
    .wavefront_size: 64
  - .agpr_count:     0
    .args:
      - .offset:         0
        .size:           4
        .value_kind:     by_value
      - .offset:         8
        .size:           48
        .value_kind:     by_value
    .group_segment_fixed_size: 0
    .kernarg_segment_align: 8
    .kernarg_segment_size: 56
    .language:       OpenCL C
    .language_version:
      - 2
      - 0
    .max_flat_workgroup_size: 128
    .name:           _ZN2at6native32elementwise_kernel_manual_unrollILi128ELi4EZNS0_15gpu_kernel_implINS0_13AUnaryFunctorIdddZZZNS0_20copysign_kernel_cudaERNS_18TensorIteratorBaseEENKUlvE_clEvENKUlvE_clEvEUlddE_EEEEvS5_RKT_EUlibE_EEviT1_
    .private_segment_fixed_size: 0
    .sgpr_count:     50
    .sgpr_spill_count: 0
    .symbol:         _ZN2at6native32elementwise_kernel_manual_unrollILi128ELi4EZNS0_15gpu_kernel_implINS0_13AUnaryFunctorIdddZZZNS0_20copysign_kernel_cudaERNS_18TensorIteratorBaseEENKUlvE_clEvENKUlvE_clEvEUlddE_EEEEvS5_RKT_EUlibE_EEviT1_.kd
    .uniform_work_group_size: 1
    .uses_dynamic_stack: false
    .vgpr_count:     16
    .vgpr_spill_count: 0
    .wavefront_size: 64
  - .agpr_count:     0
    .args:
      - .offset:         0
        .size:           4
        .value_kind:     by_value
      - .offset:         8
        .size:           368
        .value_kind:     by_value
    .group_segment_fixed_size: 0
    .kernarg_segment_align: 8
    .kernarg_segment_size: 376
    .language:       OpenCL C
    .language_version:
      - 2
      - 0
    .max_flat_workgroup_size: 128
    .name:           _ZN2at6native32elementwise_kernel_manual_unrollILi128ELi4EZNS0_15gpu_kernel_implINS0_13AUnaryFunctorIdddZZZNS0_20copysign_kernel_cudaERNS_18TensorIteratorBaseEENKUlvE_clEvENKUlvE_clEvEUlddE_EEEEvS5_RKT_EUlibE0_EEviT1_
    .private_segment_fixed_size: 0
    .sgpr_count:     83
    .sgpr_spill_count: 0
    .symbol:         _ZN2at6native32elementwise_kernel_manual_unrollILi128ELi4EZNS0_15gpu_kernel_implINS0_13AUnaryFunctorIdddZZZNS0_20copysign_kernel_cudaERNS_18TensorIteratorBaseEENKUlvE_clEvENKUlvE_clEvEUlddE_EEEEvS5_RKT_EUlibE0_EEviT1_.kd
    .uniform_work_group_size: 1
    .uses_dynamic_stack: false
    .vgpr_count:     22
    .vgpr_spill_count: 0
    .wavefront_size: 64
  - .agpr_count:     0
    .args:
      - .offset:         0
        .size:           4
        .value_kind:     by_value
      - .offset:         8
        .size:           16
        .value_kind:     by_value
      - .offset:         24
        .size:           16
        .value_kind:     by_value
    .group_segment_fixed_size: 0
    .kernarg_segment_align: 8
    .kernarg_segment_size: 40
    .language:       OpenCL C
    .language_version:
      - 2
      - 0
    .max_flat_workgroup_size: 256
    .name:           _ZN2at6native29vectorized_elementwise_kernelILi16ENS0_13BUnaryFunctorIdddZZZNS0_20copysign_kernel_cudaERNS_18TensorIteratorBaseEENKUlvE_clEvENKUlvE_clEvEUlddE_EESt5arrayIPcLm2EEEEviT0_T1_
    .private_segment_fixed_size: 0
    .sgpr_count:     18
    .sgpr_spill_count: 0
    .symbol:         _ZN2at6native29vectorized_elementwise_kernelILi16ENS0_13BUnaryFunctorIdddZZZNS0_20copysign_kernel_cudaERNS_18TensorIteratorBaseEENKUlvE_clEvENKUlvE_clEvEUlddE_EESt5arrayIPcLm2EEEEviT0_T1_.kd
    .uniform_work_group_size: 1
    .uses_dynamic_stack: false
    .vgpr_count:     14
    .vgpr_spill_count: 0
    .wavefront_size: 64
  - .agpr_count:     0
    .args:
      - .offset:         0
        .size:           4
        .value_kind:     by_value
      - .offset:         8
        .size:           16
        .value_kind:     by_value
      - .offset:         24
        .size:           16
        .value_kind:     by_value
    .group_segment_fixed_size: 0
    .kernarg_segment_align: 8
    .kernarg_segment_size: 40
    .language:       OpenCL C
    .language_version:
      - 2
      - 0
    .max_flat_workgroup_size: 256
    .name:           _ZN2at6native29vectorized_elementwise_kernelILi8ENS0_13BUnaryFunctorIdddZZZNS0_20copysign_kernel_cudaERNS_18TensorIteratorBaseEENKUlvE_clEvENKUlvE_clEvEUlddE_EESt5arrayIPcLm2EEEEviT0_T1_
    .private_segment_fixed_size: 0
    .sgpr_count:     18
    .sgpr_spill_count: 0
    .symbol:         _ZN2at6native29vectorized_elementwise_kernelILi8ENS0_13BUnaryFunctorIdddZZZNS0_20copysign_kernel_cudaERNS_18TensorIteratorBaseEENKUlvE_clEvENKUlvE_clEvEUlddE_EESt5arrayIPcLm2EEEEviT0_T1_.kd
    .uniform_work_group_size: 1
    .uses_dynamic_stack: false
    .vgpr_count:     14
    .vgpr_spill_count: 0
    .wavefront_size: 64
  - .agpr_count:     0
    .args:
      - .offset:         0
        .size:           4
        .value_kind:     by_value
      - .offset:         8
        .size:           16
        .value_kind:     by_value
      - .offset:         24
        .size:           16
        .value_kind:     by_value
    .group_segment_fixed_size: 0
    .kernarg_segment_align: 8
    .kernarg_segment_size: 40
    .language:       OpenCL C
    .language_version:
      - 2
      - 0
    .max_flat_workgroup_size: 256
    .name:           _ZN2at6native29vectorized_elementwise_kernelILi4ENS0_13BUnaryFunctorIdddZZZNS0_20copysign_kernel_cudaERNS_18TensorIteratorBaseEENKUlvE_clEvENKUlvE_clEvEUlddE_EESt5arrayIPcLm2EEEEviT0_T1_
    .private_segment_fixed_size: 0
    .sgpr_count:     18
    .sgpr_spill_count: 0
    .symbol:         _ZN2at6native29vectorized_elementwise_kernelILi4ENS0_13BUnaryFunctorIdddZZZNS0_20copysign_kernel_cudaERNS_18TensorIteratorBaseEENKUlvE_clEvENKUlvE_clEvEUlddE_EESt5arrayIPcLm2EEEEviT0_T1_.kd
    .uniform_work_group_size: 1
    .uses_dynamic_stack: false
    .vgpr_count:     14
    .vgpr_spill_count: 0
    .wavefront_size: 64
  - .agpr_count:     0
    .args:
      - .offset:         0
        .size:           4
        .value_kind:     by_value
      - .offset:         8
        .size:           16
        .value_kind:     by_value
      - .offset:         24
        .size:           16
        .value_kind:     by_value
    .group_segment_fixed_size: 0
    .kernarg_segment_align: 8
    .kernarg_segment_size: 40
    .language:       OpenCL C
    .language_version:
      - 2
      - 0
    .max_flat_workgroup_size: 256
    .name:           _ZN2at6native29vectorized_elementwise_kernelILi2ENS0_13BUnaryFunctorIdddZZZNS0_20copysign_kernel_cudaERNS_18TensorIteratorBaseEENKUlvE_clEvENKUlvE_clEvEUlddE_EESt5arrayIPcLm2EEEEviT0_T1_
    .private_segment_fixed_size: 0
    .sgpr_count:     18
    .sgpr_spill_count: 0
    .symbol:         _ZN2at6native29vectorized_elementwise_kernelILi2ENS0_13BUnaryFunctorIdddZZZNS0_20copysign_kernel_cudaERNS_18TensorIteratorBaseEENKUlvE_clEvENKUlvE_clEvEUlddE_EESt5arrayIPcLm2EEEEviT0_T1_.kd
    .uniform_work_group_size: 1
    .uses_dynamic_stack: false
    .vgpr_count:     14
    .vgpr_spill_count: 0
    .wavefront_size: 64
  - .agpr_count:     0
    .args:
      - .offset:         0
        .size:           4
        .value_kind:     by_value
      - .offset:         8
        .size:           16
        .value_kind:     by_value
      - .offset:         24
        .size:           16
        .value_kind:     by_value
      - .offset:         40
        .size:           1
        .value_kind:     by_value
      - .offset:         41
        .size:           1
        .value_kind:     by_value
      - .offset:         42
        .size:           1
        .value_kind:     by_value
      - .offset:         43
        .size:           1
        .value_kind:     by_value
    .group_segment_fixed_size: 0
    .kernarg_segment_align: 8
    .kernarg_segment_size: 44
    .language:       OpenCL C
    .language_version:
      - 2
      - 0
    .max_flat_workgroup_size: 256
    .name:           _ZN2at6native27unrolled_elementwise_kernelINS0_13BUnaryFunctorIdddZZZNS0_20copysign_kernel_cudaERNS_18TensorIteratorBaseEENKUlvE_clEvENKUlvE_clEvEUlddE_EESt5arrayIPcLm2EELi4E23TrivialOffsetCalculatorILi1EjESD_NS0_6memory15LoadWithoutCastENSE_16StoreWithoutCastEEEviT_T0_T2_T3_T4_T5_
    .private_segment_fixed_size: 0
    .sgpr_count:     16
    .sgpr_spill_count: 0
    .symbol:         _ZN2at6native27unrolled_elementwise_kernelINS0_13BUnaryFunctorIdddZZZNS0_20copysign_kernel_cudaERNS_18TensorIteratorBaseEENKUlvE_clEvENKUlvE_clEvEUlddE_EESt5arrayIPcLm2EELi4E23TrivialOffsetCalculatorILi1EjESD_NS0_6memory15LoadWithoutCastENSE_16StoreWithoutCastEEEviT_T0_T2_T3_T4_T5_.kd
    .uniform_work_group_size: 1
    .uses_dynamic_stack: false
    .vgpr_count:     14
    .vgpr_spill_count: 0
    .wavefront_size: 64
  - .agpr_count:     0
    .args:
      - .offset:         0
        .size:           4
        .value_kind:     by_value
      - .offset:         8
        .size:           360
        .value_kind:     by_value
    .group_segment_fixed_size: 0
    .kernarg_segment_align: 8
    .kernarg_segment_size: 368
    .language:       OpenCL C
    .language_version:
      - 2
      - 0
    .max_flat_workgroup_size: 128
    .name:           _ZN2at6native32elementwise_kernel_manual_unrollILi128ELi4EZNS0_22gpu_kernel_impl_nocastINS0_13BUnaryFunctorIdddZZZNS0_20copysign_kernel_cudaERNS_18TensorIteratorBaseEENKUlvE_clEvENKUlvE_clEvEUlddE_EEEEvS5_RKT_EUlibE_EEviT1_
    .private_segment_fixed_size: 0
    .sgpr_count:     65
    .sgpr_spill_count: 0
    .symbol:         _ZN2at6native32elementwise_kernel_manual_unrollILi128ELi4EZNS0_22gpu_kernel_impl_nocastINS0_13BUnaryFunctorIdddZZZNS0_20copysign_kernel_cudaERNS_18TensorIteratorBaseEENKUlvE_clEvENKUlvE_clEvEUlddE_EEEEvS5_RKT_EUlibE_EEviT1_.kd
    .uniform_work_group_size: 1
    .uses_dynamic_stack: false
    .vgpr_count:     24
    .vgpr_spill_count: 0
    .wavefront_size: 64
  - .agpr_count:     0
    .args:
      - .offset:         0
        .size:           4
        .value_kind:     by_value
      - .offset:         8
        .size:           48
        .value_kind:     by_value
    .group_segment_fixed_size: 0
    .kernarg_segment_align: 8
    .kernarg_segment_size: 56
    .language:       OpenCL C
    .language_version:
      - 2
      - 0
    .max_flat_workgroup_size: 128
    .name:           _ZN2at6native32elementwise_kernel_manual_unrollILi128ELi4EZNS0_15gpu_kernel_implINS0_13BUnaryFunctorIdddZZZNS0_20copysign_kernel_cudaERNS_18TensorIteratorBaseEENKUlvE_clEvENKUlvE_clEvEUlddE_EEEEvS5_RKT_EUlibE_EEviT1_
    .private_segment_fixed_size: 0
    .sgpr_count:     50
    .sgpr_spill_count: 0
    .symbol:         _ZN2at6native32elementwise_kernel_manual_unrollILi128ELi4EZNS0_15gpu_kernel_implINS0_13BUnaryFunctorIdddZZZNS0_20copysign_kernel_cudaERNS_18TensorIteratorBaseEENKUlvE_clEvENKUlvE_clEvEUlddE_EEEEvS5_RKT_EUlibE_EEviT1_.kd
    .uniform_work_group_size: 1
    .uses_dynamic_stack: false
    .vgpr_count:     18
    .vgpr_spill_count: 0
    .wavefront_size: 64
  - .agpr_count:     0
    .args:
      - .offset:         0
        .size:           4
        .value_kind:     by_value
      - .offset:         8
        .size:           368
        .value_kind:     by_value
    .group_segment_fixed_size: 0
    .kernarg_segment_align: 8
    .kernarg_segment_size: 376
    .language:       OpenCL C
    .language_version:
      - 2
      - 0
    .max_flat_workgroup_size: 128
    .name:           _ZN2at6native32elementwise_kernel_manual_unrollILi128ELi4EZNS0_15gpu_kernel_implINS0_13BUnaryFunctorIdddZZZNS0_20copysign_kernel_cudaERNS_18TensorIteratorBaseEENKUlvE_clEvENKUlvE_clEvEUlddE_EEEEvS5_RKT_EUlibE0_EEviT1_
    .private_segment_fixed_size: 0
    .sgpr_count:     82
    .sgpr_spill_count: 0
    .symbol:         _ZN2at6native32elementwise_kernel_manual_unrollILi128ELi4EZNS0_15gpu_kernel_implINS0_13BUnaryFunctorIdddZZZNS0_20copysign_kernel_cudaERNS_18TensorIteratorBaseEENKUlvE_clEvENKUlvE_clEvEUlddE_EEEEvS5_RKT_EUlibE0_EEviT1_.kd
    .uniform_work_group_size: 1
    .uses_dynamic_stack: false
    .vgpr_count:     22
    .vgpr_spill_count: 0
    .wavefront_size: 64
  - .agpr_count:     0
    .args:
      - .offset:         0
        .size:           4
        .value_kind:     by_value
      - .offset:         4
        .size:           1
        .value_kind:     by_value
      - .offset:         8
        .size:           24
        .value_kind:     by_value
    .group_segment_fixed_size: 0
    .kernarg_segment_align: 8
    .kernarg_segment_size: 32
    .language:       OpenCL C
    .language_version:
      - 2
      - 0
    .max_flat_workgroup_size: 256
    .name:           _ZN2at6native29vectorized_elementwise_kernelILi16ENS0_13BinaryFunctorIdddZZZNS0_20copysign_kernel_cudaERNS_18TensorIteratorBaseEENKUlvE_clEvENKUlvE_clEvEUlddE_EESt5arrayIPcLm3EEEEviT0_T1_
    .private_segment_fixed_size: 0
    .sgpr_count:     20
    .sgpr_spill_count: 0
    .symbol:         _ZN2at6native29vectorized_elementwise_kernelILi16ENS0_13BinaryFunctorIdddZZZNS0_20copysign_kernel_cudaERNS_18TensorIteratorBaseEENKUlvE_clEvENKUlvE_clEvEUlddE_EESt5arrayIPcLm3EEEEviT0_T1_.kd
    .uniform_work_group_size: 1
    .uses_dynamic_stack: false
    .vgpr_count:     24
    .vgpr_spill_count: 0
    .wavefront_size: 64
  - .agpr_count:     0
    .args:
      - .offset:         0
        .size:           4
        .value_kind:     by_value
      - .offset:         4
        .size:           1
        .value_kind:     by_value
      - .offset:         8
        .size:           24
        .value_kind:     by_value
    .group_segment_fixed_size: 0
    .kernarg_segment_align: 8
    .kernarg_segment_size: 32
    .language:       OpenCL C
    .language_version:
      - 2
      - 0
    .max_flat_workgroup_size: 256
    .name:           _ZN2at6native29vectorized_elementwise_kernelILi8ENS0_13BinaryFunctorIdddZZZNS0_20copysign_kernel_cudaERNS_18TensorIteratorBaseEENKUlvE_clEvENKUlvE_clEvEUlddE_EESt5arrayIPcLm3EEEEviT0_T1_
    .private_segment_fixed_size: 0
    .sgpr_count:     20
    .sgpr_spill_count: 0
    .symbol:         _ZN2at6native29vectorized_elementwise_kernelILi8ENS0_13BinaryFunctorIdddZZZNS0_20copysign_kernel_cudaERNS_18TensorIteratorBaseEENKUlvE_clEvENKUlvE_clEvEUlddE_EESt5arrayIPcLm3EEEEviT0_T1_.kd
    .uniform_work_group_size: 1
    .uses_dynamic_stack: false
    .vgpr_count:     24
    .vgpr_spill_count: 0
    .wavefront_size: 64
  - .agpr_count:     0
    .args:
      - .offset:         0
        .size:           4
        .value_kind:     by_value
      - .offset:         4
        .size:           1
        .value_kind:     by_value
      - .offset:         8
        .size:           24
        .value_kind:     by_value
    .group_segment_fixed_size: 0
    .kernarg_segment_align: 8
    .kernarg_segment_size: 32
    .language:       OpenCL C
    .language_version:
      - 2
      - 0
    .max_flat_workgroup_size: 256
    .name:           _ZN2at6native29vectorized_elementwise_kernelILi4ENS0_13BinaryFunctorIdddZZZNS0_20copysign_kernel_cudaERNS_18TensorIteratorBaseEENKUlvE_clEvENKUlvE_clEvEUlddE_EESt5arrayIPcLm3EEEEviT0_T1_
    .private_segment_fixed_size: 0
    .sgpr_count:     20
    .sgpr_spill_count: 0
    .symbol:         _ZN2at6native29vectorized_elementwise_kernelILi4ENS0_13BinaryFunctorIdddZZZNS0_20copysign_kernel_cudaERNS_18TensorIteratorBaseEENKUlvE_clEvENKUlvE_clEvEUlddE_EESt5arrayIPcLm3EEEEviT0_T1_.kd
    .uniform_work_group_size: 1
    .uses_dynamic_stack: false
    .vgpr_count:     24
    .vgpr_spill_count: 0
    .wavefront_size: 64
  - .agpr_count:     0
    .args:
      - .offset:         0
        .size:           4
        .value_kind:     by_value
      - .offset:         4
        .size:           1
        .value_kind:     by_value
      - .offset:         8
        .size:           24
        .value_kind:     by_value
    .group_segment_fixed_size: 0
    .kernarg_segment_align: 8
    .kernarg_segment_size: 32
    .language:       OpenCL C
    .language_version:
      - 2
      - 0
    .max_flat_workgroup_size: 256
    .name:           _ZN2at6native29vectorized_elementwise_kernelILi2ENS0_13BinaryFunctorIdddZZZNS0_20copysign_kernel_cudaERNS_18TensorIteratorBaseEENKUlvE_clEvENKUlvE_clEvEUlddE_EESt5arrayIPcLm3EEEEviT0_T1_
    .private_segment_fixed_size: 0
    .sgpr_count:     20
    .sgpr_spill_count: 0
    .symbol:         _ZN2at6native29vectorized_elementwise_kernelILi2ENS0_13BinaryFunctorIdddZZZNS0_20copysign_kernel_cudaERNS_18TensorIteratorBaseEENKUlvE_clEvENKUlvE_clEvEUlddE_EESt5arrayIPcLm3EEEEviT0_T1_.kd
    .uniform_work_group_size: 1
    .uses_dynamic_stack: false
    .vgpr_count:     24
    .vgpr_spill_count: 0
    .wavefront_size: 64
  - .agpr_count:     0
    .args:
      - .offset:         0
        .size:           4
        .value_kind:     by_value
      - .offset:         4
        .size:           1
        .value_kind:     by_value
      - .offset:         8
        .size:           24
        .value_kind:     by_value
      - .offset:         32
        .size:           1
        .value_kind:     by_value
      - .offset:         33
        .size:           1
        .value_kind:     by_value
      - .offset:         34
        .size:           1
        .value_kind:     by_value
      - .offset:         35
        .size:           1
        .value_kind:     by_value
    .group_segment_fixed_size: 0
    .kernarg_segment_align: 8
    .kernarg_segment_size: 36
    .language:       OpenCL C
    .language_version:
      - 2
      - 0
    .max_flat_workgroup_size: 256
    .name:           _ZN2at6native27unrolled_elementwise_kernelINS0_13BinaryFunctorIdddZZZNS0_20copysign_kernel_cudaERNS_18TensorIteratorBaseEENKUlvE_clEvENKUlvE_clEvEUlddE_EESt5arrayIPcLm3EELi4E23TrivialOffsetCalculatorILi2EjESC_ILi1EjENS0_6memory15LoadWithoutCastENSF_16StoreWithoutCastEEEviT_T0_T2_T3_T4_T5_
    .private_segment_fixed_size: 0
    .sgpr_count:     16
    .sgpr_spill_count: 0
    .symbol:         _ZN2at6native27unrolled_elementwise_kernelINS0_13BinaryFunctorIdddZZZNS0_20copysign_kernel_cudaERNS_18TensorIteratorBaseEENKUlvE_clEvENKUlvE_clEvEUlddE_EESt5arrayIPcLm3EELi4E23TrivialOffsetCalculatorILi2EjESC_ILi1EjENS0_6memory15LoadWithoutCastENSF_16StoreWithoutCastEEEviT_T0_T2_T3_T4_T5_.kd
    .uniform_work_group_size: 1
    .uses_dynamic_stack: false
    .vgpr_count:     24
    .vgpr_spill_count: 0
    .wavefront_size: 64
  - .agpr_count:     0
    .args:
      - .offset:         0
        .size:           4
        .value_kind:     by_value
      - .offset:         8
        .size:           424
        .value_kind:     by_value
    .group_segment_fixed_size: 0
    .kernarg_segment_align: 8
    .kernarg_segment_size: 432
    .language:       OpenCL C
    .language_version:
      - 2
      - 0
    .max_flat_workgroup_size: 128
    .name:           _ZN2at6native32elementwise_kernel_manual_unrollILi128ELi4EZNS0_22gpu_kernel_impl_nocastINS0_13BinaryFunctorIdddZZZNS0_20copysign_kernel_cudaERNS_18TensorIteratorBaseEENKUlvE_clEvENKUlvE_clEvEUlddE_EEEEvS5_RKT_EUlibE_EEviT1_
    .private_segment_fixed_size: 0
    .sgpr_count:     56
    .sgpr_spill_count: 0
    .symbol:         _ZN2at6native32elementwise_kernel_manual_unrollILi128ELi4EZNS0_22gpu_kernel_impl_nocastINS0_13BinaryFunctorIdddZZZNS0_20copysign_kernel_cudaERNS_18TensorIteratorBaseEENKUlvE_clEvENKUlvE_clEvEUlddE_EEEEvS5_RKT_EUlibE_EEviT1_.kd
    .uniform_work_group_size: 1
    .uses_dynamic_stack: false
    .vgpr_count:     40
    .vgpr_spill_count: 0
    .wavefront_size: 64
  - .agpr_count:     0
    .args:
      - .offset:         0
        .size:           4
        .value_kind:     by_value
      - .offset:         8
        .size:           40
        .value_kind:     by_value
    .group_segment_fixed_size: 0
    .kernarg_segment_align: 8
    .kernarg_segment_size: 48
    .language:       OpenCL C
    .language_version:
      - 2
      - 0
    .max_flat_workgroup_size: 128
    .name:           _ZN2at6native32elementwise_kernel_manual_unrollILi128ELi4EZNS0_15gpu_kernel_implINS0_13BinaryFunctorIdddZZZNS0_20copysign_kernel_cudaERNS_18TensorIteratorBaseEENKUlvE_clEvENKUlvE_clEvEUlddE_EEEEvS5_RKT_EUlibE_EEviT1_
    .private_segment_fixed_size: 0
    .sgpr_count:     58
    .sgpr_spill_count: 0
    .symbol:         _ZN2at6native32elementwise_kernel_manual_unrollILi128ELi4EZNS0_15gpu_kernel_implINS0_13BinaryFunctorIdddZZZNS0_20copysign_kernel_cudaERNS_18TensorIteratorBaseEENKUlvE_clEvENKUlvE_clEvEUlddE_EEEEvS5_RKT_EUlibE_EEviT1_.kd
    .uniform_work_group_size: 1
    .uses_dynamic_stack: false
    .vgpr_count:     24
    .vgpr_spill_count: 0
    .wavefront_size: 64
  - .agpr_count:     0
    .args:
      - .offset:         0
        .size:           4
        .value_kind:     by_value
      - .offset:         8
        .size:           424
        .value_kind:     by_value
    .group_segment_fixed_size: 0
    .kernarg_segment_align: 8
    .kernarg_segment_size: 432
    .language:       OpenCL C
    .language_version:
      - 2
      - 0
    .max_flat_workgroup_size: 128
    .name:           _ZN2at6native32elementwise_kernel_manual_unrollILi128ELi4EZNS0_15gpu_kernel_implINS0_13BinaryFunctorIdddZZZNS0_20copysign_kernel_cudaERNS_18TensorIteratorBaseEENKUlvE_clEvENKUlvE_clEvEUlddE_EEEEvS5_RKT_EUlibE0_EEviT1_
    .private_segment_fixed_size: 0
    .sgpr_count:     82
    .sgpr_spill_count: 0
    .symbol:         _ZN2at6native32elementwise_kernel_manual_unrollILi128ELi4EZNS0_15gpu_kernel_implINS0_13BinaryFunctorIdddZZZNS0_20copysign_kernel_cudaERNS_18TensorIteratorBaseEENKUlvE_clEvENKUlvE_clEvEUlddE_EEEEvS5_RKT_EUlibE0_EEviT1_.kd
    .uniform_work_group_size: 1
    .uses_dynamic_stack: false
    .vgpr_count:     28
    .vgpr_spill_count: 0
    .wavefront_size: 64
  - .agpr_count:     0
    .args:
      - .offset:         0
        .size:           4
        .value_kind:     by_value
      - .offset:         4
        .size:           8
        .value_kind:     by_value
      - .offset:         16
        .size:           16
        .value_kind:     by_value
    .group_segment_fixed_size: 0
    .kernarg_segment_align: 8
    .kernarg_segment_size: 32
    .language:       OpenCL C
    .language_version:
      - 2
      - 0
    .max_flat_workgroup_size: 256
    .name:           _ZN2at6native29vectorized_elementwise_kernelILi16ENS0_13AUnaryFunctorIfffZZZNS0_20copysign_kernel_cudaERNS_18TensorIteratorBaseEENKUlvE_clEvENKUlvE0_clEvEUlffE_EESt5arrayIPcLm2EEEEviT0_T1_
    .private_segment_fixed_size: 0
    .sgpr_count:     16
    .sgpr_spill_count: 0
    .symbol:         _ZN2at6native29vectorized_elementwise_kernelILi16ENS0_13AUnaryFunctorIfffZZZNS0_20copysign_kernel_cudaERNS_18TensorIteratorBaseEENKUlvE_clEvENKUlvE0_clEvEUlffE_EESt5arrayIPcLm2EEEEviT0_T1_.kd
    .uniform_work_group_size: 1
    .uses_dynamic_stack: false
    .vgpr_count:     10
    .vgpr_spill_count: 0
    .wavefront_size: 64
  - .agpr_count:     0
    .args:
      - .offset:         0
        .size:           4
        .value_kind:     by_value
      - .offset:         4
        .size:           8
        .value_kind:     by_value
      - .offset:         16
        .size:           16
        .value_kind:     by_value
    .group_segment_fixed_size: 0
    .kernarg_segment_align: 8
    .kernarg_segment_size: 32
    .language:       OpenCL C
    .language_version:
      - 2
      - 0
    .max_flat_workgroup_size: 256
    .name:           _ZN2at6native29vectorized_elementwise_kernelILi8ENS0_13AUnaryFunctorIfffZZZNS0_20copysign_kernel_cudaERNS_18TensorIteratorBaseEENKUlvE_clEvENKUlvE0_clEvEUlffE_EESt5arrayIPcLm2EEEEviT0_T1_
    .private_segment_fixed_size: 0
    .sgpr_count:     16
    .sgpr_spill_count: 0
    .symbol:         _ZN2at6native29vectorized_elementwise_kernelILi8ENS0_13AUnaryFunctorIfffZZZNS0_20copysign_kernel_cudaERNS_18TensorIteratorBaseEENKUlvE_clEvENKUlvE0_clEvEUlffE_EESt5arrayIPcLm2EEEEviT0_T1_.kd
    .uniform_work_group_size: 1
    .uses_dynamic_stack: false
    .vgpr_count:     10
    .vgpr_spill_count: 0
    .wavefront_size: 64
  - .agpr_count:     0
    .args:
      - .offset:         0
        .size:           4
        .value_kind:     by_value
      - .offset:         4
        .size:           8
        .value_kind:     by_value
      - .offset:         16
        .size:           16
        .value_kind:     by_value
    .group_segment_fixed_size: 0
    .kernarg_segment_align: 8
    .kernarg_segment_size: 32
    .language:       OpenCL C
    .language_version:
      - 2
      - 0
    .max_flat_workgroup_size: 256
    .name:           _ZN2at6native29vectorized_elementwise_kernelILi4ENS0_13AUnaryFunctorIfffZZZNS0_20copysign_kernel_cudaERNS_18TensorIteratorBaseEENKUlvE_clEvENKUlvE0_clEvEUlffE_EESt5arrayIPcLm2EEEEviT0_T1_
    .private_segment_fixed_size: 0
    .sgpr_count:     16
    .sgpr_spill_count: 0
    .symbol:         _ZN2at6native29vectorized_elementwise_kernelILi4ENS0_13AUnaryFunctorIfffZZZNS0_20copysign_kernel_cudaERNS_18TensorIteratorBaseEENKUlvE_clEvENKUlvE0_clEvEUlffE_EESt5arrayIPcLm2EEEEviT0_T1_.kd
    .uniform_work_group_size: 1
    .uses_dynamic_stack: false
    .vgpr_count:     10
    .vgpr_spill_count: 0
    .wavefront_size: 64
  - .agpr_count:     0
    .args:
      - .offset:         0
        .size:           4
        .value_kind:     by_value
      - .offset:         4
        .size:           8
        .value_kind:     by_value
      - .offset:         16
        .size:           16
        .value_kind:     by_value
    .group_segment_fixed_size: 0
    .kernarg_segment_align: 8
    .kernarg_segment_size: 32
    .language:       OpenCL C
    .language_version:
      - 2
      - 0
    .max_flat_workgroup_size: 256
    .name:           _ZN2at6native29vectorized_elementwise_kernelILi2ENS0_13AUnaryFunctorIfffZZZNS0_20copysign_kernel_cudaERNS_18TensorIteratorBaseEENKUlvE_clEvENKUlvE0_clEvEUlffE_EESt5arrayIPcLm2EEEEviT0_T1_
    .private_segment_fixed_size: 0
    .sgpr_count:     16
    .sgpr_spill_count: 0
    .symbol:         _ZN2at6native29vectorized_elementwise_kernelILi2ENS0_13AUnaryFunctorIfffZZZNS0_20copysign_kernel_cudaERNS_18TensorIteratorBaseEENKUlvE_clEvENKUlvE0_clEvEUlffE_EESt5arrayIPcLm2EEEEviT0_T1_.kd
    .uniform_work_group_size: 1
    .uses_dynamic_stack: false
    .vgpr_count:     10
    .vgpr_spill_count: 0
    .wavefront_size: 64
  - .agpr_count:     0
    .args:
      - .offset:         0
        .size:           4
        .value_kind:     by_value
      - .offset:         4
        .size:           8
        .value_kind:     by_value
      - .offset:         16
        .size:           16
        .value_kind:     by_value
      - .offset:         32
        .size:           1
        .value_kind:     by_value
      - .offset:         33
        .size:           1
        .value_kind:     by_value
      - .offset:         34
        .size:           1
        .value_kind:     by_value
      - .offset:         35
        .size:           1
        .value_kind:     by_value
    .group_segment_fixed_size: 0
    .kernarg_segment_align: 8
    .kernarg_segment_size: 36
    .language:       OpenCL C
    .language_version:
      - 2
      - 0
    .max_flat_workgroup_size: 256
    .name:           _ZN2at6native27unrolled_elementwise_kernelINS0_13AUnaryFunctorIfffZZZNS0_20copysign_kernel_cudaERNS_18TensorIteratorBaseEENKUlvE_clEvENKUlvE0_clEvEUlffE_EESt5arrayIPcLm2EELi4E23TrivialOffsetCalculatorILi1EjESD_NS0_6memory15LoadWithoutCastENSE_16StoreWithoutCastEEEviT_T0_T2_T3_T4_T5_
    .private_segment_fixed_size: 0
    .sgpr_count:     16
    .sgpr_spill_count: 0
    .symbol:         _ZN2at6native27unrolled_elementwise_kernelINS0_13AUnaryFunctorIfffZZZNS0_20copysign_kernel_cudaERNS_18TensorIteratorBaseEENKUlvE_clEvENKUlvE0_clEvEUlffE_EESt5arrayIPcLm2EELi4E23TrivialOffsetCalculatorILi1EjESD_NS0_6memory15LoadWithoutCastENSE_16StoreWithoutCastEEEviT_T0_T2_T3_T4_T5_.kd
    .uniform_work_group_size: 1
    .uses_dynamic_stack: false
    .vgpr_count:     10
    .vgpr_spill_count: 0
    .wavefront_size: 64
  - .agpr_count:     0
    .args:
      - .offset:         0
        .size:           4
        .value_kind:     by_value
      - .offset:         8
        .size:           352
        .value_kind:     by_value
    .group_segment_fixed_size: 0
    .kernarg_segment_align: 8
    .kernarg_segment_size: 360
    .language:       OpenCL C
    .language_version:
      - 2
      - 0
    .max_flat_workgroup_size: 128
    .name:           _ZN2at6native32elementwise_kernel_manual_unrollILi128ELi4EZNS0_22gpu_kernel_impl_nocastINS0_13AUnaryFunctorIfffZZZNS0_20copysign_kernel_cudaERNS_18TensorIteratorBaseEENKUlvE_clEvENKUlvE0_clEvEUlffE_EEEEvS5_RKT_EUlibE_EEviT1_
    .private_segment_fixed_size: 0
    .sgpr_count:     65
    .sgpr_spill_count: 0
    .symbol:         _ZN2at6native32elementwise_kernel_manual_unrollILi128ELi4EZNS0_22gpu_kernel_impl_nocastINS0_13AUnaryFunctorIfffZZZNS0_20copysign_kernel_cudaERNS_18TensorIteratorBaseEENKUlvE_clEvENKUlvE0_clEvEUlffE_EEEEvS5_RKT_EUlibE_EEviT1_.kd
    .uniform_work_group_size: 1
    .uses_dynamic_stack: false
    .vgpr_count:     18
    .vgpr_spill_count: 0
    .wavefront_size: 64
  - .agpr_count:     0
    .args:
      - .offset:         0
        .size:           4
        .value_kind:     by_value
      - .offset:         8
        .size:           40
        .value_kind:     by_value
    .group_segment_fixed_size: 0
    .kernarg_segment_align: 8
    .kernarg_segment_size: 48
    .language:       OpenCL C
    .language_version:
      - 2
      - 0
    .max_flat_workgroup_size: 128
    .name:           _ZN2at6native32elementwise_kernel_manual_unrollILi128ELi4EZNS0_15gpu_kernel_implINS0_13AUnaryFunctorIfffZZZNS0_20copysign_kernel_cudaERNS_18TensorIteratorBaseEENKUlvE_clEvENKUlvE0_clEvEUlffE_EEEEvS5_RKT_EUlibE_EEviT1_
    .private_segment_fixed_size: 0
    .sgpr_count:     69
    .sgpr_spill_count: 0
    .symbol:         _ZN2at6native32elementwise_kernel_manual_unrollILi128ELi4EZNS0_15gpu_kernel_implINS0_13AUnaryFunctorIfffZZZNS0_20copysign_kernel_cudaERNS_18TensorIteratorBaseEENKUlvE_clEvENKUlvE0_clEvEUlffE_EEEEvS5_RKT_EUlibE_EEviT1_.kd
    .uniform_work_group_size: 1
    .uses_dynamic_stack: false
    .vgpr_count:     14
    .vgpr_spill_count: 0
    .wavefront_size: 64
  - .agpr_count:     0
    .args:
      - .offset:         0
        .size:           4
        .value_kind:     by_value
      - .offset:         8
        .size:           360
        .value_kind:     by_value
    .group_segment_fixed_size: 0
    .kernarg_segment_align: 8
    .kernarg_segment_size: 368
    .language:       OpenCL C
    .language_version:
      - 2
      - 0
    .max_flat_workgroup_size: 128
    .name:           _ZN2at6native32elementwise_kernel_manual_unrollILi128ELi4EZNS0_15gpu_kernel_implINS0_13AUnaryFunctorIfffZZZNS0_20copysign_kernel_cudaERNS_18TensorIteratorBaseEENKUlvE_clEvENKUlvE0_clEvEUlffE_EEEEvS5_RKT_EUlibE0_EEviT1_
    .private_segment_fixed_size: 0
    .sgpr_count:     100
    .sgpr_spill_count: 2
    .symbol:         _ZN2at6native32elementwise_kernel_manual_unrollILi128ELi4EZNS0_15gpu_kernel_implINS0_13AUnaryFunctorIfffZZZNS0_20copysign_kernel_cudaERNS_18TensorIteratorBaseEENKUlvE_clEvENKUlvE0_clEvEUlffE_EEEEvS5_RKT_EUlibE0_EEviT1_.kd
    .uniform_work_group_size: 1
    .uses_dynamic_stack: false
    .vgpr_count:     19
    .vgpr_spill_count: 0
    .wavefront_size: 64
  - .agpr_count:     0
    .args:
      - .offset:         0
        .size:           4
        .value_kind:     by_value
      - .offset:         4
        .size:           8
        .value_kind:     by_value
      - .offset:         16
        .size:           16
        .value_kind:     by_value
    .group_segment_fixed_size: 0
    .kernarg_segment_align: 8
    .kernarg_segment_size: 32
    .language:       OpenCL C
    .language_version:
      - 2
      - 0
    .max_flat_workgroup_size: 256
    .name:           _ZN2at6native29vectorized_elementwise_kernelILi16ENS0_13BUnaryFunctorIfffZZZNS0_20copysign_kernel_cudaERNS_18TensorIteratorBaseEENKUlvE_clEvENKUlvE0_clEvEUlffE_EESt5arrayIPcLm2EEEEviT0_T1_
    .private_segment_fixed_size: 0
    .sgpr_count:     16
    .sgpr_spill_count: 0
    .symbol:         _ZN2at6native29vectorized_elementwise_kernelILi16ENS0_13BUnaryFunctorIfffZZZNS0_20copysign_kernel_cudaERNS_18TensorIteratorBaseEENKUlvE_clEvENKUlvE0_clEvEUlffE_EESt5arrayIPcLm2EEEEviT0_T1_.kd
    .uniform_work_group_size: 1
    .uses_dynamic_stack: false
    .vgpr_count:     10
    .vgpr_spill_count: 0
    .wavefront_size: 64
  - .agpr_count:     0
    .args:
      - .offset:         0
        .size:           4
        .value_kind:     by_value
      - .offset:         4
        .size:           8
        .value_kind:     by_value
      - .offset:         16
        .size:           16
        .value_kind:     by_value
    .group_segment_fixed_size: 0
    .kernarg_segment_align: 8
    .kernarg_segment_size: 32
    .language:       OpenCL C
    .language_version:
      - 2
      - 0
    .max_flat_workgroup_size: 256
    .name:           _ZN2at6native29vectorized_elementwise_kernelILi8ENS0_13BUnaryFunctorIfffZZZNS0_20copysign_kernel_cudaERNS_18TensorIteratorBaseEENKUlvE_clEvENKUlvE0_clEvEUlffE_EESt5arrayIPcLm2EEEEviT0_T1_
    .private_segment_fixed_size: 0
    .sgpr_count:     16
    .sgpr_spill_count: 0
    .symbol:         _ZN2at6native29vectorized_elementwise_kernelILi8ENS0_13BUnaryFunctorIfffZZZNS0_20copysign_kernel_cudaERNS_18TensorIteratorBaseEENKUlvE_clEvENKUlvE0_clEvEUlffE_EESt5arrayIPcLm2EEEEviT0_T1_.kd
    .uniform_work_group_size: 1
    .uses_dynamic_stack: false
    .vgpr_count:     10
    .vgpr_spill_count: 0
    .wavefront_size: 64
  - .agpr_count:     0
    .args:
      - .offset:         0
        .size:           4
        .value_kind:     by_value
      - .offset:         4
        .size:           8
        .value_kind:     by_value
      - .offset:         16
        .size:           16
        .value_kind:     by_value
    .group_segment_fixed_size: 0
    .kernarg_segment_align: 8
    .kernarg_segment_size: 32
    .language:       OpenCL C
    .language_version:
      - 2
      - 0
    .max_flat_workgroup_size: 256
    .name:           _ZN2at6native29vectorized_elementwise_kernelILi4ENS0_13BUnaryFunctorIfffZZZNS0_20copysign_kernel_cudaERNS_18TensorIteratorBaseEENKUlvE_clEvENKUlvE0_clEvEUlffE_EESt5arrayIPcLm2EEEEviT0_T1_
    .private_segment_fixed_size: 0
    .sgpr_count:     16
    .sgpr_spill_count: 0
    .symbol:         _ZN2at6native29vectorized_elementwise_kernelILi4ENS0_13BUnaryFunctorIfffZZZNS0_20copysign_kernel_cudaERNS_18TensorIteratorBaseEENKUlvE_clEvENKUlvE0_clEvEUlffE_EESt5arrayIPcLm2EEEEviT0_T1_.kd
    .uniform_work_group_size: 1
    .uses_dynamic_stack: false
    .vgpr_count:     10
    .vgpr_spill_count: 0
    .wavefront_size: 64
  - .agpr_count:     0
    .args:
      - .offset:         0
        .size:           4
        .value_kind:     by_value
      - .offset:         4
        .size:           8
        .value_kind:     by_value
      - .offset:         16
        .size:           16
        .value_kind:     by_value
    .group_segment_fixed_size: 0
    .kernarg_segment_align: 8
    .kernarg_segment_size: 32
    .language:       OpenCL C
    .language_version:
      - 2
      - 0
    .max_flat_workgroup_size: 256
    .name:           _ZN2at6native29vectorized_elementwise_kernelILi2ENS0_13BUnaryFunctorIfffZZZNS0_20copysign_kernel_cudaERNS_18TensorIteratorBaseEENKUlvE_clEvENKUlvE0_clEvEUlffE_EESt5arrayIPcLm2EEEEviT0_T1_
    .private_segment_fixed_size: 0
    .sgpr_count:     16
    .sgpr_spill_count: 0
    .symbol:         _ZN2at6native29vectorized_elementwise_kernelILi2ENS0_13BUnaryFunctorIfffZZZNS0_20copysign_kernel_cudaERNS_18TensorIteratorBaseEENKUlvE_clEvENKUlvE0_clEvEUlffE_EESt5arrayIPcLm2EEEEviT0_T1_.kd
    .uniform_work_group_size: 1
    .uses_dynamic_stack: false
    .vgpr_count:     10
    .vgpr_spill_count: 0
    .wavefront_size: 64
  - .agpr_count:     0
    .args:
      - .offset:         0
        .size:           4
        .value_kind:     by_value
      - .offset:         4
        .size:           8
        .value_kind:     by_value
      - .offset:         16
        .size:           16
        .value_kind:     by_value
      - .offset:         32
        .size:           1
        .value_kind:     by_value
      - .offset:         33
        .size:           1
        .value_kind:     by_value
      - .offset:         34
        .size:           1
        .value_kind:     by_value
      - .offset:         35
        .size:           1
        .value_kind:     by_value
    .group_segment_fixed_size: 0
    .kernarg_segment_align: 8
    .kernarg_segment_size: 36
    .language:       OpenCL C
    .language_version:
      - 2
      - 0
    .max_flat_workgroup_size: 256
    .name:           _ZN2at6native27unrolled_elementwise_kernelINS0_13BUnaryFunctorIfffZZZNS0_20copysign_kernel_cudaERNS_18TensorIteratorBaseEENKUlvE_clEvENKUlvE0_clEvEUlffE_EESt5arrayIPcLm2EELi4E23TrivialOffsetCalculatorILi1EjESD_NS0_6memory15LoadWithoutCastENSE_16StoreWithoutCastEEEviT_T0_T2_T3_T4_T5_
    .private_segment_fixed_size: 0
    .sgpr_count:     16
    .sgpr_spill_count: 0
    .symbol:         _ZN2at6native27unrolled_elementwise_kernelINS0_13BUnaryFunctorIfffZZZNS0_20copysign_kernel_cudaERNS_18TensorIteratorBaseEENKUlvE_clEvENKUlvE0_clEvEUlffE_EESt5arrayIPcLm2EELi4E23TrivialOffsetCalculatorILi1EjESD_NS0_6memory15LoadWithoutCastENSE_16StoreWithoutCastEEEviT_T0_T2_T3_T4_T5_.kd
    .uniform_work_group_size: 1
    .uses_dynamic_stack: false
    .vgpr_count:     10
    .vgpr_spill_count: 0
    .wavefront_size: 64
  - .agpr_count:     0
    .args:
      - .offset:         0
        .size:           4
        .value_kind:     by_value
      - .offset:         8
        .size:           352
        .value_kind:     by_value
    .group_segment_fixed_size: 0
    .kernarg_segment_align: 8
    .kernarg_segment_size: 360
    .language:       OpenCL C
    .language_version:
      - 2
      - 0
    .max_flat_workgroup_size: 128
    .name:           _ZN2at6native32elementwise_kernel_manual_unrollILi128ELi4EZNS0_22gpu_kernel_impl_nocastINS0_13BUnaryFunctorIfffZZZNS0_20copysign_kernel_cudaERNS_18TensorIteratorBaseEENKUlvE_clEvENKUlvE0_clEvEUlffE_EEEEvS5_RKT_EUlibE_EEviT1_
    .private_segment_fixed_size: 0
    .sgpr_count:     65
    .sgpr_spill_count: 0
    .symbol:         _ZN2at6native32elementwise_kernel_manual_unrollILi128ELi4EZNS0_22gpu_kernel_impl_nocastINS0_13BUnaryFunctorIfffZZZNS0_20copysign_kernel_cudaERNS_18TensorIteratorBaseEENKUlvE_clEvENKUlvE0_clEvEUlffE_EEEEvS5_RKT_EUlibE_EEviT1_.kd
    .uniform_work_group_size: 1
    .uses_dynamic_stack: false
    .vgpr_count:     18
    .vgpr_spill_count: 0
    .wavefront_size: 64
  - .agpr_count:     0
    .args:
      - .offset:         0
        .size:           4
        .value_kind:     by_value
      - .offset:         8
        .size:           40
        .value_kind:     by_value
    .group_segment_fixed_size: 0
    .kernarg_segment_align: 8
    .kernarg_segment_size: 48
    .language:       OpenCL C
    .language_version:
      - 2
      - 0
    .max_flat_workgroup_size: 128
    .name:           _ZN2at6native32elementwise_kernel_manual_unrollILi128ELi4EZNS0_15gpu_kernel_implINS0_13BUnaryFunctorIfffZZZNS0_20copysign_kernel_cudaERNS_18TensorIteratorBaseEENKUlvE_clEvENKUlvE0_clEvEUlffE_EEEEvS5_RKT_EUlibE_EEviT1_
    .private_segment_fixed_size: 0
    .sgpr_count:     48
    .sgpr_spill_count: 0
    .symbol:         _ZN2at6native32elementwise_kernel_manual_unrollILi128ELi4EZNS0_15gpu_kernel_implINS0_13BUnaryFunctorIfffZZZNS0_20copysign_kernel_cudaERNS_18TensorIteratorBaseEENKUlvE_clEvENKUlvE0_clEvEUlffE_EEEEvS5_RKT_EUlibE_EEviT1_.kd
    .uniform_work_group_size: 1
    .uses_dynamic_stack: false
    .vgpr_count:     14
    .vgpr_spill_count: 0
    .wavefront_size: 64
  - .agpr_count:     0
    .args:
      - .offset:         0
        .size:           4
        .value_kind:     by_value
      - .offset:         8
        .size:           360
        .value_kind:     by_value
    .group_segment_fixed_size: 0
    .kernarg_segment_align: 8
    .kernarg_segment_size: 368
    .language:       OpenCL C
    .language_version:
      - 2
      - 0
    .max_flat_workgroup_size: 128
    .name:           _ZN2at6native32elementwise_kernel_manual_unrollILi128ELi4EZNS0_15gpu_kernel_implINS0_13BUnaryFunctorIfffZZZNS0_20copysign_kernel_cudaERNS_18TensorIteratorBaseEENKUlvE_clEvENKUlvE0_clEvEUlffE_EEEEvS5_RKT_EUlibE0_EEviT1_
    .private_segment_fixed_size: 0
    .sgpr_count:     82
    .sgpr_spill_count: 0
    .symbol:         _ZN2at6native32elementwise_kernel_manual_unrollILi128ELi4EZNS0_15gpu_kernel_implINS0_13BUnaryFunctorIfffZZZNS0_20copysign_kernel_cudaERNS_18TensorIteratorBaseEENKUlvE_clEvENKUlvE0_clEvEUlffE_EEEEvS5_RKT_EUlibE0_EEviT1_.kd
    .uniform_work_group_size: 1
    .uses_dynamic_stack: false
    .vgpr_count:     18
    .vgpr_spill_count: 0
    .wavefront_size: 64
  - .agpr_count:     0
    .args:
      - .offset:         0
        .size:           4
        .value_kind:     by_value
      - .offset:         4
        .size:           1
        .value_kind:     by_value
      - .offset:         8
        .size:           24
        .value_kind:     by_value
    .group_segment_fixed_size: 0
    .kernarg_segment_align: 8
    .kernarg_segment_size: 32
    .language:       OpenCL C
    .language_version:
      - 2
      - 0
    .max_flat_workgroup_size: 256
    .name:           _ZN2at6native29vectorized_elementwise_kernelILi16ENS0_13BinaryFunctorIfffZZZNS0_20copysign_kernel_cudaERNS_18TensorIteratorBaseEENKUlvE_clEvENKUlvE0_clEvEUlffE_EESt5arrayIPcLm3EEEEviT0_T1_
    .private_segment_fixed_size: 0
    .sgpr_count:     20
    .sgpr_spill_count: 0
    .symbol:         _ZN2at6native29vectorized_elementwise_kernelILi16ENS0_13BinaryFunctorIfffZZZNS0_20copysign_kernel_cudaERNS_18TensorIteratorBaseEENKUlvE_clEvENKUlvE0_clEvEUlffE_EESt5arrayIPcLm3EEEEviT0_T1_.kd
    .uniform_work_group_size: 1
    .uses_dynamic_stack: false
    .vgpr_count:     16
    .vgpr_spill_count: 0
    .wavefront_size: 64
  - .agpr_count:     0
    .args:
      - .offset:         0
        .size:           4
        .value_kind:     by_value
      - .offset:         4
        .size:           1
        .value_kind:     by_value
      - .offset:         8
        .size:           24
        .value_kind:     by_value
    .group_segment_fixed_size: 0
    .kernarg_segment_align: 8
    .kernarg_segment_size: 32
    .language:       OpenCL C
    .language_version:
      - 2
      - 0
    .max_flat_workgroup_size: 256
    .name:           _ZN2at6native29vectorized_elementwise_kernelILi8ENS0_13BinaryFunctorIfffZZZNS0_20copysign_kernel_cudaERNS_18TensorIteratorBaseEENKUlvE_clEvENKUlvE0_clEvEUlffE_EESt5arrayIPcLm3EEEEviT0_T1_
    .private_segment_fixed_size: 0
    .sgpr_count:     20
    .sgpr_spill_count: 0
    .symbol:         _ZN2at6native29vectorized_elementwise_kernelILi8ENS0_13BinaryFunctorIfffZZZNS0_20copysign_kernel_cudaERNS_18TensorIteratorBaseEENKUlvE_clEvENKUlvE0_clEvEUlffE_EESt5arrayIPcLm3EEEEviT0_T1_.kd
    .uniform_work_group_size: 1
    .uses_dynamic_stack: false
    .vgpr_count:     16
    .vgpr_spill_count: 0
    .wavefront_size: 64
  - .agpr_count:     0
    .args:
      - .offset:         0
        .size:           4
        .value_kind:     by_value
      - .offset:         4
        .size:           1
        .value_kind:     by_value
      - .offset:         8
        .size:           24
        .value_kind:     by_value
    .group_segment_fixed_size: 0
    .kernarg_segment_align: 8
    .kernarg_segment_size: 32
    .language:       OpenCL C
    .language_version:
      - 2
      - 0
    .max_flat_workgroup_size: 256
    .name:           _ZN2at6native29vectorized_elementwise_kernelILi4ENS0_13BinaryFunctorIfffZZZNS0_20copysign_kernel_cudaERNS_18TensorIteratorBaseEENKUlvE_clEvENKUlvE0_clEvEUlffE_EESt5arrayIPcLm3EEEEviT0_T1_
    .private_segment_fixed_size: 0
    .sgpr_count:     20
    .sgpr_spill_count: 0
    .symbol:         _ZN2at6native29vectorized_elementwise_kernelILi4ENS0_13BinaryFunctorIfffZZZNS0_20copysign_kernel_cudaERNS_18TensorIteratorBaseEENKUlvE_clEvENKUlvE0_clEvEUlffE_EESt5arrayIPcLm3EEEEviT0_T1_.kd
    .uniform_work_group_size: 1
    .uses_dynamic_stack: false
    .vgpr_count:     16
    .vgpr_spill_count: 0
    .wavefront_size: 64
  - .agpr_count:     0
    .args:
      - .offset:         0
        .size:           4
        .value_kind:     by_value
      - .offset:         4
        .size:           1
        .value_kind:     by_value
      - .offset:         8
        .size:           24
        .value_kind:     by_value
    .group_segment_fixed_size: 0
    .kernarg_segment_align: 8
    .kernarg_segment_size: 32
    .language:       OpenCL C
    .language_version:
      - 2
      - 0
    .max_flat_workgroup_size: 256
    .name:           _ZN2at6native29vectorized_elementwise_kernelILi2ENS0_13BinaryFunctorIfffZZZNS0_20copysign_kernel_cudaERNS_18TensorIteratorBaseEENKUlvE_clEvENKUlvE0_clEvEUlffE_EESt5arrayIPcLm3EEEEviT0_T1_
    .private_segment_fixed_size: 0
    .sgpr_count:     20
    .sgpr_spill_count: 0
    .symbol:         _ZN2at6native29vectorized_elementwise_kernelILi2ENS0_13BinaryFunctorIfffZZZNS0_20copysign_kernel_cudaERNS_18TensorIteratorBaseEENKUlvE_clEvENKUlvE0_clEvEUlffE_EESt5arrayIPcLm3EEEEviT0_T1_.kd
    .uniform_work_group_size: 1
    .uses_dynamic_stack: false
    .vgpr_count:     16
    .vgpr_spill_count: 0
    .wavefront_size: 64
  - .agpr_count:     0
    .args:
      - .offset:         0
        .size:           4
        .value_kind:     by_value
      - .offset:         4
        .size:           1
        .value_kind:     by_value
      - .offset:         8
        .size:           24
        .value_kind:     by_value
      - .offset:         32
        .size:           1
        .value_kind:     by_value
      - .offset:         33
        .size:           1
        .value_kind:     by_value
      - .offset:         34
        .size:           1
        .value_kind:     by_value
      - .offset:         35
        .size:           1
        .value_kind:     by_value
    .group_segment_fixed_size: 0
    .kernarg_segment_align: 8
    .kernarg_segment_size: 36
    .language:       OpenCL C
    .language_version:
      - 2
      - 0
    .max_flat_workgroup_size: 256
    .name:           _ZN2at6native27unrolled_elementwise_kernelINS0_13BinaryFunctorIfffZZZNS0_20copysign_kernel_cudaERNS_18TensorIteratorBaseEENKUlvE_clEvENKUlvE0_clEvEUlffE_EESt5arrayIPcLm3EELi4E23TrivialOffsetCalculatorILi2EjESC_ILi1EjENS0_6memory15LoadWithoutCastENSF_16StoreWithoutCastEEEviT_T0_T2_T3_T4_T5_
    .private_segment_fixed_size: 0
    .sgpr_count:     16
    .sgpr_spill_count: 0
    .symbol:         _ZN2at6native27unrolled_elementwise_kernelINS0_13BinaryFunctorIfffZZZNS0_20copysign_kernel_cudaERNS_18TensorIteratorBaseEENKUlvE_clEvENKUlvE0_clEvEUlffE_EESt5arrayIPcLm3EELi4E23TrivialOffsetCalculatorILi2EjESC_ILi1EjENS0_6memory15LoadWithoutCastENSF_16StoreWithoutCastEEEviT_T0_T2_T3_T4_T5_.kd
    .uniform_work_group_size: 1
    .uses_dynamic_stack: false
    .vgpr_count:     16
    .vgpr_spill_count: 0
    .wavefront_size: 64
  - .agpr_count:     0
    .args:
      - .offset:         0
        .size:           4
        .value_kind:     by_value
      - .offset:         8
        .size:           424
        .value_kind:     by_value
    .group_segment_fixed_size: 0
    .kernarg_segment_align: 8
    .kernarg_segment_size: 432
    .language:       OpenCL C
    .language_version:
      - 2
      - 0
    .max_flat_workgroup_size: 128
    .name:           _ZN2at6native32elementwise_kernel_manual_unrollILi128ELi4EZNS0_22gpu_kernel_impl_nocastINS0_13BinaryFunctorIfffZZZNS0_20copysign_kernel_cudaERNS_18TensorIteratorBaseEENKUlvE_clEvENKUlvE0_clEvEUlffE_EEEEvS5_RKT_EUlibE_EEviT1_
    .private_segment_fixed_size: 0
    .sgpr_count:     56
    .sgpr_spill_count: 0
    .symbol:         _ZN2at6native32elementwise_kernel_manual_unrollILi128ELi4EZNS0_22gpu_kernel_impl_nocastINS0_13BinaryFunctorIfffZZZNS0_20copysign_kernel_cudaERNS_18TensorIteratorBaseEENKUlvE_clEvENKUlvE0_clEvEUlffE_EEEEvS5_RKT_EUlibE_EEviT1_.kd
    .uniform_work_group_size: 1
    .uses_dynamic_stack: false
    .vgpr_count:     25
    .vgpr_spill_count: 0
    .wavefront_size: 64
  - .agpr_count:     0
    .args:
      - .offset:         0
        .size:           4
        .value_kind:     by_value
      - .offset:         4
        .size:           1
        .value_kind:     by_value
      - .offset:         8
        .size:           24
        .value_kind:     by_value
      - .offset:         32
        .size:           1
        .value_kind:     by_value
      - .offset:         33
        .size:           1
        .value_kind:     by_value
      - .offset:         36
        .size:           12
        .value_kind:     by_value
      - .offset:         48
        .size:           8
        .value_kind:     by_value
      - .offset:         56
        .size:           4
        .value_kind:     hidden_block_count_x
      - .offset:         60
        .size:           4
        .value_kind:     hidden_block_count_y
      - .offset:         64
        .size:           4
        .value_kind:     hidden_block_count_z
      - .offset:         68
        .size:           2
        .value_kind:     hidden_group_size_x
      - .offset:         70
        .size:           2
        .value_kind:     hidden_group_size_y
      - .offset:         72
        .size:           2
        .value_kind:     hidden_group_size_z
      - .offset:         74
        .size:           2
        .value_kind:     hidden_remainder_x
      - .offset:         76
        .size:           2
        .value_kind:     hidden_remainder_y
      - .offset:         78
        .size:           2
        .value_kind:     hidden_remainder_z
      - .offset:         96
        .size:           8
        .value_kind:     hidden_global_offset_x
      - .offset:         104
        .size:           8
        .value_kind:     hidden_global_offset_y
      - .offset:         112
        .size:           8
        .value_kind:     hidden_global_offset_z
      - .offset:         120
        .size:           2
        .value_kind:     hidden_grid_dims
    .group_segment_fixed_size: 0
    .kernarg_segment_align: 8
    .kernarg_segment_size: 312
    .language:       OpenCL C
    .language_version:
      - 2
      - 0
    .max_flat_workgroup_size: 512
    .name:           _ZN2at6native39vectorized_templated_elementwise_kernelILi8ENS0_13BinaryFunctorIfffZZZNS0_20copysign_kernel_cudaERNS_18TensorIteratorBaseEENKUlvE_clEvENKUlvE0_clEvEUlffE_EESt5arrayIPcLm3EE23TrivialOffsetCalculatorILi2EjESC_ILi1EjENS0_6memory12LoadWithCastILi2EEENSF_13StoreWithCastILi1EEEfJfN3c108BFloat16EEEEviT0_T1_T2_T3_T4_T5_
    .private_segment_fixed_size: 288
    .sgpr_count:     104
    .sgpr_spill_count: 0
    .symbol:         _ZN2at6native39vectorized_templated_elementwise_kernelILi8ENS0_13BinaryFunctorIfffZZZNS0_20copysign_kernel_cudaERNS_18TensorIteratorBaseEENKUlvE_clEvENKUlvE0_clEvEUlffE_EESt5arrayIPcLm3EE23TrivialOffsetCalculatorILi2EjESC_ILi1EjENS0_6memory12LoadWithCastILi2EEENSF_13StoreWithCastILi1EEEfJfN3c108BFloat16EEEEviT0_T1_T2_T3_T4_T5_.kd
    .uniform_work_group_size: 1
    .uses_dynamic_stack: false
    .vgpr_count:     120
    .vgpr_spill_count: 0
    .wavefront_size: 64
  - .agpr_count:     0
    .args:
      - .offset:         0
        .size:           4
        .value_kind:     by_value
      - .offset:         4
        .size:           1
        .value_kind:     by_value
      - .offset:         8
        .size:           24
        .value_kind:     by_value
      - .offset:         32
        .size:           1
        .value_kind:     by_value
      - .offset:         33
        .size:           1
        .value_kind:     by_value
      - .offset:         36
        .size:           12
        .value_kind:     by_value
      - .offset:         48
        .size:           8
        .value_kind:     by_value
      - .offset:         56
        .size:           4
        .value_kind:     hidden_block_count_x
      - .offset:         60
        .size:           4
        .value_kind:     hidden_block_count_y
      - .offset:         64
        .size:           4
        .value_kind:     hidden_block_count_z
      - .offset:         68
        .size:           2
        .value_kind:     hidden_group_size_x
      - .offset:         70
        .size:           2
        .value_kind:     hidden_group_size_y
      - .offset:         72
        .size:           2
        .value_kind:     hidden_group_size_z
      - .offset:         74
        .size:           2
        .value_kind:     hidden_remainder_x
      - .offset:         76
        .size:           2
        .value_kind:     hidden_remainder_y
      - .offset:         78
        .size:           2
        .value_kind:     hidden_remainder_z
      - .offset:         96
        .size:           8
        .value_kind:     hidden_global_offset_x
      - .offset:         104
        .size:           8
        .value_kind:     hidden_global_offset_y
      - .offset:         112
        .size:           8
        .value_kind:     hidden_global_offset_z
      - .offset:         120
        .size:           2
        .value_kind:     hidden_grid_dims
    .group_segment_fixed_size: 0
    .kernarg_segment_align: 8
    .kernarg_segment_size: 312
    .language:       OpenCL C
    .language_version:
      - 2
      - 0
    .max_flat_workgroup_size: 512
    .name:           _ZN2at6native39vectorized_templated_elementwise_kernelILi4ENS0_13BinaryFunctorIfffZZZNS0_20copysign_kernel_cudaERNS_18TensorIteratorBaseEENKUlvE_clEvENKUlvE0_clEvEUlffE_EESt5arrayIPcLm3EE23TrivialOffsetCalculatorILi2EjESC_ILi1EjENS0_6memory12LoadWithCastILi2EEENSF_13StoreWithCastILi1EEEfJfN3c108BFloat16EEEEviT0_T1_T2_T3_T4_T5_
    .private_segment_fixed_size: 288
    .sgpr_count:     104
    .sgpr_spill_count: 0
    .symbol:         _ZN2at6native39vectorized_templated_elementwise_kernelILi4ENS0_13BinaryFunctorIfffZZZNS0_20copysign_kernel_cudaERNS_18TensorIteratorBaseEENKUlvE_clEvENKUlvE0_clEvEUlffE_EESt5arrayIPcLm3EE23TrivialOffsetCalculatorILi2EjESC_ILi1EjENS0_6memory12LoadWithCastILi2EEENSF_13StoreWithCastILi1EEEfJfN3c108BFloat16EEEEviT0_T1_T2_T3_T4_T5_.kd
    .uniform_work_group_size: 1
    .uses_dynamic_stack: false
    .vgpr_count:     120
    .vgpr_spill_count: 0
    .wavefront_size: 64
  - .agpr_count:     0
    .args:
      - .offset:         0
        .size:           4
        .value_kind:     by_value
      - .offset:         4
        .size:           1
        .value_kind:     by_value
      - .offset:         8
        .size:           24
        .value_kind:     by_value
      - .offset:         32
        .size:           1
        .value_kind:     by_value
      - .offset:         33
        .size:           1
        .value_kind:     by_value
      - .offset:         36
        .size:           12
        .value_kind:     by_value
      - .offset:         48
        .size:           8
        .value_kind:     by_value
      - .offset:         56
        .size:           4
        .value_kind:     hidden_block_count_x
      - .offset:         60
        .size:           4
        .value_kind:     hidden_block_count_y
      - .offset:         64
        .size:           4
        .value_kind:     hidden_block_count_z
      - .offset:         68
        .size:           2
        .value_kind:     hidden_group_size_x
      - .offset:         70
        .size:           2
        .value_kind:     hidden_group_size_y
      - .offset:         72
        .size:           2
        .value_kind:     hidden_group_size_z
      - .offset:         74
        .size:           2
        .value_kind:     hidden_remainder_x
      - .offset:         76
        .size:           2
        .value_kind:     hidden_remainder_y
      - .offset:         78
        .size:           2
        .value_kind:     hidden_remainder_z
      - .offset:         96
        .size:           8
        .value_kind:     hidden_global_offset_x
      - .offset:         104
        .size:           8
        .value_kind:     hidden_global_offset_y
      - .offset:         112
        .size:           8
        .value_kind:     hidden_global_offset_z
      - .offset:         120
        .size:           2
        .value_kind:     hidden_grid_dims
    .group_segment_fixed_size: 0
    .kernarg_segment_align: 8
    .kernarg_segment_size: 312
    .language:       OpenCL C
    .language_version:
      - 2
      - 0
    .max_flat_workgroup_size: 512
    .name:           _ZN2at6native39vectorized_templated_elementwise_kernelILi2ENS0_13BinaryFunctorIfffZZZNS0_20copysign_kernel_cudaERNS_18TensorIteratorBaseEENKUlvE_clEvENKUlvE0_clEvEUlffE_EESt5arrayIPcLm3EE23TrivialOffsetCalculatorILi2EjESC_ILi1EjENS0_6memory12LoadWithCastILi2EEENSF_13StoreWithCastILi1EEEfJfN3c108BFloat16EEEEviT0_T1_T2_T3_T4_T5_
    .private_segment_fixed_size: 288
    .sgpr_count:     104
    .sgpr_spill_count: 0
    .symbol:         _ZN2at6native39vectorized_templated_elementwise_kernelILi2ENS0_13BinaryFunctorIfffZZZNS0_20copysign_kernel_cudaERNS_18TensorIteratorBaseEENKUlvE_clEvENKUlvE0_clEvEUlffE_EESt5arrayIPcLm3EE23TrivialOffsetCalculatorILi2EjESC_ILi1EjENS0_6memory12LoadWithCastILi2EEENSF_13StoreWithCastILi1EEEfJfN3c108BFloat16EEEEviT0_T1_T2_T3_T4_T5_.kd
    .uniform_work_group_size: 1
    .uses_dynamic_stack: false
    .vgpr_count:     120
    .vgpr_spill_count: 0
    .wavefront_size: 64
  - .agpr_count:     0
    .args:
      - .offset:         0
        .size:           4
        .value_kind:     by_value
      - .offset:         4
        .size:           1
        .value_kind:     by_value
      - .offset:         8
        .size:           24
        .value_kind:     by_value
      - .offset:         32
        .size:           1
        .value_kind:     by_value
      - .offset:         33
        .size:           1
        .value_kind:     by_value
      - .offset:         36
        .size:           12
        .value_kind:     by_value
      - .offset:         48
        .size:           8
        .value_kind:     by_value
      - .offset:         56
        .size:           4
        .value_kind:     hidden_block_count_x
      - .offset:         60
        .size:           4
        .value_kind:     hidden_block_count_y
      - .offset:         64
        .size:           4
        .value_kind:     hidden_block_count_z
      - .offset:         68
        .size:           2
        .value_kind:     hidden_group_size_x
      - .offset:         70
        .size:           2
        .value_kind:     hidden_group_size_y
      - .offset:         72
        .size:           2
        .value_kind:     hidden_group_size_z
      - .offset:         74
        .size:           2
        .value_kind:     hidden_remainder_x
      - .offset:         76
        .size:           2
        .value_kind:     hidden_remainder_y
      - .offset:         78
        .size:           2
        .value_kind:     hidden_remainder_z
      - .offset:         96
        .size:           8
        .value_kind:     hidden_global_offset_x
      - .offset:         104
        .size:           8
        .value_kind:     hidden_global_offset_y
      - .offset:         112
        .size:           8
        .value_kind:     hidden_global_offset_z
      - .offset:         120
        .size:           2
        .value_kind:     hidden_grid_dims
    .group_segment_fixed_size: 0
    .kernarg_segment_align: 8
    .kernarg_segment_size: 312
    .language:       OpenCL C
    .language_version:
      - 2
      - 0
    .max_flat_workgroup_size: 512
    .name:           _ZN2at6native39vectorized_templated_elementwise_kernelILi8ENS0_13BinaryFunctorIfffZZZNS0_20copysign_kernel_cudaERNS_18TensorIteratorBaseEENKUlvE_clEvENKUlvE0_clEvEUlffE_EESt5arrayIPcLm3EE23TrivialOffsetCalculatorILi2EjESC_ILi1EjENS0_6memory12LoadWithCastILi2EEENSF_13StoreWithCastILi1EEEfJN3c108BFloat16EfEEEviT0_T1_T2_T3_T4_T5_
    .private_segment_fixed_size: 288
    .sgpr_count:     104
    .sgpr_spill_count: 0
    .symbol:         _ZN2at6native39vectorized_templated_elementwise_kernelILi8ENS0_13BinaryFunctorIfffZZZNS0_20copysign_kernel_cudaERNS_18TensorIteratorBaseEENKUlvE_clEvENKUlvE0_clEvEUlffE_EESt5arrayIPcLm3EE23TrivialOffsetCalculatorILi2EjESC_ILi1EjENS0_6memory12LoadWithCastILi2EEENSF_13StoreWithCastILi1EEEfJN3c108BFloat16EfEEEviT0_T1_T2_T3_T4_T5_.kd
    .uniform_work_group_size: 1
    .uses_dynamic_stack: false
    .vgpr_count:     120
    .vgpr_spill_count: 0
    .wavefront_size: 64
  - .agpr_count:     0
    .args:
      - .offset:         0
        .size:           4
        .value_kind:     by_value
      - .offset:         4
        .size:           1
        .value_kind:     by_value
      - .offset:         8
        .size:           24
        .value_kind:     by_value
      - .offset:         32
        .size:           1
        .value_kind:     by_value
      - .offset:         33
        .size:           1
        .value_kind:     by_value
      - .offset:         36
        .size:           12
        .value_kind:     by_value
      - .offset:         48
        .size:           8
        .value_kind:     by_value
      - .offset:         56
        .size:           4
        .value_kind:     hidden_block_count_x
      - .offset:         60
        .size:           4
        .value_kind:     hidden_block_count_y
      - .offset:         64
        .size:           4
        .value_kind:     hidden_block_count_z
      - .offset:         68
        .size:           2
        .value_kind:     hidden_group_size_x
      - .offset:         70
        .size:           2
        .value_kind:     hidden_group_size_y
      - .offset:         72
        .size:           2
        .value_kind:     hidden_group_size_z
      - .offset:         74
        .size:           2
        .value_kind:     hidden_remainder_x
      - .offset:         76
        .size:           2
        .value_kind:     hidden_remainder_y
      - .offset:         78
        .size:           2
        .value_kind:     hidden_remainder_z
      - .offset:         96
        .size:           8
        .value_kind:     hidden_global_offset_x
      - .offset:         104
        .size:           8
        .value_kind:     hidden_global_offset_y
      - .offset:         112
        .size:           8
        .value_kind:     hidden_global_offset_z
      - .offset:         120
        .size:           2
        .value_kind:     hidden_grid_dims
    .group_segment_fixed_size: 0
    .kernarg_segment_align: 8
    .kernarg_segment_size: 312
    .language:       OpenCL C
    .language_version:
      - 2
      - 0
    .max_flat_workgroup_size: 512
    .name:           _ZN2at6native39vectorized_templated_elementwise_kernelILi4ENS0_13BinaryFunctorIfffZZZNS0_20copysign_kernel_cudaERNS_18TensorIteratorBaseEENKUlvE_clEvENKUlvE0_clEvEUlffE_EESt5arrayIPcLm3EE23TrivialOffsetCalculatorILi2EjESC_ILi1EjENS0_6memory12LoadWithCastILi2EEENSF_13StoreWithCastILi1EEEfJN3c108BFloat16EfEEEviT0_T1_T2_T3_T4_T5_
    .private_segment_fixed_size: 288
    .sgpr_count:     104
    .sgpr_spill_count: 0
    .symbol:         _ZN2at6native39vectorized_templated_elementwise_kernelILi4ENS0_13BinaryFunctorIfffZZZNS0_20copysign_kernel_cudaERNS_18TensorIteratorBaseEENKUlvE_clEvENKUlvE0_clEvEUlffE_EESt5arrayIPcLm3EE23TrivialOffsetCalculatorILi2EjESC_ILi1EjENS0_6memory12LoadWithCastILi2EEENSF_13StoreWithCastILi1EEEfJN3c108BFloat16EfEEEviT0_T1_T2_T3_T4_T5_.kd
    .uniform_work_group_size: 1
    .uses_dynamic_stack: false
    .vgpr_count:     120
    .vgpr_spill_count: 0
    .wavefront_size: 64
  - .agpr_count:     0
    .args:
      - .offset:         0
        .size:           4
        .value_kind:     by_value
      - .offset:         4
        .size:           1
        .value_kind:     by_value
      - .offset:         8
        .size:           24
        .value_kind:     by_value
      - .offset:         32
        .size:           1
        .value_kind:     by_value
      - .offset:         33
        .size:           1
        .value_kind:     by_value
      - .offset:         36
        .size:           12
        .value_kind:     by_value
      - .offset:         48
        .size:           8
        .value_kind:     by_value
      - .offset:         56
        .size:           4
        .value_kind:     hidden_block_count_x
      - .offset:         60
        .size:           4
        .value_kind:     hidden_block_count_y
      - .offset:         64
        .size:           4
        .value_kind:     hidden_block_count_z
      - .offset:         68
        .size:           2
        .value_kind:     hidden_group_size_x
      - .offset:         70
        .size:           2
        .value_kind:     hidden_group_size_y
      - .offset:         72
        .size:           2
        .value_kind:     hidden_group_size_z
      - .offset:         74
        .size:           2
        .value_kind:     hidden_remainder_x
      - .offset:         76
        .size:           2
        .value_kind:     hidden_remainder_y
      - .offset:         78
        .size:           2
        .value_kind:     hidden_remainder_z
      - .offset:         96
        .size:           8
        .value_kind:     hidden_global_offset_x
      - .offset:         104
        .size:           8
        .value_kind:     hidden_global_offset_y
      - .offset:         112
        .size:           8
        .value_kind:     hidden_global_offset_z
      - .offset:         120
        .size:           2
        .value_kind:     hidden_grid_dims
    .group_segment_fixed_size: 0
    .kernarg_segment_align: 8
    .kernarg_segment_size: 312
    .language:       OpenCL C
    .language_version:
      - 2
      - 0
    .max_flat_workgroup_size: 512
    .name:           _ZN2at6native39vectorized_templated_elementwise_kernelILi2ENS0_13BinaryFunctorIfffZZZNS0_20copysign_kernel_cudaERNS_18TensorIteratorBaseEENKUlvE_clEvENKUlvE0_clEvEUlffE_EESt5arrayIPcLm3EE23TrivialOffsetCalculatorILi2EjESC_ILi1EjENS0_6memory12LoadWithCastILi2EEENSF_13StoreWithCastILi1EEEfJN3c108BFloat16EfEEEviT0_T1_T2_T3_T4_T5_
    .private_segment_fixed_size: 288
    .sgpr_count:     104
    .sgpr_spill_count: 0
    .symbol:         _ZN2at6native39vectorized_templated_elementwise_kernelILi2ENS0_13BinaryFunctorIfffZZZNS0_20copysign_kernel_cudaERNS_18TensorIteratorBaseEENKUlvE_clEvENKUlvE0_clEvEUlffE_EESt5arrayIPcLm3EE23TrivialOffsetCalculatorILi2EjESC_ILi1EjENS0_6memory12LoadWithCastILi2EEENSF_13StoreWithCastILi1EEEfJN3c108BFloat16EfEEEviT0_T1_T2_T3_T4_T5_.kd
    .uniform_work_group_size: 1
    .uses_dynamic_stack: false
    .vgpr_count:     120
    .vgpr_spill_count: 0
    .wavefront_size: 64
  - .agpr_count:     0
    .args:
      - .offset:         0
        .size:           4
        .value_kind:     by_value
      - .offset:         4
        .size:           1
        .value_kind:     by_value
      - .offset:         8
        .size:           24
        .value_kind:     by_value
      - .offset:         32
        .size:           1
        .value_kind:     by_value
      - .offset:         33
        .size:           1
        .value_kind:     by_value
      - .offset:         36
        .size:           12
        .value_kind:     by_value
      - .offset:         48
        .size:           8
        .value_kind:     by_value
      - .offset:         56
        .size:           4
        .value_kind:     hidden_block_count_x
      - .offset:         60
        .size:           4
        .value_kind:     hidden_block_count_y
      - .offset:         64
        .size:           4
        .value_kind:     hidden_block_count_z
      - .offset:         68
        .size:           2
        .value_kind:     hidden_group_size_x
      - .offset:         70
        .size:           2
        .value_kind:     hidden_group_size_y
      - .offset:         72
        .size:           2
        .value_kind:     hidden_group_size_z
      - .offset:         74
        .size:           2
        .value_kind:     hidden_remainder_x
      - .offset:         76
        .size:           2
        .value_kind:     hidden_remainder_y
      - .offset:         78
        .size:           2
        .value_kind:     hidden_remainder_z
      - .offset:         96
        .size:           8
        .value_kind:     hidden_global_offset_x
      - .offset:         104
        .size:           8
        .value_kind:     hidden_global_offset_y
      - .offset:         112
        .size:           8
        .value_kind:     hidden_global_offset_z
      - .offset:         120
        .size:           2
        .value_kind:     hidden_grid_dims
    .group_segment_fixed_size: 0
    .kernarg_segment_align: 8
    .kernarg_segment_size: 312
    .language:       OpenCL C
    .language_version:
      - 2
      - 0
    .max_flat_workgroup_size: 512
    .name:           _ZN2at6native39vectorized_templated_elementwise_kernelILi8ENS0_13BinaryFunctorIfffZZZNS0_20copysign_kernel_cudaERNS_18TensorIteratorBaseEENKUlvE_clEvENKUlvE0_clEvEUlffE_EESt5arrayIPcLm3EE23TrivialOffsetCalculatorILi2EjESC_ILi1EjENS0_6memory12LoadWithCastILi2EEENSF_13StoreWithCastILi1EEEN3c108BFloat16EJSL_fEEEviT0_T1_T2_T3_T4_T5_
    .private_segment_fixed_size: 288
    .sgpr_count:     104
    .sgpr_spill_count: 0
    .symbol:         _ZN2at6native39vectorized_templated_elementwise_kernelILi8ENS0_13BinaryFunctorIfffZZZNS0_20copysign_kernel_cudaERNS_18TensorIteratorBaseEENKUlvE_clEvENKUlvE0_clEvEUlffE_EESt5arrayIPcLm3EE23TrivialOffsetCalculatorILi2EjESC_ILi1EjENS0_6memory12LoadWithCastILi2EEENSF_13StoreWithCastILi1EEEN3c108BFloat16EJSL_fEEEviT0_T1_T2_T3_T4_T5_.kd
    .uniform_work_group_size: 1
    .uses_dynamic_stack: false
    .vgpr_count:     120
    .vgpr_spill_count: 0
    .wavefront_size: 64
  - .agpr_count:     0
    .args:
      - .offset:         0
        .size:           4
        .value_kind:     by_value
      - .offset:         4
        .size:           1
        .value_kind:     by_value
      - .offset:         8
        .size:           24
        .value_kind:     by_value
      - .offset:         32
        .size:           1
        .value_kind:     by_value
      - .offset:         33
        .size:           1
        .value_kind:     by_value
      - .offset:         36
        .size:           12
        .value_kind:     by_value
      - .offset:         48
        .size:           8
        .value_kind:     by_value
      - .offset:         56
        .size:           4
        .value_kind:     hidden_block_count_x
      - .offset:         60
        .size:           4
        .value_kind:     hidden_block_count_y
      - .offset:         64
        .size:           4
        .value_kind:     hidden_block_count_z
      - .offset:         68
        .size:           2
        .value_kind:     hidden_group_size_x
      - .offset:         70
        .size:           2
        .value_kind:     hidden_group_size_y
      - .offset:         72
        .size:           2
        .value_kind:     hidden_group_size_z
      - .offset:         74
        .size:           2
        .value_kind:     hidden_remainder_x
      - .offset:         76
        .size:           2
        .value_kind:     hidden_remainder_y
      - .offset:         78
        .size:           2
        .value_kind:     hidden_remainder_z
      - .offset:         96
        .size:           8
        .value_kind:     hidden_global_offset_x
      - .offset:         104
        .size:           8
        .value_kind:     hidden_global_offset_y
      - .offset:         112
        .size:           8
        .value_kind:     hidden_global_offset_z
      - .offset:         120
        .size:           2
        .value_kind:     hidden_grid_dims
    .group_segment_fixed_size: 0
    .kernarg_segment_align: 8
    .kernarg_segment_size: 312
    .language:       OpenCL C
    .language_version:
      - 2
      - 0
    .max_flat_workgroup_size: 512
    .name:           _ZN2at6native39vectorized_templated_elementwise_kernelILi4ENS0_13BinaryFunctorIfffZZZNS0_20copysign_kernel_cudaERNS_18TensorIteratorBaseEENKUlvE_clEvENKUlvE0_clEvEUlffE_EESt5arrayIPcLm3EE23TrivialOffsetCalculatorILi2EjESC_ILi1EjENS0_6memory12LoadWithCastILi2EEENSF_13StoreWithCastILi1EEEN3c108BFloat16EJSL_fEEEviT0_T1_T2_T3_T4_T5_
    .private_segment_fixed_size: 288
    .sgpr_count:     104
    .sgpr_spill_count: 0
    .symbol:         _ZN2at6native39vectorized_templated_elementwise_kernelILi4ENS0_13BinaryFunctorIfffZZZNS0_20copysign_kernel_cudaERNS_18TensorIteratorBaseEENKUlvE_clEvENKUlvE0_clEvEUlffE_EESt5arrayIPcLm3EE23TrivialOffsetCalculatorILi2EjESC_ILi1EjENS0_6memory12LoadWithCastILi2EEENSF_13StoreWithCastILi1EEEN3c108BFloat16EJSL_fEEEviT0_T1_T2_T3_T4_T5_.kd
    .uniform_work_group_size: 1
    .uses_dynamic_stack: false
    .vgpr_count:     120
    .vgpr_spill_count: 0
    .wavefront_size: 64
  - .agpr_count:     0
    .args:
      - .offset:         0
        .size:           4
        .value_kind:     by_value
      - .offset:         4
        .size:           1
        .value_kind:     by_value
      - .offset:         8
        .size:           24
        .value_kind:     by_value
      - .offset:         32
        .size:           1
        .value_kind:     by_value
      - .offset:         33
        .size:           1
        .value_kind:     by_value
      - .offset:         36
        .size:           12
        .value_kind:     by_value
      - .offset:         48
        .size:           8
        .value_kind:     by_value
      - .offset:         56
        .size:           4
        .value_kind:     hidden_block_count_x
      - .offset:         60
        .size:           4
        .value_kind:     hidden_block_count_y
      - .offset:         64
        .size:           4
        .value_kind:     hidden_block_count_z
      - .offset:         68
        .size:           2
        .value_kind:     hidden_group_size_x
      - .offset:         70
        .size:           2
        .value_kind:     hidden_group_size_y
      - .offset:         72
        .size:           2
        .value_kind:     hidden_group_size_z
      - .offset:         74
        .size:           2
        .value_kind:     hidden_remainder_x
      - .offset:         76
        .size:           2
        .value_kind:     hidden_remainder_y
      - .offset:         78
        .size:           2
        .value_kind:     hidden_remainder_z
      - .offset:         96
        .size:           8
        .value_kind:     hidden_global_offset_x
      - .offset:         104
        .size:           8
        .value_kind:     hidden_global_offset_y
      - .offset:         112
        .size:           8
        .value_kind:     hidden_global_offset_z
      - .offset:         120
        .size:           2
        .value_kind:     hidden_grid_dims
    .group_segment_fixed_size: 0
    .kernarg_segment_align: 8
    .kernarg_segment_size: 312
    .language:       OpenCL C
    .language_version:
      - 2
      - 0
    .max_flat_workgroup_size: 512
    .name:           _ZN2at6native39vectorized_templated_elementwise_kernelILi2ENS0_13BinaryFunctorIfffZZZNS0_20copysign_kernel_cudaERNS_18TensorIteratorBaseEENKUlvE_clEvENKUlvE0_clEvEUlffE_EESt5arrayIPcLm3EE23TrivialOffsetCalculatorILi2EjESC_ILi1EjENS0_6memory12LoadWithCastILi2EEENSF_13StoreWithCastILi1EEEN3c108BFloat16EJSL_fEEEviT0_T1_T2_T3_T4_T5_
    .private_segment_fixed_size: 288
    .sgpr_count:     104
    .sgpr_spill_count: 0
    .symbol:         _ZN2at6native39vectorized_templated_elementwise_kernelILi2ENS0_13BinaryFunctorIfffZZZNS0_20copysign_kernel_cudaERNS_18TensorIteratorBaseEENKUlvE_clEvENKUlvE0_clEvEUlffE_EESt5arrayIPcLm3EE23TrivialOffsetCalculatorILi2EjESC_ILi1EjENS0_6memory12LoadWithCastILi2EEENSF_13StoreWithCastILi1EEEN3c108BFloat16EJSL_fEEEviT0_T1_T2_T3_T4_T5_.kd
    .uniform_work_group_size: 1
    .uses_dynamic_stack: false
    .vgpr_count:     120
    .vgpr_spill_count: 0
    .wavefront_size: 64
  - .agpr_count:     0
    .args:
      - .offset:         0
        .size:           4
        .value_kind:     by_value
      - .offset:         4
        .size:           1
        .value_kind:     by_value
      - .offset:         8
        .size:           24
        .value_kind:     by_value
      - .offset:         32
        .size:           1
        .value_kind:     by_value
      - .offset:         33
        .size:           1
        .value_kind:     by_value
      - .offset:         36
        .size:           12
        .value_kind:     by_value
      - .offset:         48
        .size:           8
        .value_kind:     by_value
      - .offset:         56
        .size:           4
        .value_kind:     hidden_block_count_x
      - .offset:         60
        .size:           4
        .value_kind:     hidden_block_count_y
      - .offset:         64
        .size:           4
        .value_kind:     hidden_block_count_z
      - .offset:         68
        .size:           2
        .value_kind:     hidden_group_size_x
      - .offset:         70
        .size:           2
        .value_kind:     hidden_group_size_y
      - .offset:         72
        .size:           2
        .value_kind:     hidden_group_size_z
      - .offset:         74
        .size:           2
        .value_kind:     hidden_remainder_x
      - .offset:         76
        .size:           2
        .value_kind:     hidden_remainder_y
      - .offset:         78
        .size:           2
        .value_kind:     hidden_remainder_z
      - .offset:         96
        .size:           8
        .value_kind:     hidden_global_offset_x
      - .offset:         104
        .size:           8
        .value_kind:     hidden_global_offset_y
      - .offset:         112
        .size:           8
        .value_kind:     hidden_global_offset_z
      - .offset:         120
        .size:           2
        .value_kind:     hidden_grid_dims
    .group_segment_fixed_size: 0
    .kernarg_segment_align: 8
    .kernarg_segment_size: 312
    .language:       OpenCL C
    .language_version:
      - 2
      - 0
    .max_flat_workgroup_size: 512
    .name:           _ZN2at6native39vectorized_templated_elementwise_kernelILi8ENS0_13BinaryFunctorIfffZZZNS0_20copysign_kernel_cudaERNS_18TensorIteratorBaseEENKUlvE_clEvENKUlvE0_clEvEUlffE_EESt5arrayIPcLm3EE23TrivialOffsetCalculatorILi2EjESC_ILi1EjENS0_6memory12LoadWithCastILi2EEENSF_13StoreWithCastILi1EEEfJfN3c104HalfEEEEviT0_T1_T2_T3_T4_T5_
    .private_segment_fixed_size: 288
    .sgpr_count:     104
    .sgpr_spill_count: 0
    .symbol:         _ZN2at6native39vectorized_templated_elementwise_kernelILi8ENS0_13BinaryFunctorIfffZZZNS0_20copysign_kernel_cudaERNS_18TensorIteratorBaseEENKUlvE_clEvENKUlvE0_clEvEUlffE_EESt5arrayIPcLm3EE23TrivialOffsetCalculatorILi2EjESC_ILi1EjENS0_6memory12LoadWithCastILi2EEENSF_13StoreWithCastILi1EEEfJfN3c104HalfEEEEviT0_T1_T2_T3_T4_T5_.kd
    .uniform_work_group_size: 1
    .uses_dynamic_stack: false
    .vgpr_count:     120
    .vgpr_spill_count: 0
    .wavefront_size: 64
  - .agpr_count:     0
    .args:
      - .offset:         0
        .size:           4
        .value_kind:     by_value
      - .offset:         4
        .size:           1
        .value_kind:     by_value
      - .offset:         8
        .size:           24
        .value_kind:     by_value
      - .offset:         32
        .size:           1
        .value_kind:     by_value
      - .offset:         33
        .size:           1
        .value_kind:     by_value
      - .offset:         36
        .size:           12
        .value_kind:     by_value
      - .offset:         48
        .size:           8
        .value_kind:     by_value
      - .offset:         56
        .size:           4
        .value_kind:     hidden_block_count_x
      - .offset:         60
        .size:           4
        .value_kind:     hidden_block_count_y
      - .offset:         64
        .size:           4
        .value_kind:     hidden_block_count_z
      - .offset:         68
        .size:           2
        .value_kind:     hidden_group_size_x
      - .offset:         70
        .size:           2
        .value_kind:     hidden_group_size_y
      - .offset:         72
        .size:           2
        .value_kind:     hidden_group_size_z
      - .offset:         74
        .size:           2
        .value_kind:     hidden_remainder_x
      - .offset:         76
        .size:           2
        .value_kind:     hidden_remainder_y
      - .offset:         78
        .size:           2
        .value_kind:     hidden_remainder_z
      - .offset:         96
        .size:           8
        .value_kind:     hidden_global_offset_x
      - .offset:         104
        .size:           8
        .value_kind:     hidden_global_offset_y
      - .offset:         112
        .size:           8
        .value_kind:     hidden_global_offset_z
      - .offset:         120
        .size:           2
        .value_kind:     hidden_grid_dims
    .group_segment_fixed_size: 0
    .kernarg_segment_align: 8
    .kernarg_segment_size: 312
    .language:       OpenCL C
    .language_version:
      - 2
      - 0
    .max_flat_workgroup_size: 512
    .name:           _ZN2at6native39vectorized_templated_elementwise_kernelILi4ENS0_13BinaryFunctorIfffZZZNS0_20copysign_kernel_cudaERNS_18TensorIteratorBaseEENKUlvE_clEvENKUlvE0_clEvEUlffE_EESt5arrayIPcLm3EE23TrivialOffsetCalculatorILi2EjESC_ILi1EjENS0_6memory12LoadWithCastILi2EEENSF_13StoreWithCastILi1EEEfJfN3c104HalfEEEEviT0_T1_T2_T3_T4_T5_
    .private_segment_fixed_size: 288
    .sgpr_count:     104
    .sgpr_spill_count: 0
    .symbol:         _ZN2at6native39vectorized_templated_elementwise_kernelILi4ENS0_13BinaryFunctorIfffZZZNS0_20copysign_kernel_cudaERNS_18TensorIteratorBaseEENKUlvE_clEvENKUlvE0_clEvEUlffE_EESt5arrayIPcLm3EE23TrivialOffsetCalculatorILi2EjESC_ILi1EjENS0_6memory12LoadWithCastILi2EEENSF_13StoreWithCastILi1EEEfJfN3c104HalfEEEEviT0_T1_T2_T3_T4_T5_.kd
    .uniform_work_group_size: 1
    .uses_dynamic_stack: false
    .vgpr_count:     120
    .vgpr_spill_count: 0
    .wavefront_size: 64
  - .agpr_count:     0
    .args:
      - .offset:         0
        .size:           4
        .value_kind:     by_value
      - .offset:         4
        .size:           1
        .value_kind:     by_value
      - .offset:         8
        .size:           24
        .value_kind:     by_value
      - .offset:         32
        .size:           1
        .value_kind:     by_value
      - .offset:         33
        .size:           1
        .value_kind:     by_value
      - .offset:         36
        .size:           12
        .value_kind:     by_value
      - .offset:         48
        .size:           8
        .value_kind:     by_value
      - .offset:         56
        .size:           4
        .value_kind:     hidden_block_count_x
      - .offset:         60
        .size:           4
        .value_kind:     hidden_block_count_y
      - .offset:         64
        .size:           4
        .value_kind:     hidden_block_count_z
      - .offset:         68
        .size:           2
        .value_kind:     hidden_group_size_x
      - .offset:         70
        .size:           2
        .value_kind:     hidden_group_size_y
      - .offset:         72
        .size:           2
        .value_kind:     hidden_group_size_z
      - .offset:         74
        .size:           2
        .value_kind:     hidden_remainder_x
      - .offset:         76
        .size:           2
        .value_kind:     hidden_remainder_y
      - .offset:         78
        .size:           2
        .value_kind:     hidden_remainder_z
      - .offset:         96
        .size:           8
        .value_kind:     hidden_global_offset_x
      - .offset:         104
        .size:           8
        .value_kind:     hidden_global_offset_y
      - .offset:         112
        .size:           8
        .value_kind:     hidden_global_offset_z
      - .offset:         120
        .size:           2
        .value_kind:     hidden_grid_dims
    .group_segment_fixed_size: 0
    .kernarg_segment_align: 8
    .kernarg_segment_size: 312
    .language:       OpenCL C
    .language_version:
      - 2
      - 0
    .max_flat_workgroup_size: 512
    .name:           _ZN2at6native39vectorized_templated_elementwise_kernelILi2ENS0_13BinaryFunctorIfffZZZNS0_20copysign_kernel_cudaERNS_18TensorIteratorBaseEENKUlvE_clEvENKUlvE0_clEvEUlffE_EESt5arrayIPcLm3EE23TrivialOffsetCalculatorILi2EjESC_ILi1EjENS0_6memory12LoadWithCastILi2EEENSF_13StoreWithCastILi1EEEfJfN3c104HalfEEEEviT0_T1_T2_T3_T4_T5_
    .private_segment_fixed_size: 288
    .sgpr_count:     104
    .sgpr_spill_count: 0
    .symbol:         _ZN2at6native39vectorized_templated_elementwise_kernelILi2ENS0_13BinaryFunctorIfffZZZNS0_20copysign_kernel_cudaERNS_18TensorIteratorBaseEENKUlvE_clEvENKUlvE0_clEvEUlffE_EESt5arrayIPcLm3EE23TrivialOffsetCalculatorILi2EjESC_ILi1EjENS0_6memory12LoadWithCastILi2EEENSF_13StoreWithCastILi1EEEfJfN3c104HalfEEEEviT0_T1_T2_T3_T4_T5_.kd
    .uniform_work_group_size: 1
    .uses_dynamic_stack: false
    .vgpr_count:     120
    .vgpr_spill_count: 0
    .wavefront_size: 64
  - .agpr_count:     0
    .args:
      - .offset:         0
        .size:           4
        .value_kind:     by_value
      - .offset:         4
        .size:           1
        .value_kind:     by_value
      - .offset:         8
        .size:           24
        .value_kind:     by_value
      - .offset:         32
        .size:           1
        .value_kind:     by_value
      - .offset:         33
        .size:           1
        .value_kind:     by_value
      - .offset:         36
        .size:           12
        .value_kind:     by_value
      - .offset:         48
        .size:           8
        .value_kind:     by_value
      - .offset:         56
        .size:           4
        .value_kind:     hidden_block_count_x
      - .offset:         60
        .size:           4
        .value_kind:     hidden_block_count_y
      - .offset:         64
        .size:           4
        .value_kind:     hidden_block_count_z
      - .offset:         68
        .size:           2
        .value_kind:     hidden_group_size_x
      - .offset:         70
        .size:           2
        .value_kind:     hidden_group_size_y
      - .offset:         72
        .size:           2
        .value_kind:     hidden_group_size_z
      - .offset:         74
        .size:           2
        .value_kind:     hidden_remainder_x
      - .offset:         76
        .size:           2
        .value_kind:     hidden_remainder_y
      - .offset:         78
        .size:           2
        .value_kind:     hidden_remainder_z
      - .offset:         96
        .size:           8
        .value_kind:     hidden_global_offset_x
      - .offset:         104
        .size:           8
        .value_kind:     hidden_global_offset_y
      - .offset:         112
        .size:           8
        .value_kind:     hidden_global_offset_z
      - .offset:         120
        .size:           2
        .value_kind:     hidden_grid_dims
    .group_segment_fixed_size: 0
    .kernarg_segment_align: 8
    .kernarg_segment_size: 312
    .language:       OpenCL C
    .language_version:
      - 2
      - 0
    .max_flat_workgroup_size: 512
    .name:           _ZN2at6native39vectorized_templated_elementwise_kernelILi8ENS0_13BinaryFunctorIfffZZZNS0_20copysign_kernel_cudaERNS_18TensorIteratorBaseEENKUlvE_clEvENKUlvE0_clEvEUlffE_EESt5arrayIPcLm3EE23TrivialOffsetCalculatorILi2EjESC_ILi1EjENS0_6memory12LoadWithCastILi2EEENSF_13StoreWithCastILi1EEEfJN3c104HalfEfEEEviT0_T1_T2_T3_T4_T5_
    .private_segment_fixed_size: 288
    .sgpr_count:     104
    .sgpr_spill_count: 0
    .symbol:         _ZN2at6native39vectorized_templated_elementwise_kernelILi8ENS0_13BinaryFunctorIfffZZZNS0_20copysign_kernel_cudaERNS_18TensorIteratorBaseEENKUlvE_clEvENKUlvE0_clEvEUlffE_EESt5arrayIPcLm3EE23TrivialOffsetCalculatorILi2EjESC_ILi1EjENS0_6memory12LoadWithCastILi2EEENSF_13StoreWithCastILi1EEEfJN3c104HalfEfEEEviT0_T1_T2_T3_T4_T5_.kd
    .uniform_work_group_size: 1
    .uses_dynamic_stack: false
    .vgpr_count:     120
    .vgpr_spill_count: 0
    .wavefront_size: 64
  - .agpr_count:     0
    .args:
      - .offset:         0
        .size:           4
        .value_kind:     by_value
      - .offset:         4
        .size:           1
        .value_kind:     by_value
      - .offset:         8
        .size:           24
        .value_kind:     by_value
      - .offset:         32
        .size:           1
        .value_kind:     by_value
      - .offset:         33
        .size:           1
        .value_kind:     by_value
      - .offset:         36
        .size:           12
        .value_kind:     by_value
      - .offset:         48
        .size:           8
        .value_kind:     by_value
      - .offset:         56
        .size:           4
        .value_kind:     hidden_block_count_x
      - .offset:         60
        .size:           4
        .value_kind:     hidden_block_count_y
      - .offset:         64
        .size:           4
        .value_kind:     hidden_block_count_z
      - .offset:         68
        .size:           2
        .value_kind:     hidden_group_size_x
      - .offset:         70
        .size:           2
        .value_kind:     hidden_group_size_y
      - .offset:         72
        .size:           2
        .value_kind:     hidden_group_size_z
      - .offset:         74
        .size:           2
        .value_kind:     hidden_remainder_x
      - .offset:         76
        .size:           2
        .value_kind:     hidden_remainder_y
      - .offset:         78
        .size:           2
        .value_kind:     hidden_remainder_z
      - .offset:         96
        .size:           8
        .value_kind:     hidden_global_offset_x
      - .offset:         104
        .size:           8
        .value_kind:     hidden_global_offset_y
      - .offset:         112
        .size:           8
        .value_kind:     hidden_global_offset_z
      - .offset:         120
        .size:           2
        .value_kind:     hidden_grid_dims
    .group_segment_fixed_size: 0
    .kernarg_segment_align: 8
    .kernarg_segment_size: 312
    .language:       OpenCL C
    .language_version:
      - 2
      - 0
    .max_flat_workgroup_size: 512
    .name:           _ZN2at6native39vectorized_templated_elementwise_kernelILi4ENS0_13BinaryFunctorIfffZZZNS0_20copysign_kernel_cudaERNS_18TensorIteratorBaseEENKUlvE_clEvENKUlvE0_clEvEUlffE_EESt5arrayIPcLm3EE23TrivialOffsetCalculatorILi2EjESC_ILi1EjENS0_6memory12LoadWithCastILi2EEENSF_13StoreWithCastILi1EEEfJN3c104HalfEfEEEviT0_T1_T2_T3_T4_T5_
    .private_segment_fixed_size: 288
    .sgpr_count:     104
    .sgpr_spill_count: 0
    .symbol:         _ZN2at6native39vectorized_templated_elementwise_kernelILi4ENS0_13BinaryFunctorIfffZZZNS0_20copysign_kernel_cudaERNS_18TensorIteratorBaseEENKUlvE_clEvENKUlvE0_clEvEUlffE_EESt5arrayIPcLm3EE23TrivialOffsetCalculatorILi2EjESC_ILi1EjENS0_6memory12LoadWithCastILi2EEENSF_13StoreWithCastILi1EEEfJN3c104HalfEfEEEviT0_T1_T2_T3_T4_T5_.kd
    .uniform_work_group_size: 1
    .uses_dynamic_stack: false
    .vgpr_count:     120
    .vgpr_spill_count: 0
    .wavefront_size: 64
  - .agpr_count:     0
    .args:
      - .offset:         0
        .size:           4
        .value_kind:     by_value
      - .offset:         4
        .size:           1
        .value_kind:     by_value
      - .offset:         8
        .size:           24
        .value_kind:     by_value
      - .offset:         32
        .size:           1
        .value_kind:     by_value
      - .offset:         33
        .size:           1
        .value_kind:     by_value
      - .offset:         36
        .size:           12
        .value_kind:     by_value
      - .offset:         48
        .size:           8
        .value_kind:     by_value
      - .offset:         56
        .size:           4
        .value_kind:     hidden_block_count_x
      - .offset:         60
        .size:           4
        .value_kind:     hidden_block_count_y
      - .offset:         64
        .size:           4
        .value_kind:     hidden_block_count_z
      - .offset:         68
        .size:           2
        .value_kind:     hidden_group_size_x
      - .offset:         70
        .size:           2
        .value_kind:     hidden_group_size_y
      - .offset:         72
        .size:           2
        .value_kind:     hidden_group_size_z
      - .offset:         74
        .size:           2
        .value_kind:     hidden_remainder_x
      - .offset:         76
        .size:           2
        .value_kind:     hidden_remainder_y
      - .offset:         78
        .size:           2
        .value_kind:     hidden_remainder_z
      - .offset:         96
        .size:           8
        .value_kind:     hidden_global_offset_x
      - .offset:         104
        .size:           8
        .value_kind:     hidden_global_offset_y
      - .offset:         112
        .size:           8
        .value_kind:     hidden_global_offset_z
      - .offset:         120
        .size:           2
        .value_kind:     hidden_grid_dims
    .group_segment_fixed_size: 0
    .kernarg_segment_align: 8
    .kernarg_segment_size: 312
    .language:       OpenCL C
    .language_version:
      - 2
      - 0
    .max_flat_workgroup_size: 512
    .name:           _ZN2at6native39vectorized_templated_elementwise_kernelILi2ENS0_13BinaryFunctorIfffZZZNS0_20copysign_kernel_cudaERNS_18TensorIteratorBaseEENKUlvE_clEvENKUlvE0_clEvEUlffE_EESt5arrayIPcLm3EE23TrivialOffsetCalculatorILi2EjESC_ILi1EjENS0_6memory12LoadWithCastILi2EEENSF_13StoreWithCastILi1EEEfJN3c104HalfEfEEEviT0_T1_T2_T3_T4_T5_
    .private_segment_fixed_size: 288
    .sgpr_count:     104
    .sgpr_spill_count: 0
    .symbol:         _ZN2at6native39vectorized_templated_elementwise_kernelILi2ENS0_13BinaryFunctorIfffZZZNS0_20copysign_kernel_cudaERNS_18TensorIteratorBaseEENKUlvE_clEvENKUlvE0_clEvEUlffE_EESt5arrayIPcLm3EE23TrivialOffsetCalculatorILi2EjESC_ILi1EjENS0_6memory12LoadWithCastILi2EEENSF_13StoreWithCastILi1EEEfJN3c104HalfEfEEEviT0_T1_T2_T3_T4_T5_.kd
    .uniform_work_group_size: 1
    .uses_dynamic_stack: false
    .vgpr_count:     120
    .vgpr_spill_count: 0
    .wavefront_size: 64
  - .agpr_count:     0
    .args:
      - .offset:         0
        .size:           4
        .value_kind:     by_value
      - .offset:         4
        .size:           1
        .value_kind:     by_value
      - .offset:         8
        .size:           24
        .value_kind:     by_value
      - .offset:         32
        .size:           1
        .value_kind:     by_value
      - .offset:         33
        .size:           1
        .value_kind:     by_value
      - .offset:         36
        .size:           12
        .value_kind:     by_value
      - .offset:         48
        .size:           8
        .value_kind:     by_value
      - .offset:         56
        .size:           4
        .value_kind:     hidden_block_count_x
      - .offset:         60
        .size:           4
        .value_kind:     hidden_block_count_y
      - .offset:         64
        .size:           4
        .value_kind:     hidden_block_count_z
      - .offset:         68
        .size:           2
        .value_kind:     hidden_group_size_x
      - .offset:         70
        .size:           2
        .value_kind:     hidden_group_size_y
      - .offset:         72
        .size:           2
        .value_kind:     hidden_group_size_z
      - .offset:         74
        .size:           2
        .value_kind:     hidden_remainder_x
      - .offset:         76
        .size:           2
        .value_kind:     hidden_remainder_y
      - .offset:         78
        .size:           2
        .value_kind:     hidden_remainder_z
      - .offset:         96
        .size:           8
        .value_kind:     hidden_global_offset_x
      - .offset:         104
        .size:           8
        .value_kind:     hidden_global_offset_y
      - .offset:         112
        .size:           8
        .value_kind:     hidden_global_offset_z
      - .offset:         120
        .size:           2
        .value_kind:     hidden_grid_dims
    .group_segment_fixed_size: 0
    .kernarg_segment_align: 8
    .kernarg_segment_size: 312
    .language:       OpenCL C
    .language_version:
      - 2
      - 0
    .max_flat_workgroup_size: 512
    .name:           _ZN2at6native39vectorized_templated_elementwise_kernelILi8ENS0_13BinaryFunctorIfffZZZNS0_20copysign_kernel_cudaERNS_18TensorIteratorBaseEENKUlvE_clEvENKUlvE0_clEvEUlffE_EESt5arrayIPcLm3EE23TrivialOffsetCalculatorILi2EjESC_ILi1EjENS0_6memory12LoadWithCastILi2EEENSF_13StoreWithCastILi1EEEN3c104HalfEJSL_fEEEviT0_T1_T2_T3_T4_T5_
    .private_segment_fixed_size: 288
    .sgpr_count:     104
    .sgpr_spill_count: 0
    .symbol:         _ZN2at6native39vectorized_templated_elementwise_kernelILi8ENS0_13BinaryFunctorIfffZZZNS0_20copysign_kernel_cudaERNS_18TensorIteratorBaseEENKUlvE_clEvENKUlvE0_clEvEUlffE_EESt5arrayIPcLm3EE23TrivialOffsetCalculatorILi2EjESC_ILi1EjENS0_6memory12LoadWithCastILi2EEENSF_13StoreWithCastILi1EEEN3c104HalfEJSL_fEEEviT0_T1_T2_T3_T4_T5_.kd
    .uniform_work_group_size: 1
    .uses_dynamic_stack: false
    .vgpr_count:     120
    .vgpr_spill_count: 0
    .wavefront_size: 64
  - .agpr_count:     0
    .args:
      - .offset:         0
        .size:           4
        .value_kind:     by_value
      - .offset:         4
        .size:           1
        .value_kind:     by_value
      - .offset:         8
        .size:           24
        .value_kind:     by_value
      - .offset:         32
        .size:           1
        .value_kind:     by_value
      - .offset:         33
        .size:           1
        .value_kind:     by_value
      - .offset:         36
        .size:           12
        .value_kind:     by_value
      - .offset:         48
        .size:           8
        .value_kind:     by_value
      - .offset:         56
        .size:           4
        .value_kind:     hidden_block_count_x
      - .offset:         60
        .size:           4
        .value_kind:     hidden_block_count_y
      - .offset:         64
        .size:           4
        .value_kind:     hidden_block_count_z
      - .offset:         68
        .size:           2
        .value_kind:     hidden_group_size_x
      - .offset:         70
        .size:           2
        .value_kind:     hidden_group_size_y
      - .offset:         72
        .size:           2
        .value_kind:     hidden_group_size_z
      - .offset:         74
        .size:           2
        .value_kind:     hidden_remainder_x
      - .offset:         76
        .size:           2
        .value_kind:     hidden_remainder_y
      - .offset:         78
        .size:           2
        .value_kind:     hidden_remainder_z
      - .offset:         96
        .size:           8
        .value_kind:     hidden_global_offset_x
      - .offset:         104
        .size:           8
        .value_kind:     hidden_global_offset_y
      - .offset:         112
        .size:           8
        .value_kind:     hidden_global_offset_z
      - .offset:         120
        .size:           2
        .value_kind:     hidden_grid_dims
    .group_segment_fixed_size: 0
    .kernarg_segment_align: 8
    .kernarg_segment_size: 312
    .language:       OpenCL C
    .language_version:
      - 2
      - 0
    .max_flat_workgroup_size: 512
    .name:           _ZN2at6native39vectorized_templated_elementwise_kernelILi4ENS0_13BinaryFunctorIfffZZZNS0_20copysign_kernel_cudaERNS_18TensorIteratorBaseEENKUlvE_clEvENKUlvE0_clEvEUlffE_EESt5arrayIPcLm3EE23TrivialOffsetCalculatorILi2EjESC_ILi1EjENS0_6memory12LoadWithCastILi2EEENSF_13StoreWithCastILi1EEEN3c104HalfEJSL_fEEEviT0_T1_T2_T3_T4_T5_
    .private_segment_fixed_size: 288
    .sgpr_count:     104
    .sgpr_spill_count: 0
    .symbol:         _ZN2at6native39vectorized_templated_elementwise_kernelILi4ENS0_13BinaryFunctorIfffZZZNS0_20copysign_kernel_cudaERNS_18TensorIteratorBaseEENKUlvE_clEvENKUlvE0_clEvEUlffE_EESt5arrayIPcLm3EE23TrivialOffsetCalculatorILi2EjESC_ILi1EjENS0_6memory12LoadWithCastILi2EEENSF_13StoreWithCastILi1EEEN3c104HalfEJSL_fEEEviT0_T1_T2_T3_T4_T5_.kd
    .uniform_work_group_size: 1
    .uses_dynamic_stack: false
    .vgpr_count:     120
    .vgpr_spill_count: 0
    .wavefront_size: 64
  - .agpr_count:     0
    .args:
      - .offset:         0
        .size:           4
        .value_kind:     by_value
      - .offset:         4
        .size:           1
        .value_kind:     by_value
      - .offset:         8
        .size:           24
        .value_kind:     by_value
      - .offset:         32
        .size:           1
        .value_kind:     by_value
      - .offset:         33
        .size:           1
        .value_kind:     by_value
      - .offset:         36
        .size:           12
        .value_kind:     by_value
      - .offset:         48
        .size:           8
        .value_kind:     by_value
      - .offset:         56
        .size:           4
        .value_kind:     hidden_block_count_x
      - .offset:         60
        .size:           4
        .value_kind:     hidden_block_count_y
      - .offset:         64
        .size:           4
        .value_kind:     hidden_block_count_z
      - .offset:         68
        .size:           2
        .value_kind:     hidden_group_size_x
      - .offset:         70
        .size:           2
        .value_kind:     hidden_group_size_y
      - .offset:         72
        .size:           2
        .value_kind:     hidden_group_size_z
      - .offset:         74
        .size:           2
        .value_kind:     hidden_remainder_x
      - .offset:         76
        .size:           2
        .value_kind:     hidden_remainder_y
      - .offset:         78
        .size:           2
        .value_kind:     hidden_remainder_z
      - .offset:         96
        .size:           8
        .value_kind:     hidden_global_offset_x
      - .offset:         104
        .size:           8
        .value_kind:     hidden_global_offset_y
      - .offset:         112
        .size:           8
        .value_kind:     hidden_global_offset_z
      - .offset:         120
        .size:           2
        .value_kind:     hidden_grid_dims
    .group_segment_fixed_size: 0
    .kernarg_segment_align: 8
    .kernarg_segment_size: 312
    .language:       OpenCL C
    .language_version:
      - 2
      - 0
    .max_flat_workgroup_size: 512
    .name:           _ZN2at6native39vectorized_templated_elementwise_kernelILi2ENS0_13BinaryFunctorIfffZZZNS0_20copysign_kernel_cudaERNS_18TensorIteratorBaseEENKUlvE_clEvENKUlvE0_clEvEUlffE_EESt5arrayIPcLm3EE23TrivialOffsetCalculatorILi2EjESC_ILi1EjENS0_6memory12LoadWithCastILi2EEENSF_13StoreWithCastILi1EEEN3c104HalfEJSL_fEEEviT0_T1_T2_T3_T4_T5_
    .private_segment_fixed_size: 288
    .sgpr_count:     104
    .sgpr_spill_count: 0
    .symbol:         _ZN2at6native39vectorized_templated_elementwise_kernelILi2ENS0_13BinaryFunctorIfffZZZNS0_20copysign_kernel_cudaERNS_18TensorIteratorBaseEENKUlvE_clEvENKUlvE0_clEvEUlffE_EESt5arrayIPcLm3EE23TrivialOffsetCalculatorILi2EjESC_ILi1EjENS0_6memory12LoadWithCastILi2EEENSF_13StoreWithCastILi1EEEN3c104HalfEJSL_fEEEviT0_T1_T2_T3_T4_T5_.kd
    .uniform_work_group_size: 1
    .uses_dynamic_stack: false
    .vgpr_count:     120
    .vgpr_spill_count: 0
    .wavefront_size: 64
  - .agpr_count:     0
    .args:
      - .offset:         0
        .size:           4
        .value_kind:     by_value
      - .offset:         8
        .size:           40
        .value_kind:     by_value
    .group_segment_fixed_size: 0
    .kernarg_segment_align: 8
    .kernarg_segment_size: 48
    .language:       OpenCL C
    .language_version:
      - 2
      - 0
    .max_flat_workgroup_size: 128
    .name:           _ZN2at6native32elementwise_kernel_manual_unrollILi128ELi4EZNS0_15gpu_kernel_implINS0_13BinaryFunctorIfffZZZNS0_20copysign_kernel_cudaERNS_18TensorIteratorBaseEENKUlvE_clEvENKUlvE0_clEvEUlffE_EEEEvS5_RKT_EUlibE_EEviT1_
    .private_segment_fixed_size: 0
    .sgpr_count:     58
    .sgpr_spill_count: 0
    .symbol:         _ZN2at6native32elementwise_kernel_manual_unrollILi128ELi4EZNS0_15gpu_kernel_implINS0_13BinaryFunctorIfffZZZNS0_20copysign_kernel_cudaERNS_18TensorIteratorBaseEENKUlvE_clEvENKUlvE0_clEvEUlffE_EEEEvS5_RKT_EUlibE_EEviT1_.kd
    .uniform_work_group_size: 1
    .uses_dynamic_stack: false
    .vgpr_count:     19
    .vgpr_spill_count: 0
    .wavefront_size: 64
  - .agpr_count:     0
    .args:
      - .offset:         0
        .size:           4
        .value_kind:     by_value
      - .offset:         8
        .size:           424
        .value_kind:     by_value
    .group_segment_fixed_size: 0
    .kernarg_segment_align: 8
    .kernarg_segment_size: 432
    .language:       OpenCL C
    .language_version:
      - 2
      - 0
    .max_flat_workgroup_size: 128
    .name:           _ZN2at6native32elementwise_kernel_manual_unrollILi128ELi4EZNS0_12_GLOBAL__N_142type_specialized_broadcast_kernel_launcherILi0EE5applyINS0_13BinaryFunctorIfffZZZNS0_20copysign_kernel_cudaERNS_18TensorIteratorBaseEENKUlvE_clEvENKUlvE0_clEvEUlffE_EESt5arrayIPcLm3EESD_IN3c1010ScalarTypeELm3EE16OffsetCalculatorILi3EjLb0EEEEvlT_T0_T1_T2_EUlibE_EEviSN_
    .private_segment_fixed_size: 0
    .sgpr_count:     56
    .sgpr_spill_count: 0
    .symbol:         _ZN2at6native32elementwise_kernel_manual_unrollILi128ELi4EZNS0_12_GLOBAL__N_142type_specialized_broadcast_kernel_launcherILi0EE5applyINS0_13BinaryFunctorIfffZZZNS0_20copysign_kernel_cudaERNS_18TensorIteratorBaseEENKUlvE_clEvENKUlvE0_clEvEUlffE_EESt5arrayIPcLm3EESD_IN3c1010ScalarTypeELm3EE16OffsetCalculatorILi3EjLb0EEEEvlT_T0_T1_T2_EUlibE_EEviSN_.kd
    .uniform_work_group_size: 1
    .uses_dynamic_stack: false
    .vgpr_count:     25
    .vgpr_spill_count: 0
    .wavefront_size: 64
  - .agpr_count:     0
    .args:
      - .offset:         0
        .size:           4
        .value_kind:     by_value
      - .offset:         8
        .size:           424
        .value_kind:     by_value
    .group_segment_fixed_size: 0
    .kernarg_segment_align: 8
    .kernarg_segment_size: 432
    .language:       OpenCL C
    .language_version:
      - 2
      - 0
    .max_flat_workgroup_size: 128
    .name:           _ZN2at6native32elementwise_kernel_manual_unrollILi128ELi4EZNS0_12_GLOBAL__N_142type_specialized_broadcast_kernel_launcherILi1EE5applyINS0_13BinaryFunctorIfffZZZNS0_20copysign_kernel_cudaERNS_18TensorIteratorBaseEENKUlvE_clEvENKUlvE0_clEvEUlffE_EESt5arrayIPcLm3EESD_IN3c1010ScalarTypeELm3EE16OffsetCalculatorILi3EjLb0EEEEvlT_T0_T1_T2_EUlibE_EEviSN_
    .private_segment_fixed_size: 0
    .sgpr_count:     56
    .sgpr_spill_count: 0
    .symbol:         _ZN2at6native32elementwise_kernel_manual_unrollILi128ELi4EZNS0_12_GLOBAL__N_142type_specialized_broadcast_kernel_launcherILi1EE5applyINS0_13BinaryFunctorIfffZZZNS0_20copysign_kernel_cudaERNS_18TensorIteratorBaseEENKUlvE_clEvENKUlvE0_clEvEUlffE_EESt5arrayIPcLm3EESD_IN3c1010ScalarTypeELm3EE16OffsetCalculatorILi3EjLb0EEEEvlT_T0_T1_T2_EUlibE_EEviSN_.kd
    .uniform_work_group_size: 1
    .uses_dynamic_stack: false
    .vgpr_count:     25
    .vgpr_spill_count: 0
    .wavefront_size: 64
  - .agpr_count:     0
    .args:
      - .offset:         0
        .size:           4
        .value_kind:     by_value
      - .offset:         8
        .size:           424
        .value_kind:     by_value
    .group_segment_fixed_size: 0
    .kernarg_segment_align: 8
    .kernarg_segment_size: 432
    .language:       OpenCL C
    .language_version:
      - 2
      - 0
    .max_flat_workgroup_size: 128
    .name:           _ZN2at6native32elementwise_kernel_manual_unrollILi128ELi4EZNS0_12_GLOBAL__N_142type_specialized_broadcast_kernel_launcherILi2EE5applyINS0_13BinaryFunctorIfffZZZNS0_20copysign_kernel_cudaERNS_18TensorIteratorBaseEENKUlvE_clEvENKUlvE0_clEvEUlffE_EESt5arrayIPcLm3EESD_IN3c1010ScalarTypeELm3EE16OffsetCalculatorILi3EjLb0EEEEvlT_T0_T1_T2_EUlibE_EEviSN_
    .private_segment_fixed_size: 0
    .sgpr_count:     56
    .sgpr_spill_count: 0
    .symbol:         _ZN2at6native32elementwise_kernel_manual_unrollILi128ELi4EZNS0_12_GLOBAL__N_142type_specialized_broadcast_kernel_launcherILi2EE5applyINS0_13BinaryFunctorIfffZZZNS0_20copysign_kernel_cudaERNS_18TensorIteratorBaseEENKUlvE_clEvENKUlvE0_clEvEUlffE_EESt5arrayIPcLm3EESD_IN3c1010ScalarTypeELm3EE16OffsetCalculatorILi3EjLb0EEEEvlT_T0_T1_T2_EUlibE_EEviSN_.kd
    .uniform_work_group_size: 1
    .uses_dynamic_stack: false
    .vgpr_count:     25
    .vgpr_spill_count: 0
    .wavefront_size: 64
  - .agpr_count:     0
    .args:
      - .offset:         0
        .size:           4
        .value_kind:     by_value
      - .offset:         8
        .size:           424
        .value_kind:     by_value
    .group_segment_fixed_size: 0
    .kernarg_segment_align: 8
    .kernarg_segment_size: 432
    .language:       OpenCL C
    .language_version:
      - 2
      - 0
    .max_flat_workgroup_size: 128
    .name:           _ZN2at6native32elementwise_kernel_manual_unrollILi128ELi4EZNS0_12_GLOBAL__N_142type_specialized_broadcast_kernel_launcherILi3EE5applyINS0_13BinaryFunctorIfffZZZNS0_20copysign_kernel_cudaERNS_18TensorIteratorBaseEENKUlvE_clEvENKUlvE0_clEvEUlffE_EESt5arrayIPcLm3EESD_IN3c1010ScalarTypeELm3EE16OffsetCalculatorILi3EjLb0EEEEvlT_T0_T1_T2_EUlibE_EEviSN_
    .private_segment_fixed_size: 0
    .sgpr_count:     56
    .sgpr_spill_count: 0
    .symbol:         _ZN2at6native32elementwise_kernel_manual_unrollILi128ELi4EZNS0_12_GLOBAL__N_142type_specialized_broadcast_kernel_launcherILi3EE5applyINS0_13BinaryFunctorIfffZZZNS0_20copysign_kernel_cudaERNS_18TensorIteratorBaseEENKUlvE_clEvENKUlvE0_clEvEUlffE_EESt5arrayIPcLm3EESD_IN3c1010ScalarTypeELm3EE16OffsetCalculatorILi3EjLb0EEEEvlT_T0_T1_T2_EUlibE_EEviSN_.kd
    .uniform_work_group_size: 1
    .uses_dynamic_stack: false
    .vgpr_count:     25
    .vgpr_spill_count: 0
    .wavefront_size: 64
  - .agpr_count:     0
    .args:
      - .offset:         0
        .size:           4
        .value_kind:     by_value
      - .offset:         8
        .size:           424
        .value_kind:     by_value
    .group_segment_fixed_size: 0
    .kernarg_segment_align: 8
    .kernarg_segment_size: 432
    .language:       OpenCL C
    .language_version:
      - 2
      - 0
    .max_flat_workgroup_size: 128
    .name:           _ZN2at6native32elementwise_kernel_manual_unrollILi128ELi4EZNS0_12_GLOBAL__N_142type_specialized_broadcast_kernel_launcherILi4EE5applyINS0_13BinaryFunctorIfffZZZNS0_20copysign_kernel_cudaERNS_18TensorIteratorBaseEENKUlvE_clEvENKUlvE0_clEvEUlffE_EESt5arrayIPcLm3EESD_IN3c1010ScalarTypeELm3EE16OffsetCalculatorILi3EjLb0EEEEvlT_T0_T1_T2_EUlibE_EEviSN_
    .private_segment_fixed_size: 0
    .sgpr_count:     56
    .sgpr_spill_count: 0
    .symbol:         _ZN2at6native32elementwise_kernel_manual_unrollILi128ELi4EZNS0_12_GLOBAL__N_142type_specialized_broadcast_kernel_launcherILi4EE5applyINS0_13BinaryFunctorIfffZZZNS0_20copysign_kernel_cudaERNS_18TensorIteratorBaseEENKUlvE_clEvENKUlvE0_clEvEUlffE_EESt5arrayIPcLm3EESD_IN3c1010ScalarTypeELm3EE16OffsetCalculatorILi3EjLb0EEEEvlT_T0_T1_T2_EUlibE_EEviSN_.kd
    .uniform_work_group_size: 1
    .uses_dynamic_stack: false
    .vgpr_count:     25
    .vgpr_spill_count: 0
    .wavefront_size: 64
  - .agpr_count:     0
    .args:
      - .offset:         0
        .size:           4
        .value_kind:     by_value
      - .offset:         8
        .size:           424
        .value_kind:     by_value
    .group_segment_fixed_size: 0
    .kernarg_segment_align: 8
    .kernarg_segment_size: 432
    .language:       OpenCL C
    .language_version:
      - 2
      - 0
    .max_flat_workgroup_size: 128
    .name:           _ZN2at6native32elementwise_kernel_manual_unrollILi128ELi4EZNS0_12_GLOBAL__N_142type_specialized_broadcast_kernel_launcherILi5EE5applyINS0_13BinaryFunctorIfffZZZNS0_20copysign_kernel_cudaERNS_18TensorIteratorBaseEENKUlvE_clEvENKUlvE0_clEvEUlffE_EESt5arrayIPcLm3EESD_IN3c1010ScalarTypeELm3EE16OffsetCalculatorILi3EjLb0EEEEvlT_T0_T1_T2_EUlibE_EEviSN_
    .private_segment_fixed_size: 0
    .sgpr_count:     56
    .sgpr_spill_count: 0
    .symbol:         _ZN2at6native32elementwise_kernel_manual_unrollILi128ELi4EZNS0_12_GLOBAL__N_142type_specialized_broadcast_kernel_launcherILi5EE5applyINS0_13BinaryFunctorIfffZZZNS0_20copysign_kernel_cudaERNS_18TensorIteratorBaseEENKUlvE_clEvENKUlvE0_clEvEUlffE_EESt5arrayIPcLm3EESD_IN3c1010ScalarTypeELm3EE16OffsetCalculatorILi3EjLb0EEEEvlT_T0_T1_T2_EUlibE_EEviSN_.kd
    .uniform_work_group_size: 1
    .uses_dynamic_stack: false
    .vgpr_count:     25
    .vgpr_spill_count: 0
    .wavefront_size: 64
  - .agpr_count:     0
    .args:
      - .offset:         0
        .size:           4
        .value_kind:     by_value
      - .offset:         8
        .size:           424
        .value_kind:     by_value
    .group_segment_fixed_size: 0
    .kernarg_segment_align: 8
    .kernarg_segment_size: 432
    .language:       OpenCL C
    .language_version:
      - 2
      - 0
    .max_flat_workgroup_size: 128
    .name:           _ZN2at6native32elementwise_kernel_manual_unrollILi128ELi4EZNS0_15gpu_kernel_implINS0_13BinaryFunctorIfffZZZNS0_20copysign_kernel_cudaERNS_18TensorIteratorBaseEENKUlvE_clEvENKUlvE0_clEvEUlffE_EEEEvS5_RKT_EUlibE0_EEviT1_
    .private_segment_fixed_size: 0
    .sgpr_count:     82
    .sgpr_spill_count: 0
    .symbol:         _ZN2at6native32elementwise_kernel_manual_unrollILi128ELi4EZNS0_15gpu_kernel_implINS0_13BinaryFunctorIfffZZZNS0_20copysign_kernel_cudaERNS_18TensorIteratorBaseEENKUlvE_clEvENKUlvE0_clEvEUlffE_EEEEvS5_RKT_EUlibE0_EEviT1_.kd
    .uniform_work_group_size: 1
    .uses_dynamic_stack: false
    .vgpr_count:     26
    .vgpr_spill_count: 0
    .wavefront_size: 64
amdhsa.target:   amdgcn-amd-amdhsa--gfx90a
amdhsa.version:
  - 1
  - 2
...

	.end_amdgpu_metadata
